;; amdgpu-corpus repo=pytorch/pytorch kind=compiled arch=gfx906 opt=O3
	.amdgcn_target "amdgcn-amd-amdhsa--gfx906"
	.amdhsa_code_object_version 6
	.section	.text._ZN2at6native29vectorized_elementwise_kernelILi16EZZZNS0_12_GLOBAL__N_131spherical_bessel_j0_kernel_cudaERNS_18TensorIteratorBaseEENKUlvE_clEvENKUlvE_clEvEUldE_St5arrayIPcLm2EEEEviT0_T1_,"axG",@progbits,_ZN2at6native29vectorized_elementwise_kernelILi16EZZZNS0_12_GLOBAL__N_131spherical_bessel_j0_kernel_cudaERNS_18TensorIteratorBaseEENKUlvE_clEvENKUlvE_clEvEUldE_St5arrayIPcLm2EEEEviT0_T1_,comdat
	.globl	_ZN2at6native29vectorized_elementwise_kernelILi16EZZZNS0_12_GLOBAL__N_131spherical_bessel_j0_kernel_cudaERNS_18TensorIteratorBaseEENKUlvE_clEvENKUlvE_clEvEUldE_St5arrayIPcLm2EEEEviT0_T1_ ; -- Begin function _ZN2at6native29vectorized_elementwise_kernelILi16EZZZNS0_12_GLOBAL__N_131spherical_bessel_j0_kernel_cudaERNS_18TensorIteratorBaseEENKUlvE_clEvENKUlvE_clEvEUldE_St5arrayIPcLm2EEEEviT0_T1_
	.p2align	8
	.type	_ZN2at6native29vectorized_elementwise_kernelILi16EZZZNS0_12_GLOBAL__N_131spherical_bessel_j0_kernel_cudaERNS_18TensorIteratorBaseEENKUlvE_clEvENKUlvE_clEvEUldE_St5arrayIPcLm2EEEEviT0_T1_,@function
_ZN2at6native29vectorized_elementwise_kernelILi16EZZZNS0_12_GLOBAL__N_131spherical_bessel_j0_kernel_cudaERNS_18TensorIteratorBaseEENKUlvE_clEvENKUlvE_clEvEUldE_St5arrayIPcLm2EEEEviT0_T1_: ; @_ZN2at6native29vectorized_elementwise_kernelILi16EZZZNS0_12_GLOBAL__N_131spherical_bessel_j0_kernel_cudaERNS_18TensorIteratorBaseEENKUlvE_clEvENKUlvE_clEvEUldE_St5arrayIPcLm2EEEEviT0_T1_
; %bb.0:
	s_load_dword s0, s[4:5], 0x0
	s_load_dwordx4 s[8:11], s[4:5], 0x8
	s_lshl_b32 s4, s6, 10
	s_waitcnt lgkmcnt(0)
	s_sub_i32 s18, s0, s4
	s_cmpk_gt_i32 s18, 0x3ff
	s_mov_b64 s[0:1], -1
	s_cbranch_scc0 .LBB0_42
; %bb.1:
	s_ashr_i32 s5, s4, 31
	s_lshl_b64 s[2:3], s[4:5], 3
	s_add_u32 s0, s10, s2
	s_addc_u32 s1, s11, s3
	v_lshlrev_b32_e32 v15, 5, v0
	global_load_dwordx4 v[9:12], v15, s[0:1]
	global_load_dwordx4 v[5:8], v15, s[0:1] offset:16
	s_mov_b32 s6, 0
	s_mov_b32 s7, 0x7ff00000
	v_mov_b32_e32 v3, 0
	v_mov_b32_e32 v1, 0
	;; [unrolled: 1-line block ×4, first 2 shown]
	s_waitcnt vmcnt(1)
	v_cmp_neq_f64_e64 s[0:1], |v[9:10]|, s[6:7]
	s_and_saveexec_b64 s[12:13], s[0:1]
	s_cbranch_execz .LBB0_11
; %bb.2:
	v_cmp_nlt_f64_e64 s[0:1], |v[9:10]|, 0.5
	s_and_saveexec_b64 s[14:15], s[0:1]
	s_xor_b64 s[14:15], exec, s[14:15]
	s_cbranch_execz .LBB0_8
; %bb.3:
	s_mov_b32 s0, 0
	s_mov_b32 s1, 0x41d00000
	v_cmp_nlt_f64_e64 s[0:1], |v[9:10]|, s[0:1]
                                        ; implicit-def: $vgpr16
                                        ; implicit-def: $vgpr1_vgpr2
                                        ; implicit-def: $vgpr13_vgpr14
	s_and_saveexec_b64 s[16:17], s[0:1]
	s_xor_b64 s[16:17], exec, s[16:17]
	s_cbranch_execz .LBB0_5
; %bb.4:
	v_trig_preop_f64 v[1:2], |v[9:10]|, 0
	s_mov_b32 s0, 0
	s_mov_b32 s1, 0x7b000000
	s_movk_i32 s5, 0xff80
	v_ldexp_f64 v[16:17], |v[9:10]|, s5
	v_cmp_ge_f64_e64 vcc, |v[9:10]|, s[0:1]
	v_trig_preop_f64 v[13:14], |v[9:10]|, 1
	v_and_b32_e32 v18, 0x7fffffff, v10
	v_trig_preop_f64 v[24:25], |v[9:10]|, 2
	s_mov_b32 s0, 0
	s_mov_b32 s1, 0x7ff00000
	v_mov_b32_e32 v35, 0x40100000
	v_mov_b32_e32 v34, 0
	v_cndmask_b32_e32 v17, v18, v17, vcc
	v_cndmask_b32_e32 v16, v9, v16, vcc
	s_mov_b32 s20, 0x33145c07
	v_mul_f64 v[18:19], v[1:2], v[16:17]
	s_mov_b32 s21, 0x3c91a626
	v_mul_f64 v[20:21], v[13:14], v[16:17]
	v_mul_f64 v[30:31], v[24:25], v[16:17]
	v_fma_f64 v[1:2], v[1:2], v[16:17], -v[18:19]
	v_fma_f64 v[13:14], v[13:14], v[16:17], -v[20:21]
	;; [unrolled: 1-line block ×3, first 2 shown]
	v_add_f64 v[22:23], v[20:21], v[1:2]
	v_add_f64 v[26:27], v[22:23], -v[20:21]
	v_add_f64 v[32:33], v[18:19], v[22:23]
	v_add_f64 v[28:29], v[22:23], -v[26:27]
	v_add_f64 v[1:2], v[1:2], -v[26:27]
	v_add_f64 v[26:27], v[30:31], v[13:14]
	v_add_f64 v[18:19], v[32:33], -v[18:19]
	v_add_f64 v[20:21], v[20:21], -v[28:29]
	v_ldexp_f64 v[28:29], v[32:33], -2
	v_add_f64 v[36:37], v[26:27], -v[30:31]
	v_add_f64 v[18:19], v[22:23], -v[18:19]
	v_add_f64 v[1:2], v[1:2], v[20:21]
	v_fract_f64_e32 v[20:21], v[28:29]
	v_cmp_neq_f64_e64 vcc, |v[28:29]|, s[0:1]
	v_add_f64 v[13:14], v[13:14], -v[36:37]
	v_add_f64 v[22:23], v[26:27], v[1:2]
	v_ldexp_f64 v[20:21], v[20:21], 2
	v_add_f64 v[28:29], v[18:19], v[22:23]
	v_cndmask_b32_e32 v21, 0, v21, vcc
	v_cndmask_b32_e32 v20, 0, v20, vcc
	v_add_f64 v[38:39], v[22:23], -v[26:27]
	v_add_f64 v[32:33], v[28:29], v[20:21]
	v_add_f64 v[18:19], v[28:29], -v[18:19]
	v_add_f64 v[40:41], v[22:23], -v[38:39]
	;; [unrolled: 1-line block ×3, first 2 shown]
	v_cmp_gt_f64_e32 vcc, 0, v[32:33]
	v_add_f64 v[32:33], v[26:27], -v[36:37]
	v_add_f64 v[18:19], v[22:23], -v[18:19]
	;; [unrolled: 1-line block ×3, first 2 shown]
	v_cndmask_b32_e32 v35, 0, v35, vcc
	v_add_f64 v[20:21], v[20:21], v[34:35]
	v_add_f64 v[32:33], v[30:31], -v[32:33]
	v_add_f64 v[1:2], v[1:2], v[26:27]
	v_add_f64 v[42:43], v[28:29], v[20:21]
	;; [unrolled: 1-line block ×3, first 2 shown]
	v_cvt_i32_f64_e32 v37, v[42:43]
	v_add_f64 v[1:2], v[13:14], v[1:2]
	v_cvt_f64_i32_e32 v[35:36], v37
	v_add_f64 v[20:21], v[20:21], -v[35:36]
	v_add_f64 v[1:2], v[16:17], v[1:2]
	v_add_f64 v[13:14], v[28:29], v[20:21]
	;; [unrolled: 1-line block ×3, first 2 shown]
	v_mov_b32_e32 v19, 0x3ff00000
	v_add_f64 v[16:17], v[13:14], -v[20:21]
	v_cmp_le_f64_e32 vcc, 0.5, v[13:14]
	v_add_f64 v[17:18], v[28:29], -v[16:17]
	v_cndmask_b32_e32 v35, 0, v19, vcc
	v_add_f64 v[13:14], v[13:14], -v[34:35]
	v_addc_co_u32_e64 v16, s[0:1], 0, v37, vcc
	s_mov_b32 s0, 0x54442d18
	s_mov_b32 s1, 0x3ff921fb
	v_add_f64 v[1:2], v[1:2], v[17:18]
	v_add_f64 v[17:18], v[13:14], v[1:2]
	v_mul_f64 v[19:20], v[17:18], s[0:1]
	v_add_f64 v[13:14], v[17:18], -v[13:14]
	v_fma_f64 v[21:22], v[17:18], s[0:1], -v[19:20]
	v_add_f64 v[1:2], v[1:2], -v[13:14]
	v_fma_f64 v[13:14], v[17:18], s[20:21], v[21:22]
	v_fma_f64 v[13:14], v[1:2], s[0:1], v[13:14]
	v_add_f64 v[1:2], v[19:20], v[13:14]
	v_add_f64 v[17:18], v[1:2], -v[19:20]
	v_add_f64 v[13:14], v[13:14], -v[17:18]
.LBB0_5:
	s_andn2_saveexec_b64 s[0:1], s[16:17]
	s_cbranch_execz .LBB0_7
; %bb.6:
	s_mov_b32 s16, 0x6dc9c883
	s_mov_b32 s17, 0x3fe45f30
	v_mul_f64 v[1:2], |v[9:10]|, s[16:17]
	s_mov_b32 s16, 0x54442d18
	s_mov_b32 s17, 0xbff921fb
	;; [unrolled: 1-line block ×4, first 2 shown]
	v_rndne_f64_e32 v[16:17], v[1:2]
	v_fma_f64 v[1:2], v[16:17], s[16:17], |v[9:10]|
	v_mul_f64 v[13:14], v[16:17], s[20:21]
	s_mov_b32 s16, 0x252049c0
	s_mov_b32 s17, 0xb97b839a
	v_fma_f64 v[22:23], v[16:17], s[20:21], v[1:2]
	v_add_f64 v[18:19], v[1:2], v[13:14]
	s_mov_b32 s21, 0x3c91a626
	v_add_f64 v[20:21], v[1:2], -v[18:19]
	v_add_f64 v[18:19], v[18:19], -v[22:23]
	v_add_f64 v[1:2], v[20:21], v[13:14]
	v_fma_f64 v[13:14], v[16:17], s[20:21], v[13:14]
	v_add_f64 v[1:2], v[18:19], v[1:2]
	v_add_f64 v[1:2], v[1:2], -v[13:14]
	v_fma_f64 v[13:14], v[16:17], s[16:17], v[1:2]
	v_cvt_i32_f64_e32 v16, v[16:17]
	v_add_f64 v[1:2], v[22:23], v[13:14]
	v_add_f64 v[18:19], v[1:2], -v[22:23]
	v_add_f64 v[13:14], v[13:14], -v[18:19]
.LBB0_7:
	s_or_b64 exec, exec, s[0:1]
	v_mul_f64 v[17:18], v[1:2], v[1:2]
	s_mov_b32 s0, 0xf9a43bb8
	v_mov_b32_e32 v20, 0xb42fdfa7
	v_mov_b32_e32 v21, 0xbe5ae600
	s_mov_b32 s1, 0x3de5e0b2
	s_mov_b32 s16, 0x796cde01
	v_mov_b32_e32 v19, 0x9037ab78
	s_mov_b32 s17, 0x3ec71de3
	v_fma_f64 v[21:22], v[17:18], s[0:1], v[20:21]
	s_mov_b32 s0, 0x46cc5e42
	v_mov_b32_e32 v20, 0x3e21eeb6
	s_mov_b32 s1, 0xbda907db
	v_fma_f64 v[19:20], v[17:18], s[0:1], v[19:20]
	v_mul_f64 v[23:24], v[17:18], 0.5
	s_mov_b32 s0, 0xa17f65f6
	s_mov_b32 s20, 0x19e83e5c
	v_fma_f64 v[21:22], v[17:18], v[21:22], s[16:17]
	s_mov_b32 s1, 0xbe927e4f
	s_mov_b32 s21, 0xbf2a01a0
	;; [unrolled: 1-line block ×3, first 2 shown]
	v_fma_f64 v[19:20], v[17:18], v[19:20], s[0:1]
	v_add_f64 v[25:26], -v[23:24], 1.0
	s_mov_b32 s0, 0x11110bb3
	s_mov_b32 s17, 0x3efa01a0
	v_fma_f64 v[21:22], v[17:18], v[21:22], s[20:21]
	s_mov_b32 s1, 0x3f811111
	v_mul_f64 v[27:28], v[13:14], 0.5
	v_mul_f64 v[29:30], v[1:2], -v[17:18]
	v_fma_f64 v[19:20], v[17:18], v[19:20], s[16:17]
	v_add_f64 v[31:32], -v[25:26], 1.0
	v_fma_f64 v[21:22], v[17:18], v[21:22], s[0:1]
	s_mov_b32 s0, 0x16c16967
	s_mov_b32 s1, 0xbf56c16c
	v_fma_f64 v[19:20], v[17:18], v[19:20], s[0:1]
	v_add_f64 v[23:24], v[31:32], -v[23:24]
	s_mov_b32 s1, 0x3fa55555
	s_mov_b32 s0, 0x55555555
	v_fma_f64 v[21:22], v[29:30], v[21:22], v[27:28]
	v_mul_f64 v[27:28], v[17:18], v[17:18]
	v_fma_f64 v[19:20], v[17:18], v[19:20], s[0:1]
	v_fma_f64 v[23:24], v[1:2], -v[13:14], v[23:24]
	s_mov_b32 s1, 0xbfc55555
	v_fma_f64 v[13:14], v[17:18], v[21:22], -v[13:14]
	v_fma_f64 v[17:18], v[27:28], v[19:20], v[23:24]
	v_fma_f64 v[13:14], v[29:30], s[0:1], v[13:14]
	s_movk_i32 s0, 0x1f8
	v_cmp_class_f64_e64 s[0:1], v[9:10], s0
	v_add_f64 v[17:18], v[25:26], v[17:18]
	v_add_f64 v[1:2], v[1:2], -v[13:14]
	v_and_b32_e32 v13, 1, v16
	v_cmp_eq_u32_e32 vcc, 0, v13
	v_lshlrev_b32_e32 v13, 30, v16
	v_xor_b32_e32 v13, v13, v10
	v_and_b32_e32 v13, 0x80000000, v13
	v_mov_b32_e32 v14, 0x7ff80000
	v_cndmask_b32_e32 v2, v18, v2, vcc
	v_cndmask_b32_e32 v1, v17, v1, vcc
	v_xor_b32_e32 v2, v2, v13
	v_cndmask_b32_e64 v1, 0, v1, s[0:1]
	v_cndmask_b32_e64 v2, v14, v2, s[0:1]
	v_div_scale_f64 v[13:14], s[0:1], v[9:10], v[9:10], v[1:2]
	v_div_scale_f64 v[20:21], vcc, v[1:2], v[9:10], v[1:2]
	v_rcp_f64_e32 v[16:17], v[13:14]
	v_fma_f64 v[18:19], -v[13:14], v[16:17], 1.0
	v_fma_f64 v[16:17], v[16:17], v[18:19], v[16:17]
	v_fma_f64 v[18:19], -v[13:14], v[16:17], 1.0
	v_fma_f64 v[16:17], v[16:17], v[18:19], v[16:17]
	v_mul_f64 v[18:19], v[20:21], v[16:17]
	v_fma_f64 v[13:14], -v[13:14], v[18:19], v[20:21]
	v_div_fmas_f64 v[13:14], v[13:14], v[16:17], v[18:19]
	v_div_fixup_f64 v[1:2], v[13:14], v[9:10], v[1:2]
.LBB0_8:
	s_andn2_saveexec_b64 s[0:1], s[14:15]
	s_cbranch_execz .LBB0_10
; %bb.9:
	v_mul_f64 v[1:2], v[9:10], v[9:10]
	s_mov_b32 s14, 0x13a86d09
	v_mov_b32_e32 v9, 0x67f544e4
	v_mov_b32_e32 v10, 0xbe5ae645
	s_mov_b32 s15, 0x3de61246
	v_fma_f64 v[9:10], v[1:2], s[14:15], v[9:10]
	s_mov_b32 s14, 0xa556c734
	s_mov_b32 s15, 0x3ec71de3
	v_fma_f64 v[9:10], v[1:2], v[9:10], s[14:15]
	s_mov_b32 s14, 0x1a01a01a
	;; [unrolled: 3-line block ×4, first 2 shown]
	s_mov_b32 s15, 0xbfc55555
	v_fma_f64 v[9:10], v[1:2], v[9:10], s[14:15]
	v_fma_f64 v[1:2], v[1:2], v[9:10], 1.0
.LBB0_10:
	s_or_b64 exec, exec, s[0:1]
.LBB0_11:
	s_or_b64 exec, exec, s[12:13]
	v_cmp_neq_f64_e64 s[0:1], |v[11:12]|, s[6:7]
	s_and_saveexec_b64 s[6:7], s[0:1]
	s_cbranch_execz .LBB0_21
; %bb.12:
	v_cmp_nlt_f64_e64 s[0:1], |v[11:12]|, 0.5
	s_and_saveexec_b64 s[12:13], s[0:1]
	s_xor_b64 s[12:13], exec, s[12:13]
	s_cbranch_execz .LBB0_18
; %bb.13:
	s_mov_b32 s0, 0
	s_mov_b32 s1, 0x41d00000
	v_cmp_nlt_f64_e64 s[0:1], |v[11:12]|, s[0:1]
                                        ; implicit-def: $vgpr13
                                        ; implicit-def: $vgpr3_vgpr4
                                        ; implicit-def: $vgpr9_vgpr10
	s_and_saveexec_b64 s[14:15], s[0:1]
	s_xor_b64 s[14:15], exec, s[14:15]
	s_cbranch_execz .LBB0_15
; %bb.14:
	v_trig_preop_f64 v[3:4], |v[11:12]|, 0
	s_mov_b32 s0, 0
	s_mov_b32 s1, 0x7b000000
	s_movk_i32 s5, 0xff80
	v_ldexp_f64 v[13:14], |v[11:12]|, s5
	v_cmp_ge_f64_e64 vcc, |v[11:12]|, s[0:1]
	v_trig_preop_f64 v[9:10], |v[11:12]|, 1
	v_and_b32_e32 v16, 0x7fffffff, v12
	v_trig_preop_f64 v[22:23], |v[11:12]|, 2
	s_mov_b32 s0, 0
	s_mov_b32 s1, 0x7ff00000
	v_mov_b32_e32 v33, 0x40100000
	v_mov_b32_e32 v32, 0
	v_cndmask_b32_e32 v14, v16, v14, vcc
	v_cndmask_b32_e32 v13, v11, v13, vcc
	s_mov_b32 s16, 0x33145c07
	v_mul_f64 v[16:17], v[3:4], v[13:14]
	s_mov_b32 s17, 0x3c91a626
	v_mul_f64 v[18:19], v[9:10], v[13:14]
	v_mul_f64 v[28:29], v[22:23], v[13:14]
	v_fma_f64 v[3:4], v[3:4], v[13:14], -v[16:17]
	v_fma_f64 v[9:10], v[9:10], v[13:14], -v[18:19]
	;; [unrolled: 1-line block ×3, first 2 shown]
	v_add_f64 v[20:21], v[18:19], v[3:4]
	v_add_f64 v[24:25], v[20:21], -v[18:19]
	v_add_f64 v[30:31], v[16:17], v[20:21]
	v_add_f64 v[26:27], v[20:21], -v[24:25]
	v_add_f64 v[3:4], v[3:4], -v[24:25]
	v_add_f64 v[24:25], v[28:29], v[9:10]
	v_add_f64 v[16:17], v[30:31], -v[16:17]
	v_add_f64 v[18:19], v[18:19], -v[26:27]
	v_ldexp_f64 v[26:27], v[30:31], -2
	v_add_f64 v[34:35], v[24:25], -v[28:29]
	v_add_f64 v[16:17], v[20:21], -v[16:17]
	v_add_f64 v[3:4], v[3:4], v[18:19]
	v_fract_f64_e32 v[18:19], v[26:27]
	v_cmp_neq_f64_e64 vcc, |v[26:27]|, s[0:1]
	v_add_f64 v[9:10], v[9:10], -v[34:35]
	v_add_f64 v[20:21], v[24:25], v[3:4]
	v_ldexp_f64 v[18:19], v[18:19], 2
	v_add_f64 v[26:27], v[16:17], v[20:21]
	v_cndmask_b32_e32 v19, 0, v19, vcc
	v_cndmask_b32_e32 v18, 0, v18, vcc
	v_add_f64 v[36:37], v[20:21], -v[24:25]
	v_add_f64 v[30:31], v[26:27], v[18:19]
	v_add_f64 v[16:17], v[26:27], -v[16:17]
	v_add_f64 v[38:39], v[20:21], -v[36:37]
	;; [unrolled: 1-line block ×3, first 2 shown]
	v_cmp_gt_f64_e32 vcc, 0, v[30:31]
	v_add_f64 v[30:31], v[24:25], -v[34:35]
	v_add_f64 v[16:17], v[20:21], -v[16:17]
	;; [unrolled: 1-line block ×3, first 2 shown]
	v_cndmask_b32_e32 v33, 0, v33, vcc
	v_add_f64 v[18:19], v[18:19], v[32:33]
	v_add_f64 v[30:31], v[28:29], -v[30:31]
	v_add_f64 v[3:4], v[3:4], v[24:25]
	v_add_f64 v[40:41], v[26:27], v[18:19]
	;; [unrolled: 1-line block ×3, first 2 shown]
	v_cvt_i32_f64_e32 v35, v[40:41]
	v_add_f64 v[3:4], v[9:10], v[3:4]
	v_cvt_f64_i32_e32 v[33:34], v35
	v_add_f64 v[18:19], v[18:19], -v[33:34]
	v_add_f64 v[3:4], v[13:14], v[3:4]
	v_add_f64 v[9:10], v[26:27], v[18:19]
	;; [unrolled: 1-line block ×3, first 2 shown]
	v_add_f64 v[13:14], v[9:10], -v[18:19]
	v_cmp_le_f64_e32 vcc, 0.5, v[9:10]
	v_add_f64 v[16:17], v[26:27], -v[13:14]
	v_mov_b32_e32 v14, 0x3ff00000
	v_cndmask_b32_e32 v33, 0, v14, vcc
	v_add_f64 v[9:10], v[9:10], -v[32:33]
	v_addc_co_u32_e64 v13, s[0:1], 0, v35, vcc
	s_mov_b32 s0, 0x54442d18
	s_mov_b32 s1, 0x3ff921fb
	v_add_f64 v[3:4], v[3:4], v[16:17]
	v_add_f64 v[16:17], v[9:10], v[3:4]
	v_mul_f64 v[18:19], v[16:17], s[0:1]
	v_add_f64 v[9:10], v[16:17], -v[9:10]
	v_fma_f64 v[20:21], v[16:17], s[0:1], -v[18:19]
	v_add_f64 v[3:4], v[3:4], -v[9:10]
	v_fma_f64 v[9:10], v[16:17], s[16:17], v[20:21]
	v_fma_f64 v[9:10], v[3:4], s[0:1], v[9:10]
	v_add_f64 v[3:4], v[18:19], v[9:10]
	v_add_f64 v[16:17], v[3:4], -v[18:19]
	v_add_f64 v[9:10], v[9:10], -v[16:17]
.LBB0_15:
	s_andn2_saveexec_b64 s[0:1], s[14:15]
	s_cbranch_execz .LBB0_17
; %bb.16:
	s_mov_b32 s14, 0x6dc9c883
	s_mov_b32 s15, 0x3fe45f30
	v_mul_f64 v[3:4], |v[11:12]|, s[14:15]
	s_mov_b32 s14, 0x54442d18
	s_mov_b32 s15, 0xbff921fb
	;; [unrolled: 1-line block ×4, first 2 shown]
	v_rndne_f64_e32 v[13:14], v[3:4]
	v_fma_f64 v[3:4], v[13:14], s[14:15], |v[11:12]|
	v_mul_f64 v[9:10], v[13:14], s[16:17]
	s_mov_b32 s14, 0x252049c0
	s_mov_b32 s15, 0xb97b839a
	v_fma_f64 v[20:21], v[13:14], s[16:17], v[3:4]
	v_add_f64 v[16:17], v[3:4], v[9:10]
	s_mov_b32 s17, 0x3c91a626
	v_add_f64 v[18:19], v[3:4], -v[16:17]
	v_add_f64 v[16:17], v[16:17], -v[20:21]
	v_add_f64 v[3:4], v[18:19], v[9:10]
	v_fma_f64 v[9:10], v[13:14], s[16:17], v[9:10]
	v_add_f64 v[3:4], v[16:17], v[3:4]
	v_add_f64 v[3:4], v[3:4], -v[9:10]
	v_fma_f64 v[9:10], v[13:14], s[14:15], v[3:4]
	v_cvt_i32_f64_e32 v13, v[13:14]
	v_add_f64 v[3:4], v[20:21], v[9:10]
	v_add_f64 v[16:17], v[3:4], -v[20:21]
	v_add_f64 v[9:10], v[9:10], -v[16:17]
.LBB0_17:
	s_or_b64 exec, exec, s[0:1]
	v_mul_f64 v[16:17], v[3:4], v[3:4]
	s_mov_b32 s0, 0xf9a43bb8
	v_mov_b32_e32 v19, 0xb42fdfa7
	v_mov_b32_e32 v20, 0xbe5ae600
	s_mov_b32 s1, 0x3de5e0b2
	s_mov_b32 s14, 0x796cde01
	v_mov_b32_e32 v18, 0x9037ab78
	s_mov_b32 s15, 0x3ec71de3
	v_fma_f64 v[20:21], v[16:17], s[0:1], v[19:20]
	s_mov_b32 s0, 0x46cc5e42
	v_mov_b32_e32 v19, 0x3e21eeb6
	s_mov_b32 s1, 0xbda907db
	v_fma_f64 v[18:19], v[16:17], s[0:1], v[18:19]
	v_mul_f64 v[22:23], v[16:17], 0.5
	s_mov_b32 s0, 0xa17f65f6
	s_mov_b32 s16, 0x19e83e5c
	v_fma_f64 v[20:21], v[16:17], v[20:21], s[14:15]
	s_mov_b32 s1, 0xbe927e4f
	s_mov_b32 s17, 0xbf2a01a0
	;; [unrolled: 1-line block ×3, first 2 shown]
	v_fma_f64 v[18:19], v[16:17], v[18:19], s[0:1]
	v_add_f64 v[24:25], -v[22:23], 1.0
	s_mov_b32 s0, 0x11110bb3
	s_mov_b32 s15, 0x3efa01a0
	v_fma_f64 v[20:21], v[16:17], v[20:21], s[16:17]
	s_mov_b32 s1, 0x3f811111
	v_mul_f64 v[26:27], v[9:10], 0.5
	v_mul_f64 v[28:29], v[3:4], -v[16:17]
	v_fma_f64 v[18:19], v[16:17], v[18:19], s[14:15]
	v_add_f64 v[30:31], -v[24:25], 1.0
	v_fma_f64 v[20:21], v[16:17], v[20:21], s[0:1]
	s_mov_b32 s0, 0x16c16967
	s_mov_b32 s1, 0xbf56c16c
	v_fma_f64 v[18:19], v[16:17], v[18:19], s[0:1]
	v_add_f64 v[22:23], v[30:31], -v[22:23]
	s_mov_b32 s1, 0x3fa55555
	s_mov_b32 s0, 0x55555555
	v_fma_f64 v[20:21], v[28:29], v[20:21], v[26:27]
	v_mul_f64 v[26:27], v[16:17], v[16:17]
	v_fma_f64 v[18:19], v[16:17], v[18:19], s[0:1]
	v_fma_f64 v[22:23], v[3:4], -v[9:10], v[22:23]
	s_mov_b32 s1, 0xbfc55555
	v_fma_f64 v[9:10], v[16:17], v[20:21], -v[9:10]
	v_fma_f64 v[16:17], v[26:27], v[18:19], v[22:23]
	v_fma_f64 v[9:10], v[28:29], s[0:1], v[9:10]
	s_movk_i32 s0, 0x1f8
	v_cmp_class_f64_e64 s[0:1], v[11:12], s0
	v_add_f64 v[16:17], v[24:25], v[16:17]
	v_add_f64 v[3:4], v[3:4], -v[9:10]
	v_and_b32_e32 v9, 1, v13
	v_cmp_eq_u32_e32 vcc, 0, v9
	v_lshlrev_b32_e32 v9, 30, v13
	v_xor_b32_e32 v9, v9, v12
	v_and_b32_e32 v9, 0x80000000, v9
	v_mov_b32_e32 v10, 0x7ff80000
	v_cndmask_b32_e32 v4, v17, v4, vcc
	v_cndmask_b32_e32 v3, v16, v3, vcc
	v_xor_b32_e32 v4, v4, v9
	v_cndmask_b32_e64 v3, 0, v3, s[0:1]
	v_cndmask_b32_e64 v4, v10, v4, s[0:1]
	v_div_scale_f64 v[9:10], s[0:1], v[11:12], v[11:12], v[3:4]
	v_div_scale_f64 v[18:19], vcc, v[3:4], v[11:12], v[3:4]
	v_rcp_f64_e32 v[13:14], v[9:10]
	v_fma_f64 v[16:17], -v[9:10], v[13:14], 1.0
	v_fma_f64 v[13:14], v[13:14], v[16:17], v[13:14]
	v_fma_f64 v[16:17], -v[9:10], v[13:14], 1.0
	v_fma_f64 v[13:14], v[13:14], v[16:17], v[13:14]
	v_mul_f64 v[16:17], v[18:19], v[13:14]
	v_fma_f64 v[9:10], -v[9:10], v[16:17], v[18:19]
	v_div_fmas_f64 v[9:10], v[9:10], v[13:14], v[16:17]
	v_div_fixup_f64 v[3:4], v[9:10], v[11:12], v[3:4]
                                        ; implicit-def: $vgpr11_vgpr12
.LBB0_18:
	s_andn2_saveexec_b64 s[0:1], s[12:13]
	s_cbranch_execz .LBB0_20
; %bb.19:
	v_mul_f64 v[3:4], v[11:12], v[11:12]
	s_mov_b32 s12, 0x13a86d09
	v_mov_b32_e32 v9, 0x67f544e4
	v_mov_b32_e32 v10, 0xbe5ae645
	s_mov_b32 s13, 0x3de61246
	v_fma_f64 v[9:10], v[3:4], s[12:13], v[9:10]
	s_mov_b32 s12, 0xa556c734
	s_mov_b32 s13, 0x3ec71de3
	v_fma_f64 v[9:10], v[3:4], v[9:10], s[12:13]
	s_mov_b32 s12, 0x1a01a01a
	;; [unrolled: 3-line block ×4, first 2 shown]
	s_mov_b32 s13, 0xbfc55555
	v_fma_f64 v[9:10], v[3:4], v[9:10], s[12:13]
	v_fma_f64 v[3:4], v[3:4], v[9:10], 1.0
.LBB0_20:
	s_or_b64 exec, exec, s[0:1]
.LBB0_21:
	s_or_b64 exec, exec, s[6:7]
	s_mov_b32 s6, 0
	s_mov_b32 s7, 0x7ff00000
	s_waitcnt vmcnt(0)
	v_cmp_neq_f64_e64 s[0:1], |v[5:6]|, s[6:7]
	v_mov_b32_e32 v11, 0
	v_mov_b32_e32 v9, 0
	;; [unrolled: 1-line block ×4, first 2 shown]
	s_and_saveexec_b64 s[12:13], s[0:1]
	s_cbranch_execz .LBB0_31
; %bb.22:
	v_cmp_nlt_f64_e64 s[0:1], |v[5:6]|, 0.5
	s_and_saveexec_b64 s[14:15], s[0:1]
	s_xor_b64 s[14:15], exec, s[14:15]
	s_cbranch_execz .LBB0_28
; %bb.23:
	s_mov_b32 s0, 0
	s_mov_b32 s1, 0x41d00000
	v_cmp_nlt_f64_e64 s[0:1], |v[5:6]|, s[0:1]
                                        ; implicit-def: $vgpr16
                                        ; implicit-def: $vgpr9_vgpr10
                                        ; implicit-def: $vgpr13_vgpr14
	s_and_saveexec_b64 s[16:17], s[0:1]
	s_xor_b64 s[16:17], exec, s[16:17]
	s_cbranch_execz .LBB0_25
; %bb.24:
	v_trig_preop_f64 v[9:10], |v[5:6]|, 0
	s_mov_b32 s0, 0
	s_mov_b32 s1, 0x7b000000
	s_movk_i32 s5, 0xff80
	v_ldexp_f64 v[16:17], |v[5:6]|, s5
	v_cmp_ge_f64_e64 vcc, |v[5:6]|, s[0:1]
	v_trig_preop_f64 v[13:14], |v[5:6]|, 1
	v_and_b32_e32 v18, 0x7fffffff, v6
	v_trig_preop_f64 v[24:25], |v[5:6]|, 2
	s_mov_b32 s0, 0
	s_mov_b32 s1, 0x7ff00000
	v_mov_b32_e32 v35, 0x40100000
	v_mov_b32_e32 v34, 0
	v_cndmask_b32_e32 v17, v18, v17, vcc
	v_cndmask_b32_e32 v16, v5, v16, vcc
	s_mov_b32 s20, 0x33145c07
	v_mul_f64 v[18:19], v[9:10], v[16:17]
	s_mov_b32 s21, 0x3c91a626
	v_mul_f64 v[20:21], v[13:14], v[16:17]
	v_mul_f64 v[30:31], v[24:25], v[16:17]
	v_fma_f64 v[9:10], v[9:10], v[16:17], -v[18:19]
	v_fma_f64 v[13:14], v[13:14], v[16:17], -v[20:21]
	;; [unrolled: 1-line block ×3, first 2 shown]
	v_add_f64 v[22:23], v[20:21], v[9:10]
	v_add_f64 v[26:27], v[22:23], -v[20:21]
	v_add_f64 v[32:33], v[18:19], v[22:23]
	v_add_f64 v[28:29], v[22:23], -v[26:27]
	v_add_f64 v[9:10], v[9:10], -v[26:27]
	v_add_f64 v[26:27], v[30:31], v[13:14]
	v_add_f64 v[18:19], v[32:33], -v[18:19]
	v_add_f64 v[20:21], v[20:21], -v[28:29]
	v_ldexp_f64 v[28:29], v[32:33], -2
	v_add_f64 v[36:37], v[26:27], -v[30:31]
	v_add_f64 v[18:19], v[22:23], -v[18:19]
	v_add_f64 v[9:10], v[9:10], v[20:21]
	v_fract_f64_e32 v[20:21], v[28:29]
	v_cmp_neq_f64_e64 vcc, |v[28:29]|, s[0:1]
	v_add_f64 v[13:14], v[13:14], -v[36:37]
	v_add_f64 v[22:23], v[26:27], v[9:10]
	v_ldexp_f64 v[20:21], v[20:21], 2
	v_add_f64 v[28:29], v[18:19], v[22:23]
	v_cndmask_b32_e32 v21, 0, v21, vcc
	v_cndmask_b32_e32 v20, 0, v20, vcc
	v_add_f64 v[38:39], v[22:23], -v[26:27]
	v_add_f64 v[32:33], v[28:29], v[20:21]
	v_add_f64 v[18:19], v[28:29], -v[18:19]
	v_add_f64 v[40:41], v[22:23], -v[38:39]
	;; [unrolled: 1-line block ×3, first 2 shown]
	v_cmp_gt_f64_e32 vcc, 0, v[32:33]
	v_add_f64 v[32:33], v[26:27], -v[36:37]
	v_add_f64 v[18:19], v[22:23], -v[18:19]
	;; [unrolled: 1-line block ×3, first 2 shown]
	v_cndmask_b32_e32 v35, 0, v35, vcc
	v_add_f64 v[20:21], v[20:21], v[34:35]
	v_add_f64 v[32:33], v[30:31], -v[32:33]
	v_add_f64 v[9:10], v[9:10], v[26:27]
	v_add_f64 v[42:43], v[28:29], v[20:21]
	;; [unrolled: 1-line block ×3, first 2 shown]
	v_cvt_i32_f64_e32 v37, v[42:43]
	v_add_f64 v[9:10], v[13:14], v[9:10]
	v_cvt_f64_i32_e32 v[35:36], v37
	v_add_f64 v[20:21], v[20:21], -v[35:36]
	v_add_f64 v[9:10], v[16:17], v[9:10]
	v_add_f64 v[13:14], v[28:29], v[20:21]
	;; [unrolled: 1-line block ×3, first 2 shown]
	v_mov_b32_e32 v19, 0x3ff00000
	v_add_f64 v[16:17], v[13:14], -v[20:21]
	v_cmp_le_f64_e32 vcc, 0.5, v[13:14]
	v_add_f64 v[17:18], v[28:29], -v[16:17]
	v_cndmask_b32_e32 v35, 0, v19, vcc
	v_add_f64 v[13:14], v[13:14], -v[34:35]
	v_addc_co_u32_e64 v16, s[0:1], 0, v37, vcc
	s_mov_b32 s0, 0x54442d18
	s_mov_b32 s1, 0x3ff921fb
	v_add_f64 v[9:10], v[9:10], v[17:18]
	v_add_f64 v[17:18], v[13:14], v[9:10]
	v_mul_f64 v[19:20], v[17:18], s[0:1]
	v_add_f64 v[13:14], v[17:18], -v[13:14]
	v_fma_f64 v[21:22], v[17:18], s[0:1], -v[19:20]
	v_add_f64 v[9:10], v[9:10], -v[13:14]
	v_fma_f64 v[13:14], v[17:18], s[20:21], v[21:22]
	v_fma_f64 v[13:14], v[9:10], s[0:1], v[13:14]
	v_add_f64 v[9:10], v[19:20], v[13:14]
	v_add_f64 v[17:18], v[9:10], -v[19:20]
	v_add_f64 v[13:14], v[13:14], -v[17:18]
.LBB0_25:
	s_andn2_saveexec_b64 s[0:1], s[16:17]
	s_cbranch_execz .LBB0_27
; %bb.26:
	s_mov_b32 s16, 0x6dc9c883
	s_mov_b32 s17, 0x3fe45f30
	v_mul_f64 v[9:10], |v[5:6]|, s[16:17]
	s_mov_b32 s16, 0x54442d18
	s_mov_b32 s17, 0xbff921fb
	;; [unrolled: 1-line block ×4, first 2 shown]
	v_rndne_f64_e32 v[16:17], v[9:10]
	v_fma_f64 v[9:10], v[16:17], s[16:17], |v[5:6]|
	v_mul_f64 v[13:14], v[16:17], s[20:21]
	s_mov_b32 s16, 0x252049c0
	s_mov_b32 s17, 0xb97b839a
	v_fma_f64 v[22:23], v[16:17], s[20:21], v[9:10]
	v_add_f64 v[18:19], v[9:10], v[13:14]
	s_mov_b32 s21, 0x3c91a626
	v_add_f64 v[20:21], v[9:10], -v[18:19]
	v_add_f64 v[18:19], v[18:19], -v[22:23]
	v_add_f64 v[9:10], v[20:21], v[13:14]
	v_fma_f64 v[13:14], v[16:17], s[20:21], v[13:14]
	v_add_f64 v[9:10], v[18:19], v[9:10]
	v_add_f64 v[9:10], v[9:10], -v[13:14]
	v_fma_f64 v[13:14], v[16:17], s[16:17], v[9:10]
	v_cvt_i32_f64_e32 v16, v[16:17]
	v_add_f64 v[9:10], v[22:23], v[13:14]
	v_add_f64 v[18:19], v[9:10], -v[22:23]
	v_add_f64 v[13:14], v[13:14], -v[18:19]
.LBB0_27:
	s_or_b64 exec, exec, s[0:1]
	v_mul_f64 v[17:18], v[9:10], v[9:10]
	s_mov_b32 s0, 0xf9a43bb8
	v_mov_b32_e32 v20, 0xb42fdfa7
	v_mov_b32_e32 v21, 0xbe5ae600
	s_mov_b32 s1, 0x3de5e0b2
	s_mov_b32 s16, 0x796cde01
	v_mov_b32_e32 v19, 0x9037ab78
	s_mov_b32 s17, 0x3ec71de3
	v_fma_f64 v[21:22], v[17:18], s[0:1], v[20:21]
	s_mov_b32 s0, 0x46cc5e42
	v_mov_b32_e32 v20, 0x3e21eeb6
	s_mov_b32 s1, 0xbda907db
	v_fma_f64 v[19:20], v[17:18], s[0:1], v[19:20]
	v_mul_f64 v[23:24], v[17:18], 0.5
	s_mov_b32 s0, 0xa17f65f6
	s_mov_b32 s20, 0x19e83e5c
	v_fma_f64 v[21:22], v[17:18], v[21:22], s[16:17]
	s_mov_b32 s1, 0xbe927e4f
	s_mov_b32 s21, 0xbf2a01a0
	s_mov_b32 s16, 0x19f4ec90
	v_fma_f64 v[19:20], v[17:18], v[19:20], s[0:1]
	v_add_f64 v[25:26], -v[23:24], 1.0
	s_mov_b32 s0, 0x11110bb3
	s_mov_b32 s17, 0x3efa01a0
	v_fma_f64 v[21:22], v[17:18], v[21:22], s[20:21]
	s_mov_b32 s1, 0x3f811111
	v_mul_f64 v[27:28], v[13:14], 0.5
	v_mul_f64 v[29:30], v[9:10], -v[17:18]
	v_fma_f64 v[19:20], v[17:18], v[19:20], s[16:17]
	v_add_f64 v[31:32], -v[25:26], 1.0
	v_fma_f64 v[21:22], v[17:18], v[21:22], s[0:1]
	s_mov_b32 s0, 0x16c16967
	s_mov_b32 s1, 0xbf56c16c
	v_fma_f64 v[19:20], v[17:18], v[19:20], s[0:1]
	v_add_f64 v[23:24], v[31:32], -v[23:24]
	s_mov_b32 s1, 0x3fa55555
	s_mov_b32 s0, 0x55555555
	v_fma_f64 v[21:22], v[29:30], v[21:22], v[27:28]
	v_mul_f64 v[27:28], v[17:18], v[17:18]
	v_fma_f64 v[19:20], v[17:18], v[19:20], s[0:1]
	v_fma_f64 v[23:24], v[9:10], -v[13:14], v[23:24]
	s_mov_b32 s1, 0xbfc55555
	v_fma_f64 v[13:14], v[17:18], v[21:22], -v[13:14]
	v_fma_f64 v[17:18], v[27:28], v[19:20], v[23:24]
	v_fma_f64 v[13:14], v[29:30], s[0:1], v[13:14]
	s_movk_i32 s0, 0x1f8
	v_cmp_class_f64_e64 s[0:1], v[5:6], s0
	v_add_f64 v[17:18], v[25:26], v[17:18]
	v_add_f64 v[9:10], v[9:10], -v[13:14]
	v_and_b32_e32 v13, 1, v16
	v_cmp_eq_u32_e32 vcc, 0, v13
	v_lshlrev_b32_e32 v13, 30, v16
	v_xor_b32_e32 v13, v13, v6
	v_and_b32_e32 v13, 0x80000000, v13
	v_mov_b32_e32 v14, 0x7ff80000
	v_cndmask_b32_e32 v10, v18, v10, vcc
	v_cndmask_b32_e32 v9, v17, v9, vcc
	v_xor_b32_e32 v10, v10, v13
	v_cndmask_b32_e64 v9, 0, v9, s[0:1]
	v_cndmask_b32_e64 v10, v14, v10, s[0:1]
	v_div_scale_f64 v[13:14], s[0:1], v[5:6], v[5:6], v[9:10]
	v_div_scale_f64 v[20:21], vcc, v[9:10], v[5:6], v[9:10]
	v_rcp_f64_e32 v[16:17], v[13:14]
	v_fma_f64 v[18:19], -v[13:14], v[16:17], 1.0
	v_fma_f64 v[16:17], v[16:17], v[18:19], v[16:17]
	v_fma_f64 v[18:19], -v[13:14], v[16:17], 1.0
	v_fma_f64 v[16:17], v[16:17], v[18:19], v[16:17]
	v_mul_f64 v[18:19], v[20:21], v[16:17]
	v_fma_f64 v[13:14], -v[13:14], v[18:19], v[20:21]
	v_div_fmas_f64 v[13:14], v[13:14], v[16:17], v[18:19]
	v_div_fixup_f64 v[9:10], v[13:14], v[5:6], v[9:10]
.LBB0_28:
	s_andn2_saveexec_b64 s[0:1], s[14:15]
	s_cbranch_execz .LBB0_30
; %bb.29:
	v_mul_f64 v[5:6], v[5:6], v[5:6]
	s_mov_b32 s14, 0x13a86d09
	v_mov_b32_e32 v9, 0x67f544e4
	v_mov_b32_e32 v10, 0xbe5ae645
	s_mov_b32 s15, 0x3de61246
	v_fma_f64 v[9:10], v[5:6], s[14:15], v[9:10]
	s_mov_b32 s14, 0xa556c734
	s_mov_b32 s15, 0x3ec71de3
	v_fma_f64 v[9:10], v[5:6], v[9:10], s[14:15]
	s_mov_b32 s14, 0x1a01a01a
	;; [unrolled: 3-line block ×4, first 2 shown]
	s_mov_b32 s15, 0xbfc55555
	v_fma_f64 v[9:10], v[5:6], v[9:10], s[14:15]
	v_fma_f64 v[9:10], v[5:6], v[9:10], 1.0
.LBB0_30:
	s_or_b64 exec, exec, s[0:1]
.LBB0_31:
	s_or_b64 exec, exec, s[12:13]
	v_cmp_neq_f64_e64 s[0:1], |v[7:8]|, s[6:7]
	s_and_saveexec_b64 s[6:7], s[0:1]
	s_cbranch_execz .LBB0_41
; %bb.32:
	v_cmp_nlt_f64_e64 s[0:1], |v[7:8]|, 0.5
	s_and_saveexec_b64 s[12:13], s[0:1]
	s_xor_b64 s[12:13], exec, s[12:13]
	s_cbranch_execz .LBB0_38
; %bb.33:
	s_mov_b32 s0, 0
	s_mov_b32 s1, 0x41d00000
	v_cmp_nlt_f64_e64 s[0:1], |v[7:8]|, s[0:1]
                                        ; implicit-def: $vgpr13
                                        ; implicit-def: $vgpr5_vgpr6
                                        ; implicit-def: $vgpr11_vgpr12
	s_and_saveexec_b64 s[14:15], s[0:1]
	s_xor_b64 s[14:15], exec, s[14:15]
	s_cbranch_execz .LBB0_35
; %bb.34:
	v_trig_preop_f64 v[5:6], |v[7:8]|, 0
	s_mov_b32 s0, 0
	s_mov_b32 s1, 0x7b000000
	s_movk_i32 s5, 0xff80
	v_ldexp_f64 v[13:14], |v[7:8]|, s5
	v_cmp_ge_f64_e64 vcc, |v[7:8]|, s[0:1]
	v_trig_preop_f64 v[11:12], |v[7:8]|, 1
	v_and_b32_e32 v16, 0x7fffffff, v8
	v_trig_preop_f64 v[22:23], |v[7:8]|, 2
	s_mov_b32 s0, 0
	s_mov_b32 s1, 0x7ff00000
	v_mov_b32_e32 v33, 0x40100000
	v_mov_b32_e32 v32, 0
	v_cndmask_b32_e32 v14, v16, v14, vcc
	v_cndmask_b32_e32 v13, v7, v13, vcc
	s_mov_b32 s16, 0x33145c07
	v_mul_f64 v[16:17], v[5:6], v[13:14]
	s_mov_b32 s17, 0x3c91a626
	v_mul_f64 v[18:19], v[11:12], v[13:14]
	v_mul_f64 v[28:29], v[22:23], v[13:14]
	v_fma_f64 v[5:6], v[5:6], v[13:14], -v[16:17]
	v_fma_f64 v[11:12], v[11:12], v[13:14], -v[18:19]
	;; [unrolled: 1-line block ×3, first 2 shown]
	v_add_f64 v[20:21], v[18:19], v[5:6]
	v_add_f64 v[24:25], v[20:21], -v[18:19]
	v_add_f64 v[30:31], v[16:17], v[20:21]
	v_add_f64 v[26:27], v[20:21], -v[24:25]
	v_add_f64 v[5:6], v[5:6], -v[24:25]
	v_add_f64 v[24:25], v[28:29], v[11:12]
	v_add_f64 v[16:17], v[30:31], -v[16:17]
	v_add_f64 v[18:19], v[18:19], -v[26:27]
	v_ldexp_f64 v[26:27], v[30:31], -2
	v_add_f64 v[34:35], v[24:25], -v[28:29]
	v_add_f64 v[16:17], v[20:21], -v[16:17]
	v_add_f64 v[5:6], v[5:6], v[18:19]
	v_fract_f64_e32 v[18:19], v[26:27]
	v_cmp_neq_f64_e64 vcc, |v[26:27]|, s[0:1]
	v_add_f64 v[11:12], v[11:12], -v[34:35]
	v_add_f64 v[20:21], v[24:25], v[5:6]
	v_ldexp_f64 v[18:19], v[18:19], 2
	v_add_f64 v[26:27], v[16:17], v[20:21]
	v_cndmask_b32_e32 v19, 0, v19, vcc
	v_cndmask_b32_e32 v18, 0, v18, vcc
	v_add_f64 v[36:37], v[20:21], -v[24:25]
	v_add_f64 v[30:31], v[26:27], v[18:19]
	v_add_f64 v[16:17], v[26:27], -v[16:17]
	v_add_f64 v[38:39], v[20:21], -v[36:37]
	;; [unrolled: 1-line block ×3, first 2 shown]
	v_cmp_gt_f64_e32 vcc, 0, v[30:31]
	v_add_f64 v[30:31], v[24:25], -v[34:35]
	v_add_f64 v[16:17], v[20:21], -v[16:17]
	;; [unrolled: 1-line block ×3, first 2 shown]
	v_cndmask_b32_e32 v33, 0, v33, vcc
	v_add_f64 v[18:19], v[18:19], v[32:33]
	v_add_f64 v[30:31], v[28:29], -v[30:31]
	v_add_f64 v[5:6], v[5:6], v[24:25]
	v_add_f64 v[40:41], v[26:27], v[18:19]
	;; [unrolled: 1-line block ×3, first 2 shown]
	v_cvt_i32_f64_e32 v35, v[40:41]
	v_add_f64 v[5:6], v[11:12], v[5:6]
	v_cvt_f64_i32_e32 v[33:34], v35
	v_add_f64 v[18:19], v[18:19], -v[33:34]
	v_add_f64 v[5:6], v[13:14], v[5:6]
	v_add_f64 v[11:12], v[26:27], v[18:19]
	;; [unrolled: 1-line block ×3, first 2 shown]
	v_add_f64 v[13:14], v[11:12], -v[18:19]
	v_cmp_le_f64_e32 vcc, 0.5, v[11:12]
	v_add_f64 v[16:17], v[26:27], -v[13:14]
	v_mov_b32_e32 v14, 0x3ff00000
	v_cndmask_b32_e32 v33, 0, v14, vcc
	v_add_f64 v[11:12], v[11:12], -v[32:33]
	v_addc_co_u32_e64 v13, s[0:1], 0, v35, vcc
	s_mov_b32 s0, 0x54442d18
	s_mov_b32 s1, 0x3ff921fb
	v_add_f64 v[5:6], v[5:6], v[16:17]
	v_add_f64 v[16:17], v[11:12], v[5:6]
	v_mul_f64 v[18:19], v[16:17], s[0:1]
	v_add_f64 v[11:12], v[16:17], -v[11:12]
	v_fma_f64 v[20:21], v[16:17], s[0:1], -v[18:19]
	v_add_f64 v[5:6], v[5:6], -v[11:12]
	v_fma_f64 v[11:12], v[16:17], s[16:17], v[20:21]
	v_fma_f64 v[11:12], v[5:6], s[0:1], v[11:12]
	v_add_f64 v[5:6], v[18:19], v[11:12]
	v_add_f64 v[16:17], v[5:6], -v[18:19]
	v_add_f64 v[11:12], v[11:12], -v[16:17]
.LBB0_35:
	s_andn2_saveexec_b64 s[0:1], s[14:15]
	s_cbranch_execz .LBB0_37
; %bb.36:
	s_mov_b32 s14, 0x6dc9c883
	s_mov_b32 s15, 0x3fe45f30
	v_mul_f64 v[5:6], |v[7:8]|, s[14:15]
	s_mov_b32 s14, 0x54442d18
	s_mov_b32 s15, 0xbff921fb
	;; [unrolled: 1-line block ×4, first 2 shown]
	v_rndne_f64_e32 v[13:14], v[5:6]
	v_fma_f64 v[5:6], v[13:14], s[14:15], |v[7:8]|
	v_mul_f64 v[11:12], v[13:14], s[16:17]
	s_mov_b32 s14, 0x252049c0
	s_mov_b32 s15, 0xb97b839a
	v_fma_f64 v[20:21], v[13:14], s[16:17], v[5:6]
	v_add_f64 v[16:17], v[5:6], v[11:12]
	s_mov_b32 s17, 0x3c91a626
	v_add_f64 v[18:19], v[5:6], -v[16:17]
	v_add_f64 v[16:17], v[16:17], -v[20:21]
	v_add_f64 v[5:6], v[18:19], v[11:12]
	v_fma_f64 v[11:12], v[13:14], s[16:17], v[11:12]
	v_add_f64 v[5:6], v[16:17], v[5:6]
	v_add_f64 v[5:6], v[5:6], -v[11:12]
	v_fma_f64 v[11:12], v[13:14], s[14:15], v[5:6]
	v_cvt_i32_f64_e32 v13, v[13:14]
	v_add_f64 v[5:6], v[20:21], v[11:12]
	v_add_f64 v[16:17], v[5:6], -v[20:21]
	v_add_f64 v[11:12], v[11:12], -v[16:17]
.LBB0_37:
	s_or_b64 exec, exec, s[0:1]
	v_mul_f64 v[16:17], v[5:6], v[5:6]
	s_mov_b32 s0, 0xf9a43bb8
	v_mov_b32_e32 v19, 0xb42fdfa7
	v_mov_b32_e32 v20, 0xbe5ae600
	s_mov_b32 s1, 0x3de5e0b2
	s_mov_b32 s14, 0x796cde01
	v_mov_b32_e32 v18, 0x9037ab78
	s_mov_b32 s15, 0x3ec71de3
	v_fma_f64 v[20:21], v[16:17], s[0:1], v[19:20]
	s_mov_b32 s0, 0x46cc5e42
	v_mov_b32_e32 v19, 0x3e21eeb6
	s_mov_b32 s1, 0xbda907db
	v_fma_f64 v[18:19], v[16:17], s[0:1], v[18:19]
	v_mul_f64 v[22:23], v[16:17], 0.5
	s_mov_b32 s0, 0xa17f65f6
	s_mov_b32 s16, 0x19e83e5c
	v_fma_f64 v[20:21], v[16:17], v[20:21], s[14:15]
	s_mov_b32 s1, 0xbe927e4f
	s_mov_b32 s17, 0xbf2a01a0
	;; [unrolled: 1-line block ×3, first 2 shown]
	v_fma_f64 v[18:19], v[16:17], v[18:19], s[0:1]
	v_add_f64 v[24:25], -v[22:23], 1.0
	s_mov_b32 s0, 0x11110bb3
	s_mov_b32 s15, 0x3efa01a0
	v_fma_f64 v[20:21], v[16:17], v[20:21], s[16:17]
	s_mov_b32 s1, 0x3f811111
	v_mul_f64 v[26:27], v[11:12], 0.5
	v_mul_f64 v[28:29], v[5:6], -v[16:17]
	v_fma_f64 v[18:19], v[16:17], v[18:19], s[14:15]
	v_add_f64 v[30:31], -v[24:25], 1.0
	v_fma_f64 v[20:21], v[16:17], v[20:21], s[0:1]
	s_mov_b32 s0, 0x16c16967
	s_mov_b32 s1, 0xbf56c16c
	v_fma_f64 v[18:19], v[16:17], v[18:19], s[0:1]
	v_add_f64 v[22:23], v[30:31], -v[22:23]
	s_mov_b32 s1, 0x3fa55555
	s_mov_b32 s0, 0x55555555
	v_fma_f64 v[20:21], v[28:29], v[20:21], v[26:27]
	v_mul_f64 v[26:27], v[16:17], v[16:17]
	v_fma_f64 v[18:19], v[16:17], v[18:19], s[0:1]
	v_fma_f64 v[22:23], v[5:6], -v[11:12], v[22:23]
	s_mov_b32 s1, 0xbfc55555
	v_fma_f64 v[11:12], v[16:17], v[20:21], -v[11:12]
	v_fma_f64 v[16:17], v[26:27], v[18:19], v[22:23]
	v_fma_f64 v[11:12], v[28:29], s[0:1], v[11:12]
	s_movk_i32 s0, 0x1f8
	v_cmp_class_f64_e64 s[0:1], v[7:8], s0
	v_add_f64 v[16:17], v[24:25], v[16:17]
	v_add_f64 v[5:6], v[5:6], -v[11:12]
	v_and_b32_e32 v11, 1, v13
	v_cmp_eq_u32_e32 vcc, 0, v11
	v_lshlrev_b32_e32 v11, 30, v13
	v_xor_b32_e32 v11, v11, v8
	v_and_b32_e32 v11, 0x80000000, v11
	v_mov_b32_e32 v12, 0x7ff80000
	v_cndmask_b32_e32 v6, v17, v6, vcc
	v_cndmask_b32_e32 v5, v16, v5, vcc
	v_xor_b32_e32 v6, v6, v11
	v_cndmask_b32_e64 v5, 0, v5, s[0:1]
	v_cndmask_b32_e64 v6, v12, v6, s[0:1]
	v_div_scale_f64 v[11:12], s[0:1], v[7:8], v[7:8], v[5:6]
	v_div_scale_f64 v[18:19], vcc, v[5:6], v[7:8], v[5:6]
	v_rcp_f64_e32 v[13:14], v[11:12]
	v_fma_f64 v[16:17], -v[11:12], v[13:14], 1.0
	v_fma_f64 v[13:14], v[13:14], v[16:17], v[13:14]
	v_fma_f64 v[16:17], -v[11:12], v[13:14], 1.0
	v_fma_f64 v[13:14], v[13:14], v[16:17], v[13:14]
	v_mul_f64 v[16:17], v[18:19], v[13:14]
	v_fma_f64 v[11:12], -v[11:12], v[16:17], v[18:19]
	v_div_fmas_f64 v[11:12], v[11:12], v[13:14], v[16:17]
	v_div_fixup_f64 v[11:12], v[11:12], v[7:8], v[5:6]
                                        ; implicit-def: $vgpr7_vgpr8
.LBB0_38:
	s_andn2_saveexec_b64 s[0:1], s[12:13]
	s_cbranch_execz .LBB0_40
; %bb.39:
	v_mul_f64 v[5:6], v[7:8], v[7:8]
	s_mov_b32 s12, 0x13a86d09
	v_mov_b32_e32 v7, 0x67f544e4
	v_mov_b32_e32 v8, 0xbe5ae645
	s_mov_b32 s13, 0x3de61246
	v_fma_f64 v[7:8], v[5:6], s[12:13], v[7:8]
	s_mov_b32 s12, 0xa556c734
	s_mov_b32 s13, 0x3ec71de3
	v_fma_f64 v[7:8], v[5:6], v[7:8], s[12:13]
	s_mov_b32 s12, 0x1a01a01a
	;; [unrolled: 3-line block ×4, first 2 shown]
	s_mov_b32 s13, 0xbfc55555
	v_fma_f64 v[7:8], v[5:6], v[7:8], s[12:13]
	v_fma_f64 v[11:12], v[5:6], v[7:8], 1.0
.LBB0_40:
	s_or_b64 exec, exec, s[0:1]
.LBB0_41:
	s_or_b64 exec, exec, s[6:7]
	s_add_u32 s0, s8, s2
	s_addc_u32 s1, s9, s3
	global_store_dwordx4 v15, v[1:4], s[0:1]
	global_store_dwordx4 v15, v[9:12], s[0:1] offset:16
	s_mov_b64 s[0:1], 0
.LBB0_42:
	s_and_b64 vcc, exec, s[0:1]
	s_cbranch_vccz .LBB0_93
; %bb.43:
	v_mov_b32_e32 v14, 0
	v_mov_b32_e32 v16, 0
	v_cmp_gt_i32_e64 s[0:1], s18, v0
	v_mov_b32_e32 v15, 0
	v_or_b32_e32 v1, s4, v0
	v_mov_b32_e32 v17, 0
	v_mov_b32_e32 v4, v0
	s_and_saveexec_b64 s[2:3], s[0:1]
	s_cbranch_execz .LBB0_45
; %bb.44:
	v_mov_b32_e32 v2, 0
	v_lshlrev_b64 v[2:3], 3, v[1:2]
	v_mov_b32_e32 v4, s11
	v_add_co_u32_e32 v2, vcc, s10, v2
	v_addc_co_u32_e32 v3, vcc, v4, v3, vcc
	global_load_dwordx2 v[16:17], v[2:3], off
	v_or_b32_e32 v4, 0x100, v0
.LBB0_45:
	s_or_b64 exec, exec, s[2:3]
	v_cmp_gt_i32_e32 vcc, s18, v4
	s_and_saveexec_b64 s[2:3], vcc
	s_cbranch_execz .LBB0_47
; %bb.46:
	v_add_u32_e32 v2, s4, v4
	v_mov_b32_e32 v3, 0
	v_lshlrev_b64 v[2:3], 3, v[2:3]
	v_mov_b32_e32 v5, s11
	v_add_co_u32_e32 v2, vcc, s10, v2
	v_addc_co_u32_e32 v3, vcc, v5, v3, vcc
	global_load_dwordx2 v[14:15], v[2:3], off
	v_add_u32_e32 v4, 0x100, v4
.LBB0_47:
	s_or_b64 exec, exec, s[2:3]
	v_mov_b32_e32 v2, 0
	v_mov_b32_e32 v6, 0
	;; [unrolled: 1-line block ×4, first 2 shown]
	v_cmp_gt_i32_e32 vcc, s18, v4
	s_and_saveexec_b64 s[2:3], vcc
	s_cbranch_execz .LBB0_49
; %bb.48:
	v_add_u32_e32 v5, s4, v4
	v_mov_b32_e32 v6, 0
	v_lshlrev_b64 v[5:6], 3, v[5:6]
	v_mov_b32_e32 v7, s11
	v_add_co_u32_e32 v5, vcc, s10, v5
	v_addc_co_u32_e32 v6, vcc, v7, v6, vcc
	global_load_dwordx2 v[6:7], v[5:6], off
	v_add_u32_e32 v4, 0x100, v4
.LBB0_49:
	s_or_b64 exec, exec, s[2:3]
	v_cmp_gt_i32_e32 vcc, s18, v4
	s_and_saveexec_b64 s[2:3], vcc
	s_cbranch_execz .LBB0_51
; %bb.50:
	v_add_u32_e32 v2, s4, v4
	v_mov_b32_e32 v3, 0
	v_lshlrev_b64 v[2:3], 3, v[2:3]
	v_mov_b32_e32 v4, s11
	v_add_co_u32_e32 v2, vcc, s10, v2
	v_addc_co_u32_e32 v3, vcc, v4, v3, vcc
	global_load_dwordx2 v[2:3], v[2:3], off
.LBB0_51:
	s_or_b64 exec, exec, s[2:3]
	v_mov_b32_e32 v4, 0
	v_mov_b32_e32 v5, v4
	;; [unrolled: 1-line block ×8, first 2 shown]
	s_and_saveexec_b64 s[6:7], s[0:1]
	s_cbranch_execz .LBB0_63
; %bb.52:
	s_mov_b32 s2, 0
	s_mov_b32 s3, 0x7ff00000
	s_waitcnt vmcnt(0)
	v_cmp_neq_f64_e64 s[2:3], |v[16:17]|, s[2:3]
	v_mov_b32_e32 v4, 0
	v_mov_b32_e32 v5, 0
	s_and_saveexec_b64 s[10:11], s[2:3]
	s_cbranch_execz .LBB0_62
; %bb.53:
	v_cmp_nlt_f64_e64 s[2:3], |v[16:17]|, 0.5
                                        ; implicit-def: $vgpr4_vgpr5
	s_and_saveexec_b64 s[12:13], s[2:3]
	s_xor_b64 s[12:13], exec, s[12:13]
	s_cbranch_execz .LBB0_59
; %bb.54:
	s_mov_b32 s2, 0
	s_mov_b32 s3, 0x41d00000
	v_cmp_nlt_f64_e64 s[2:3], |v[16:17]|, s[2:3]
                                        ; implicit-def: $vgpr10
                                        ; implicit-def: $vgpr4_vgpr5
                                        ; implicit-def: $vgpr8_vgpr9
	s_and_saveexec_b64 s[14:15], s[2:3]
	s_xor_b64 s[14:15], exec, s[14:15]
	s_cbranch_execz .LBB0_56
; %bb.55:
	v_trig_preop_f64 v[4:5], |v[16:17]|, 0
	s_mov_b32 s2, 0
	s_mov_b32 s3, 0x7b000000
	s_movk_i32 s5, 0xff80
	v_ldexp_f64 v[10:11], |v[16:17]|, s5
	v_cmp_ge_f64_e64 vcc, |v[16:17]|, s[2:3]
	v_trig_preop_f64 v[8:9], |v[16:17]|, 1
	v_and_b32_e32 v12, 0x7fffffff, v17
	v_trig_preop_f64 v[22:23], |v[16:17]|, 2
	s_mov_b32 s2, 0
	s_mov_b32 s3, 0x7ff00000
	v_mov_b32_e32 v33, 0x40100000
	v_mov_b32_e32 v32, 0
	v_cndmask_b32_e32 v11, v12, v11, vcc
	v_cndmask_b32_e32 v10, v16, v10, vcc
	s_mov_b32 s16, 0x33145c07
	v_mul_f64 v[12:13], v[4:5], v[10:11]
	s_mov_b32 s17, 0x3c91a626
	v_mul_f64 v[18:19], v[8:9], v[10:11]
	v_mul_f64 v[28:29], v[22:23], v[10:11]
	v_fma_f64 v[4:5], v[4:5], v[10:11], -v[12:13]
	v_fma_f64 v[8:9], v[8:9], v[10:11], -v[18:19]
	;; [unrolled: 1-line block ×3, first 2 shown]
	v_add_f64 v[20:21], v[18:19], v[4:5]
	v_add_f64 v[24:25], v[20:21], -v[18:19]
	v_add_f64 v[30:31], v[12:13], v[20:21]
	v_add_f64 v[26:27], v[20:21], -v[24:25]
	v_add_f64 v[4:5], v[4:5], -v[24:25]
	v_add_f64 v[24:25], v[28:29], v[8:9]
	v_add_f64 v[12:13], v[30:31], -v[12:13]
	v_add_f64 v[18:19], v[18:19], -v[26:27]
	v_ldexp_f64 v[26:27], v[30:31], -2
	v_add_f64 v[34:35], v[24:25], -v[28:29]
	v_add_f64 v[12:13], v[20:21], -v[12:13]
	v_add_f64 v[4:5], v[4:5], v[18:19]
	v_fract_f64_e32 v[18:19], v[26:27]
	v_cmp_neq_f64_e64 vcc, |v[26:27]|, s[2:3]
	v_add_f64 v[8:9], v[8:9], -v[34:35]
	v_add_f64 v[20:21], v[24:25], v[4:5]
	v_ldexp_f64 v[18:19], v[18:19], 2
	v_add_f64 v[26:27], v[12:13], v[20:21]
	v_cndmask_b32_e32 v19, 0, v19, vcc
	v_cndmask_b32_e32 v18, 0, v18, vcc
	v_add_f64 v[36:37], v[20:21], -v[24:25]
	v_add_f64 v[30:31], v[26:27], v[18:19]
	v_add_f64 v[12:13], v[26:27], -v[12:13]
	v_add_f64 v[38:39], v[20:21], -v[36:37]
	v_add_f64 v[4:5], v[4:5], -v[36:37]
	v_cmp_gt_f64_e32 vcc, 0, v[30:31]
	v_add_f64 v[30:31], v[24:25], -v[34:35]
	v_add_f64 v[12:13], v[20:21], -v[12:13]
	;; [unrolled: 1-line block ×3, first 2 shown]
	v_cndmask_b32_e32 v33, 0, v33, vcc
	v_add_f64 v[18:19], v[18:19], v[32:33]
	v_add_f64 v[30:31], v[28:29], -v[30:31]
	v_add_f64 v[4:5], v[4:5], v[24:25]
	v_add_f64 v[40:41], v[26:27], v[18:19]
	;; [unrolled: 1-line block ×3, first 2 shown]
	v_cvt_i32_f64_e32 v35, v[40:41]
	v_add_f64 v[4:5], v[8:9], v[4:5]
	v_cvt_f64_i32_e32 v[33:34], v35
	v_add_f64 v[18:19], v[18:19], -v[33:34]
	v_add_f64 v[4:5], v[10:11], v[4:5]
	v_add_f64 v[8:9], v[26:27], v[18:19]
	;; [unrolled: 1-line block ×3, first 2 shown]
	v_mov_b32_e32 v13, 0x3ff00000
	v_add_f64 v[10:11], v[8:9], -v[18:19]
	v_cmp_le_f64_e32 vcc, 0.5, v[8:9]
	v_add_f64 v[11:12], v[26:27], -v[10:11]
	v_cndmask_b32_e32 v33, 0, v13, vcc
	v_add_f64 v[8:9], v[8:9], -v[32:33]
	v_addc_co_u32_e64 v10, s[2:3], 0, v35, vcc
	s_mov_b32 s2, 0x54442d18
	s_mov_b32 s3, 0x3ff921fb
	v_add_f64 v[4:5], v[4:5], v[11:12]
	v_add_f64 v[11:12], v[8:9], v[4:5]
	v_mul_f64 v[18:19], v[11:12], s[2:3]
	v_add_f64 v[8:9], v[11:12], -v[8:9]
	v_fma_f64 v[20:21], v[11:12], s[2:3], -v[18:19]
	v_add_f64 v[4:5], v[4:5], -v[8:9]
	v_fma_f64 v[8:9], v[11:12], s[16:17], v[20:21]
	v_fma_f64 v[8:9], v[4:5], s[2:3], v[8:9]
	v_add_f64 v[4:5], v[18:19], v[8:9]
	v_add_f64 v[11:12], v[4:5], -v[18:19]
	v_add_f64 v[8:9], v[8:9], -v[11:12]
.LBB0_56:
	s_andn2_saveexec_b64 s[2:3], s[14:15]
	s_cbranch_execz .LBB0_58
; %bb.57:
	s_mov_b32 s14, 0x6dc9c883
	s_mov_b32 s15, 0x3fe45f30
	v_mul_f64 v[4:5], |v[16:17]|, s[14:15]
	s_mov_b32 s14, 0x54442d18
	s_mov_b32 s15, 0xbff921fb
	s_mov_b32 s17, 0xbc91a626
	s_mov_b32 s16, 0x33145c00
	v_rndne_f64_e32 v[10:11], v[4:5]
	v_fma_f64 v[4:5], v[10:11], s[14:15], |v[16:17]|
	v_mul_f64 v[8:9], v[10:11], s[16:17]
	s_mov_b32 s14, 0x252049c0
	s_mov_b32 s15, 0xb97b839a
	v_fma_f64 v[20:21], v[10:11], s[16:17], v[4:5]
	v_add_f64 v[12:13], v[4:5], v[8:9]
	s_mov_b32 s17, 0x3c91a626
	v_add_f64 v[18:19], v[4:5], -v[12:13]
	v_add_f64 v[12:13], v[12:13], -v[20:21]
	v_add_f64 v[4:5], v[18:19], v[8:9]
	v_fma_f64 v[8:9], v[10:11], s[16:17], v[8:9]
	v_add_f64 v[4:5], v[12:13], v[4:5]
	v_add_f64 v[4:5], v[4:5], -v[8:9]
	v_fma_f64 v[8:9], v[10:11], s[14:15], v[4:5]
	v_cvt_i32_f64_e32 v10, v[10:11]
	v_add_f64 v[4:5], v[20:21], v[8:9]
	v_add_f64 v[12:13], v[4:5], -v[20:21]
	v_add_f64 v[8:9], v[8:9], -v[12:13]
.LBB0_58:
	s_or_b64 exec, exec, s[2:3]
	v_mul_f64 v[11:12], v[4:5], v[4:5]
	s_mov_b32 s2, 0xf9a43bb8
	v_mov_b32_e32 v19, 0xb42fdfa7
	v_mov_b32_e32 v20, 0xbe5ae600
	s_mov_b32 s3, 0x3de5e0b2
	s_mov_b32 s14, 0x796cde01
	v_mov_b32_e32 v18, 0x9037ab78
	s_mov_b32 s15, 0x3ec71de3
	v_fma_f64 v[20:21], v[11:12], s[2:3], v[19:20]
	s_mov_b32 s2, 0x46cc5e42
	v_mov_b32_e32 v19, 0x3e21eeb6
	s_mov_b32 s3, 0xbda907db
	v_fma_f64 v[18:19], v[11:12], s[2:3], v[18:19]
	v_mul_f64 v[22:23], v[11:12], 0.5
	s_mov_b32 s2, 0xa17f65f6
	s_mov_b32 s16, 0x19e83e5c
	v_fma_f64 v[20:21], v[11:12], v[20:21], s[14:15]
	s_mov_b32 s3, 0xbe927e4f
	s_mov_b32 s17, 0xbf2a01a0
	;; [unrolled: 1-line block ×3, first 2 shown]
	v_fma_f64 v[18:19], v[11:12], v[18:19], s[2:3]
	v_add_f64 v[24:25], -v[22:23], 1.0
	s_mov_b32 s2, 0x11110bb3
	s_mov_b32 s15, 0x3efa01a0
	v_fma_f64 v[20:21], v[11:12], v[20:21], s[16:17]
	s_mov_b32 s3, 0x3f811111
	v_mul_f64 v[26:27], v[8:9], 0.5
	v_mul_f64 v[28:29], v[4:5], -v[11:12]
	v_fma_f64 v[18:19], v[11:12], v[18:19], s[14:15]
	v_add_f64 v[30:31], -v[24:25], 1.0
	v_fma_f64 v[20:21], v[11:12], v[20:21], s[2:3]
	s_mov_b32 s2, 0x16c16967
	s_mov_b32 s3, 0xbf56c16c
	v_fma_f64 v[18:19], v[11:12], v[18:19], s[2:3]
	v_add_f64 v[22:23], v[30:31], -v[22:23]
	s_mov_b32 s3, 0x3fa55555
	s_mov_b32 s2, 0x55555555
	v_fma_f64 v[20:21], v[28:29], v[20:21], v[26:27]
	v_mul_f64 v[26:27], v[11:12], v[11:12]
	v_fma_f64 v[18:19], v[11:12], v[18:19], s[2:3]
	v_fma_f64 v[22:23], v[4:5], -v[8:9], v[22:23]
	s_mov_b32 s3, 0xbfc55555
	v_fma_f64 v[8:9], v[11:12], v[20:21], -v[8:9]
	v_fma_f64 v[11:12], v[26:27], v[18:19], v[22:23]
	v_fma_f64 v[8:9], v[28:29], s[2:3], v[8:9]
	s_movk_i32 s2, 0x1f8
	v_cmp_class_f64_e64 s[2:3], v[16:17], s2
	v_add_f64 v[11:12], v[24:25], v[11:12]
	v_add_f64 v[4:5], v[4:5], -v[8:9]
	v_and_b32_e32 v8, 1, v10
	v_cmp_eq_u32_e32 vcc, 0, v8
	v_lshlrev_b32_e32 v8, 30, v10
	v_xor_b32_e32 v8, v8, v17
	v_and_b32_e32 v8, 0x80000000, v8
	v_mov_b32_e32 v9, 0x7ff80000
	v_cndmask_b32_e32 v5, v12, v5, vcc
	v_cndmask_b32_e32 v4, v11, v4, vcc
	v_xor_b32_e32 v5, v5, v8
	v_cndmask_b32_e64 v4, 0, v4, s[2:3]
	v_cndmask_b32_e64 v5, v9, v5, s[2:3]
	v_div_scale_f64 v[8:9], s[2:3], v[16:17], v[16:17], v[4:5]
	v_div_scale_f64 v[18:19], vcc, v[4:5], v[16:17], v[4:5]
	v_rcp_f64_e32 v[10:11], v[8:9]
	v_fma_f64 v[12:13], -v[8:9], v[10:11], 1.0
	v_fma_f64 v[10:11], v[10:11], v[12:13], v[10:11]
	v_fma_f64 v[12:13], -v[8:9], v[10:11], 1.0
	v_fma_f64 v[10:11], v[10:11], v[12:13], v[10:11]
	v_mul_f64 v[12:13], v[18:19], v[10:11]
	v_fma_f64 v[8:9], -v[8:9], v[12:13], v[18:19]
	v_div_fmas_f64 v[8:9], v[8:9], v[10:11], v[12:13]
	v_div_fixup_f64 v[4:5], v[8:9], v[16:17], v[4:5]
                                        ; implicit-def: $vgpr16_vgpr17
.LBB0_59:
	s_andn2_saveexec_b64 s[2:3], s[12:13]
	s_cbranch_execz .LBB0_61
; %bb.60:
	v_mul_f64 v[4:5], v[16:17], v[16:17]
	s_mov_b32 s12, 0x13a86d09
	v_mov_b32_e32 v8, 0x67f544e4
	v_mov_b32_e32 v9, 0xbe5ae645
	s_mov_b32 s13, 0x3de61246
	v_fma_f64 v[8:9], v[4:5], s[12:13], v[8:9]
	s_mov_b32 s12, 0xa556c734
	s_mov_b32 s13, 0x3ec71de3
	v_fma_f64 v[8:9], v[4:5], v[8:9], s[12:13]
	s_mov_b32 s12, 0x1a01a01a
	;; [unrolled: 3-line block ×4, first 2 shown]
	s_mov_b32 s13, 0xbfc55555
	v_fma_f64 v[8:9], v[4:5], v[8:9], s[12:13]
	v_fma_f64 v[4:5], v[4:5], v[8:9], 1.0
.LBB0_61:
	s_or_b64 exec, exec, s[2:3]
.LBB0_62:
	s_or_b64 exec, exec, s[10:11]
	v_mov_b32_e32 v12, 0
	v_mov_b32_e32 v13, v12
	;; [unrolled: 1-line block ×6, first 2 shown]
.LBB0_63:
	s_or_b64 exec, exec, s[6:7]
	v_or_b32_e32 v18, 0x100, v0
	v_cmp_gt_i32_e32 vcc, s18, v18
	s_and_saveexec_b64 s[6:7], vcc
	s_cbranch_execz .LBB0_75
; %bb.64:
	s_mov_b32 s2, 0
	s_mov_b32 s3, 0x7ff00000
	s_waitcnt vmcnt(0)
	v_cmp_neq_f64_e64 s[2:3], |v[14:15]|, s[2:3]
	v_mov_b32_e32 v12, 0
	v_mov_b32_e32 v13, 0
	s_and_saveexec_b64 s[10:11], s[2:3]
	s_cbranch_execz .LBB0_74
; %bb.65:
	v_cmp_nlt_f64_e64 s[2:3], |v[14:15]|, 0.5
	s_and_saveexec_b64 s[12:13], s[2:3]
	s_xor_b64 s[12:13], exec, s[12:13]
                                        ; implicit-def: $vgpr12_vgpr13
	s_cbranch_execz .LBB0_71
; %bb.66:
	s_mov_b32 s2, 0
	s_mov_b32 s3, 0x41d00000
	v_cmp_nlt_f64_e64 s[2:3], |v[14:15]|, s[2:3]
                                        ; implicit-def: $vgpr19
                                        ; implicit-def: $vgpr12_vgpr13
                                        ; implicit-def: $vgpr16_vgpr17
	s_and_saveexec_b64 s[14:15], s[2:3]
	s_xor_b64 s[2:3], exec, s[14:15]
	s_cbranch_execz .LBB0_68
; %bb.67:
	v_trig_preop_f64 v[12:13], |v[14:15]|, 0
	s_mov_b32 s14, 0
	s_mov_b32 s15, 0x7b000000
	s_movk_i32 s5, 0xff80
	v_ldexp_f64 v[19:20], |v[14:15]|, s5
	v_cmp_ge_f64_e64 vcc, |v[14:15]|, s[14:15]
	v_trig_preop_f64 v[16:17], |v[14:15]|, 1
	v_and_b32_e32 v21, 0x7fffffff, v15
	v_trig_preop_f64 v[27:28], |v[14:15]|, 2
	s_mov_b32 s14, 0
	s_mov_b32 s15, 0x7ff00000
	v_mov_b32_e32 v38, 0x40100000
	v_mov_b32_e32 v37, 0
	v_cndmask_b32_e32 v20, v21, v20, vcc
	v_cndmask_b32_e32 v19, v14, v19, vcc
	s_mov_b32 s16, 0x33145c07
	v_mul_f64 v[21:22], v[12:13], v[19:20]
	s_mov_b32 s17, 0x3c91a626
	v_mul_f64 v[23:24], v[16:17], v[19:20]
	v_mul_f64 v[33:34], v[27:28], v[19:20]
	v_fma_f64 v[12:13], v[12:13], v[19:20], -v[21:22]
	v_fma_f64 v[16:17], v[16:17], v[19:20], -v[23:24]
	v_fma_f64 v[19:20], v[27:28], v[19:20], -v[33:34]
	v_add_f64 v[25:26], v[23:24], v[12:13]
	v_add_f64 v[29:30], v[25:26], -v[23:24]
	v_add_f64 v[35:36], v[21:22], v[25:26]
	v_add_f64 v[31:32], v[25:26], -v[29:30]
	v_add_f64 v[12:13], v[12:13], -v[29:30]
	v_add_f64 v[29:30], v[33:34], v[16:17]
	v_add_f64 v[21:22], v[35:36], -v[21:22]
	v_add_f64 v[23:24], v[23:24], -v[31:32]
	v_ldexp_f64 v[31:32], v[35:36], -2
	v_add_f64 v[39:40], v[29:30], -v[33:34]
	v_add_f64 v[21:22], v[25:26], -v[21:22]
	v_add_f64 v[12:13], v[12:13], v[23:24]
	v_fract_f64_e32 v[23:24], v[31:32]
	v_cmp_neq_f64_e64 vcc, |v[31:32]|, s[14:15]
	v_add_f64 v[16:17], v[16:17], -v[39:40]
	s_mov_b32 s14, 0x54442d18
	s_mov_b32 s15, 0x3ff921fb
	v_add_f64 v[25:26], v[29:30], v[12:13]
	v_ldexp_f64 v[23:24], v[23:24], 2
	v_add_f64 v[31:32], v[21:22], v[25:26]
	v_cndmask_b32_e32 v24, 0, v24, vcc
	v_cndmask_b32_e32 v23, 0, v23, vcc
	v_add_f64 v[41:42], v[25:26], -v[29:30]
	v_add_f64 v[35:36], v[31:32], v[23:24]
	v_add_f64 v[21:22], v[31:32], -v[21:22]
	v_add_f64 v[43:44], v[25:26], -v[41:42]
	v_add_f64 v[12:13], v[12:13], -v[41:42]
	v_cmp_gt_f64_e32 vcc, 0, v[35:36]
	v_add_f64 v[35:36], v[29:30], -v[39:40]
	v_add_f64 v[21:22], v[25:26], -v[21:22]
	;; [unrolled: 1-line block ×3, first 2 shown]
	v_cndmask_b32_e32 v38, 0, v38, vcc
	v_add_f64 v[23:24], v[23:24], v[37:38]
	v_add_f64 v[35:36], v[33:34], -v[35:36]
	v_add_f64 v[12:13], v[12:13], v[29:30]
	v_add_f64 v[45:46], v[31:32], v[23:24]
	;; [unrolled: 1-line block ×3, first 2 shown]
	v_cvt_i32_f64_e32 v40, v[45:46]
	v_add_f64 v[12:13], v[16:17], v[12:13]
	v_cvt_f64_i32_e32 v[38:39], v40
	v_add_f64 v[23:24], v[23:24], -v[38:39]
	v_add_f64 v[12:13], v[19:20], v[12:13]
	v_add_f64 v[16:17], v[31:32], v[23:24]
	;; [unrolled: 1-line block ×3, first 2 shown]
	v_mov_b32_e32 v21, 0x3ff00000
	v_add_f64 v[19:20], v[16:17], -v[23:24]
	v_cmp_le_f64_e32 vcc, 0.5, v[16:17]
	v_add_f64 v[19:20], v[31:32], -v[19:20]
	v_cndmask_b32_e32 v38, 0, v21, vcc
	v_add_f64 v[16:17], v[16:17], -v[37:38]
	v_add_f64 v[12:13], v[12:13], v[19:20]
	v_add_f64 v[19:20], v[16:17], v[12:13]
	v_mul_f64 v[21:22], v[19:20], s[14:15]
	v_add_f64 v[16:17], v[19:20], -v[16:17]
	v_fma_f64 v[23:24], v[19:20], s[14:15], -v[21:22]
	v_add_f64 v[12:13], v[12:13], -v[16:17]
	v_fma_f64 v[16:17], v[19:20], s[16:17], v[23:24]
	v_fma_f64 v[16:17], v[12:13], s[14:15], v[16:17]
	v_add_f64 v[12:13], v[21:22], v[16:17]
	v_add_f64 v[19:20], v[12:13], -v[21:22]
	v_add_f64 v[16:17], v[16:17], -v[19:20]
	v_addc_co_u32_e32 v19, vcc, 0, v40, vcc
.LBB0_68:
	s_andn2_saveexec_b64 s[2:3], s[2:3]
	s_cbranch_execz .LBB0_70
; %bb.69:
	s_mov_b32 s14, 0x6dc9c883
	s_mov_b32 s15, 0x3fe45f30
	v_mul_f64 v[12:13], |v[14:15]|, s[14:15]
	s_mov_b32 s14, 0x54442d18
	s_mov_b32 s15, 0xbff921fb
	;; [unrolled: 1-line block ×4, first 2 shown]
	v_rndne_f64_e32 v[19:20], v[12:13]
	v_fma_f64 v[12:13], v[19:20], s[14:15], |v[14:15]|
	v_mul_f64 v[16:17], v[19:20], s[16:17]
	s_mov_b32 s14, 0x252049c0
	s_mov_b32 s15, 0xb97b839a
	v_fma_f64 v[25:26], v[19:20], s[16:17], v[12:13]
	v_add_f64 v[21:22], v[12:13], v[16:17]
	s_mov_b32 s17, 0x3c91a626
	v_add_f64 v[23:24], v[12:13], -v[21:22]
	v_add_f64 v[21:22], v[21:22], -v[25:26]
	v_add_f64 v[12:13], v[23:24], v[16:17]
	v_fma_f64 v[16:17], v[19:20], s[16:17], v[16:17]
	v_add_f64 v[12:13], v[21:22], v[12:13]
	v_add_f64 v[12:13], v[12:13], -v[16:17]
	v_fma_f64 v[16:17], v[19:20], s[14:15], v[12:13]
	v_cvt_i32_f64_e32 v19, v[19:20]
	v_add_f64 v[12:13], v[25:26], v[16:17]
	v_add_f64 v[21:22], v[12:13], -v[25:26]
	v_add_f64 v[16:17], v[16:17], -v[21:22]
.LBB0_70:
	s_or_b64 exec, exec, s[2:3]
	v_mul_f64 v[20:21], v[12:13], v[12:13]
	s_mov_b32 s2, 0xf9a43bb8
	v_mov_b32_e32 v23, 0xb42fdfa7
	v_mov_b32_e32 v24, 0xbe5ae600
	s_mov_b32 s3, 0x3de5e0b2
	s_mov_b32 s14, 0x796cde01
	v_mov_b32_e32 v22, 0x9037ab78
	s_mov_b32 s15, 0x3ec71de3
	v_fma_f64 v[24:25], v[20:21], s[2:3], v[23:24]
	s_mov_b32 s2, 0x46cc5e42
	v_mov_b32_e32 v23, 0x3e21eeb6
	s_mov_b32 s3, 0xbda907db
	v_fma_f64 v[22:23], v[20:21], s[2:3], v[22:23]
	v_mul_f64 v[26:27], v[20:21], 0.5
	s_mov_b32 s2, 0xa17f65f6
	s_mov_b32 s16, 0x19e83e5c
	v_fma_f64 v[24:25], v[20:21], v[24:25], s[14:15]
	s_mov_b32 s3, 0xbe927e4f
	s_mov_b32 s17, 0xbf2a01a0
	s_mov_b32 s14, 0x19f4ec90
	v_fma_f64 v[22:23], v[20:21], v[22:23], s[2:3]
	v_add_f64 v[28:29], -v[26:27], 1.0
	s_mov_b32 s2, 0x11110bb3
	s_mov_b32 s15, 0x3efa01a0
	v_fma_f64 v[24:25], v[20:21], v[24:25], s[16:17]
	s_mov_b32 s3, 0x3f811111
	v_mul_f64 v[30:31], v[16:17], 0.5
	v_mul_f64 v[32:33], v[12:13], -v[20:21]
	v_fma_f64 v[22:23], v[20:21], v[22:23], s[14:15]
	v_add_f64 v[34:35], -v[28:29], 1.0
	v_fma_f64 v[24:25], v[20:21], v[24:25], s[2:3]
	s_mov_b32 s2, 0x16c16967
	s_mov_b32 s3, 0xbf56c16c
	v_fma_f64 v[22:23], v[20:21], v[22:23], s[2:3]
	v_add_f64 v[26:27], v[34:35], -v[26:27]
	s_mov_b32 s3, 0x3fa55555
	s_mov_b32 s2, 0x55555555
	v_fma_f64 v[24:25], v[32:33], v[24:25], v[30:31]
	v_mul_f64 v[30:31], v[20:21], v[20:21]
	v_fma_f64 v[22:23], v[20:21], v[22:23], s[2:3]
	v_fma_f64 v[26:27], v[12:13], -v[16:17], v[26:27]
	s_mov_b32 s3, 0xbfc55555
	v_fma_f64 v[16:17], v[20:21], v[24:25], -v[16:17]
	v_fma_f64 v[20:21], v[30:31], v[22:23], v[26:27]
	v_fma_f64 v[16:17], v[32:33], s[2:3], v[16:17]
	s_movk_i32 s2, 0x1f8
	v_cmp_class_f64_e64 s[2:3], v[14:15], s2
	v_add_f64 v[20:21], v[28:29], v[20:21]
	v_add_f64 v[12:13], v[12:13], -v[16:17]
	v_and_b32_e32 v16, 1, v19
	v_cmp_eq_u32_e32 vcc, 0, v16
	v_lshlrev_b32_e32 v16, 30, v19
	v_xor_b32_e32 v16, v16, v15
	v_and_b32_e32 v16, 0x80000000, v16
	v_mov_b32_e32 v17, 0x7ff80000
	v_cndmask_b32_e32 v13, v21, v13, vcc
	v_cndmask_b32_e32 v12, v20, v12, vcc
	v_xor_b32_e32 v13, v13, v16
	v_cndmask_b32_e64 v12, 0, v12, s[2:3]
	v_cndmask_b32_e64 v13, v17, v13, s[2:3]
	v_div_scale_f64 v[16:17], s[2:3], v[14:15], v[14:15], v[12:13]
	v_div_scale_f64 v[23:24], vcc, v[12:13], v[14:15], v[12:13]
	v_rcp_f64_e32 v[19:20], v[16:17]
	v_fma_f64 v[21:22], -v[16:17], v[19:20], 1.0
	v_fma_f64 v[19:20], v[19:20], v[21:22], v[19:20]
	v_fma_f64 v[21:22], -v[16:17], v[19:20], 1.0
	v_fma_f64 v[19:20], v[19:20], v[21:22], v[19:20]
	v_mul_f64 v[21:22], v[23:24], v[19:20]
	v_fma_f64 v[16:17], -v[16:17], v[21:22], v[23:24]
	v_div_fmas_f64 v[16:17], v[16:17], v[19:20], v[21:22]
	v_div_fixup_f64 v[12:13], v[16:17], v[14:15], v[12:13]
                                        ; implicit-def: $vgpr14_vgpr15
.LBB0_71:
	s_andn2_saveexec_b64 s[2:3], s[12:13]
	s_cbranch_execz .LBB0_73
; %bb.72:
	v_mul_f64 v[12:13], v[14:15], v[14:15]
	s_mov_b32 s12, 0x13a86d09
	v_mov_b32_e32 v14, 0x67f544e4
	v_mov_b32_e32 v15, 0xbe5ae645
	s_mov_b32 s13, 0x3de61246
	v_fma_f64 v[14:15], v[12:13], s[12:13], v[14:15]
	s_mov_b32 s12, 0xa556c734
	s_mov_b32 s13, 0x3ec71de3
	v_fma_f64 v[14:15], v[12:13], v[14:15], s[12:13]
	s_mov_b32 s12, 0x1a01a01a
	;; [unrolled: 3-line block ×4, first 2 shown]
	s_mov_b32 s13, 0xbfc55555
	v_fma_f64 v[14:15], v[12:13], v[14:15], s[12:13]
	v_fma_f64 v[12:13], v[12:13], v[14:15], 1.0
.LBB0_73:
	s_or_b64 exec, exec, s[2:3]
.LBB0_74:
	s_or_b64 exec, exec, s[10:11]
.LBB0_75:
	s_or_b64 exec, exec, s[6:7]
	s_waitcnt vmcnt(0)
	v_or_b32_e32 v14, 0x200, v0
	v_cmp_gt_i32_e32 vcc, s18, v14
	s_and_saveexec_b64 s[6:7], vcc
	s_cbranch_execz .LBB0_87
; %bb.76:
	s_mov_b32 s2, 0
	s_mov_b32 s3, 0x7ff00000
	v_cmp_neq_f64_e64 s[2:3], |v[6:7]|, s[2:3]
	v_mov_b32_e32 v10, 0
	v_mov_b32_e32 v11, 0
	s_and_saveexec_b64 s[10:11], s[2:3]
	s_cbranch_execz .LBB0_86
; %bb.77:
	v_cmp_nlt_f64_e64 s[2:3], |v[6:7]|, 0.5
	s_and_saveexec_b64 s[12:13], s[2:3]
	s_xor_b64 s[12:13], exec, s[12:13]
                                        ; implicit-def: $vgpr10_vgpr11
	s_cbranch_execz .LBB0_83
; %bb.78:
	s_mov_b32 s2, 0
	s_mov_b32 s3, 0x41d00000
	v_cmp_nlt_f64_e64 s[2:3], |v[6:7]|, s[2:3]
                                        ; implicit-def: $vgpr16
                                        ; implicit-def: $vgpr10_vgpr11
                                        ; implicit-def: $vgpr14_vgpr15
	s_and_saveexec_b64 s[14:15], s[2:3]
	s_xor_b64 s[14:15], exec, s[14:15]
	s_cbranch_execz .LBB0_80
; %bb.79:
	v_trig_preop_f64 v[10:11], |v[6:7]|, 0
	s_mov_b32 s2, 0
	s_mov_b32 s3, 0x7b000000
	s_movk_i32 s5, 0xff80
	v_ldexp_f64 v[16:17], |v[6:7]|, s5
	v_cmp_ge_f64_e64 vcc, |v[6:7]|, s[2:3]
	v_trig_preop_f64 v[14:15], |v[6:7]|, 1
	v_and_b32_e32 v19, 0x7fffffff, v7
	v_trig_preop_f64 v[25:26], |v[6:7]|, 2
	s_mov_b32 s2, 0
	s_mov_b32 s3, 0x7ff00000
	v_mov_b32_e32 v36, 0x40100000
	v_mov_b32_e32 v35, 0
	v_cndmask_b32_e32 v17, v19, v17, vcc
	v_cndmask_b32_e32 v16, v6, v16, vcc
	s_mov_b32 s16, 0x33145c07
	v_mul_f64 v[19:20], v[10:11], v[16:17]
	s_mov_b32 s17, 0x3c91a626
	v_mul_f64 v[21:22], v[14:15], v[16:17]
	v_mul_f64 v[31:32], v[25:26], v[16:17]
	v_fma_f64 v[10:11], v[10:11], v[16:17], -v[19:20]
	v_fma_f64 v[14:15], v[14:15], v[16:17], -v[21:22]
	;; [unrolled: 1-line block ×3, first 2 shown]
	v_add_f64 v[23:24], v[21:22], v[10:11]
	v_add_f64 v[27:28], v[23:24], -v[21:22]
	v_add_f64 v[33:34], v[19:20], v[23:24]
	v_add_f64 v[29:30], v[23:24], -v[27:28]
	v_add_f64 v[10:11], v[10:11], -v[27:28]
	v_add_f64 v[27:28], v[31:32], v[14:15]
	v_add_f64 v[19:20], v[33:34], -v[19:20]
	v_add_f64 v[21:22], v[21:22], -v[29:30]
	v_ldexp_f64 v[29:30], v[33:34], -2
	v_add_f64 v[37:38], v[27:28], -v[31:32]
	v_add_f64 v[19:20], v[23:24], -v[19:20]
	v_add_f64 v[10:11], v[10:11], v[21:22]
	v_fract_f64_e32 v[21:22], v[29:30]
	v_cmp_neq_f64_e64 vcc, |v[29:30]|, s[2:3]
	v_add_f64 v[14:15], v[14:15], -v[37:38]
	v_add_f64 v[23:24], v[27:28], v[10:11]
	v_ldexp_f64 v[21:22], v[21:22], 2
	v_add_f64 v[29:30], v[19:20], v[23:24]
	v_cndmask_b32_e32 v22, 0, v22, vcc
	v_cndmask_b32_e32 v21, 0, v21, vcc
	v_add_f64 v[39:40], v[23:24], -v[27:28]
	v_add_f64 v[33:34], v[29:30], v[21:22]
	v_add_f64 v[19:20], v[29:30], -v[19:20]
	v_add_f64 v[41:42], v[23:24], -v[39:40]
	;; [unrolled: 1-line block ×3, first 2 shown]
	v_cmp_gt_f64_e32 vcc, 0, v[33:34]
	v_add_f64 v[33:34], v[27:28], -v[37:38]
	v_add_f64 v[19:20], v[23:24], -v[19:20]
	;; [unrolled: 1-line block ×3, first 2 shown]
	v_cndmask_b32_e32 v36, 0, v36, vcc
	v_add_f64 v[21:22], v[21:22], v[35:36]
	v_add_f64 v[33:34], v[31:32], -v[33:34]
	v_add_f64 v[10:11], v[10:11], v[27:28]
	v_add_f64 v[43:44], v[29:30], v[21:22]
	;; [unrolled: 1-line block ×3, first 2 shown]
	v_cvt_i32_f64_e32 v38, v[43:44]
	v_add_f64 v[10:11], v[14:15], v[10:11]
	v_cvt_f64_i32_e32 v[36:37], v38
	v_add_f64 v[21:22], v[21:22], -v[36:37]
	v_add_f64 v[10:11], v[16:17], v[10:11]
	v_add_f64 v[14:15], v[29:30], v[21:22]
	;; [unrolled: 1-line block ×3, first 2 shown]
	v_add_f64 v[16:17], v[14:15], -v[21:22]
	v_cmp_le_f64_e32 vcc, 0.5, v[14:15]
	v_add_f64 v[19:20], v[29:30], -v[16:17]
	v_mov_b32_e32 v17, 0x3ff00000
	v_cndmask_b32_e32 v36, 0, v17, vcc
	v_add_f64 v[14:15], v[14:15], -v[35:36]
	v_addc_co_u32_e64 v16, s[2:3], 0, v38, vcc
	s_mov_b32 s2, 0x54442d18
	s_mov_b32 s3, 0x3ff921fb
	v_add_f64 v[10:11], v[10:11], v[19:20]
	v_add_f64 v[19:20], v[14:15], v[10:11]
	v_mul_f64 v[21:22], v[19:20], s[2:3]
	v_add_f64 v[14:15], v[19:20], -v[14:15]
	v_fma_f64 v[23:24], v[19:20], s[2:3], -v[21:22]
	v_add_f64 v[10:11], v[10:11], -v[14:15]
	v_fma_f64 v[14:15], v[19:20], s[16:17], v[23:24]
	v_fma_f64 v[14:15], v[10:11], s[2:3], v[14:15]
	v_add_f64 v[10:11], v[21:22], v[14:15]
	v_add_f64 v[19:20], v[10:11], -v[21:22]
	v_add_f64 v[14:15], v[14:15], -v[19:20]
.LBB0_80:
	s_andn2_saveexec_b64 s[2:3], s[14:15]
	s_cbranch_execz .LBB0_82
; %bb.81:
	s_mov_b32 s14, 0x6dc9c883
	s_mov_b32 s15, 0x3fe45f30
	v_mul_f64 v[10:11], |v[6:7]|, s[14:15]
	s_mov_b32 s14, 0x54442d18
	s_mov_b32 s15, 0xbff921fb
	;; [unrolled: 1-line block ×4, first 2 shown]
	v_rndne_f64_e32 v[16:17], v[10:11]
	v_fma_f64 v[10:11], v[16:17], s[14:15], |v[6:7]|
	v_mul_f64 v[14:15], v[16:17], s[16:17]
	s_mov_b32 s14, 0x252049c0
	s_mov_b32 s15, 0xb97b839a
	v_fma_f64 v[23:24], v[16:17], s[16:17], v[10:11]
	v_add_f64 v[19:20], v[10:11], v[14:15]
	s_mov_b32 s17, 0x3c91a626
	v_add_f64 v[21:22], v[10:11], -v[19:20]
	v_add_f64 v[19:20], v[19:20], -v[23:24]
	v_add_f64 v[10:11], v[21:22], v[14:15]
	v_fma_f64 v[14:15], v[16:17], s[16:17], v[14:15]
	v_add_f64 v[10:11], v[19:20], v[10:11]
	v_add_f64 v[10:11], v[10:11], -v[14:15]
	v_fma_f64 v[14:15], v[16:17], s[14:15], v[10:11]
	v_cvt_i32_f64_e32 v16, v[16:17]
	v_add_f64 v[10:11], v[23:24], v[14:15]
	v_add_f64 v[19:20], v[10:11], -v[23:24]
	v_add_f64 v[14:15], v[14:15], -v[19:20]
.LBB0_82:
	s_or_b64 exec, exec, s[2:3]
	v_mul_f64 v[19:20], v[10:11], v[10:11]
	s_mov_b32 s2, 0xf9a43bb8
	v_mov_b32_e32 v22, 0xb42fdfa7
	v_mov_b32_e32 v23, 0xbe5ae600
	s_mov_b32 s3, 0x3de5e0b2
	s_mov_b32 s14, 0x796cde01
	v_mov_b32_e32 v21, 0x9037ab78
	s_mov_b32 s15, 0x3ec71de3
	v_fma_f64 v[23:24], v[19:20], s[2:3], v[22:23]
	s_mov_b32 s2, 0x46cc5e42
	v_mov_b32_e32 v22, 0x3e21eeb6
	s_mov_b32 s3, 0xbda907db
	v_fma_f64 v[21:22], v[19:20], s[2:3], v[21:22]
	v_mul_f64 v[25:26], v[19:20], 0.5
	s_mov_b32 s2, 0xa17f65f6
	s_mov_b32 s16, 0x19e83e5c
	v_fma_f64 v[23:24], v[19:20], v[23:24], s[14:15]
	s_mov_b32 s3, 0xbe927e4f
	s_mov_b32 s17, 0xbf2a01a0
	;; [unrolled: 1-line block ×3, first 2 shown]
	v_fma_f64 v[21:22], v[19:20], v[21:22], s[2:3]
	v_add_f64 v[27:28], -v[25:26], 1.0
	s_mov_b32 s2, 0x11110bb3
	s_mov_b32 s15, 0x3efa01a0
	v_fma_f64 v[23:24], v[19:20], v[23:24], s[16:17]
	s_mov_b32 s3, 0x3f811111
	v_mul_f64 v[29:30], v[14:15], 0.5
	v_mul_f64 v[31:32], v[10:11], -v[19:20]
	v_fma_f64 v[21:22], v[19:20], v[21:22], s[14:15]
	v_add_f64 v[33:34], -v[27:28], 1.0
	v_fma_f64 v[23:24], v[19:20], v[23:24], s[2:3]
	s_mov_b32 s2, 0x16c16967
	s_mov_b32 s3, 0xbf56c16c
	v_fma_f64 v[21:22], v[19:20], v[21:22], s[2:3]
	v_add_f64 v[25:26], v[33:34], -v[25:26]
	s_mov_b32 s3, 0x3fa55555
	s_mov_b32 s2, 0x55555555
	v_fma_f64 v[23:24], v[31:32], v[23:24], v[29:30]
	v_mul_f64 v[29:30], v[19:20], v[19:20]
	v_fma_f64 v[21:22], v[19:20], v[21:22], s[2:3]
	v_fma_f64 v[25:26], v[10:11], -v[14:15], v[25:26]
	s_mov_b32 s3, 0xbfc55555
	v_fma_f64 v[14:15], v[19:20], v[23:24], -v[14:15]
	v_fma_f64 v[19:20], v[29:30], v[21:22], v[25:26]
	v_fma_f64 v[14:15], v[31:32], s[2:3], v[14:15]
	s_movk_i32 s2, 0x1f8
	v_cmp_class_f64_e64 s[2:3], v[6:7], s2
	v_add_f64 v[19:20], v[27:28], v[19:20]
	v_add_f64 v[10:11], v[10:11], -v[14:15]
	v_and_b32_e32 v14, 1, v16
	v_cmp_eq_u32_e32 vcc, 0, v14
	v_lshlrev_b32_e32 v14, 30, v16
	v_xor_b32_e32 v14, v14, v7
	v_and_b32_e32 v14, 0x80000000, v14
	v_mov_b32_e32 v15, 0x7ff80000
	v_cndmask_b32_e32 v11, v20, v11, vcc
	v_cndmask_b32_e32 v10, v19, v10, vcc
	v_xor_b32_e32 v11, v11, v14
	v_cndmask_b32_e64 v10, 0, v10, s[2:3]
	v_cndmask_b32_e64 v11, v15, v11, s[2:3]
	v_div_scale_f64 v[14:15], s[2:3], v[6:7], v[6:7], v[10:11]
	v_div_scale_f64 v[21:22], vcc, v[10:11], v[6:7], v[10:11]
	v_rcp_f64_e32 v[16:17], v[14:15]
	v_fma_f64 v[19:20], -v[14:15], v[16:17], 1.0
	v_fma_f64 v[16:17], v[16:17], v[19:20], v[16:17]
	v_fma_f64 v[19:20], -v[14:15], v[16:17], 1.0
	v_fma_f64 v[16:17], v[16:17], v[19:20], v[16:17]
	v_mul_f64 v[19:20], v[21:22], v[16:17]
	v_fma_f64 v[14:15], -v[14:15], v[19:20], v[21:22]
	v_div_fmas_f64 v[14:15], v[14:15], v[16:17], v[19:20]
	v_div_fixup_f64 v[10:11], v[14:15], v[6:7], v[10:11]
                                        ; implicit-def: $vgpr6_vgpr7
.LBB0_83:
	s_andn2_saveexec_b64 s[2:3], s[12:13]
	s_cbranch_execz .LBB0_85
; %bb.84:
	v_mul_f64 v[6:7], v[6:7], v[6:7]
	s_mov_b32 s12, 0x13a86d09
	v_mov_b32_e32 v10, 0x67f544e4
	v_mov_b32_e32 v11, 0xbe5ae645
	s_mov_b32 s13, 0x3de61246
	v_fma_f64 v[10:11], v[6:7], s[12:13], v[10:11]
	s_mov_b32 s12, 0xa556c734
	s_mov_b32 s13, 0x3ec71de3
	v_fma_f64 v[10:11], v[6:7], v[10:11], s[12:13]
	s_mov_b32 s12, 0x1a01a01a
	;; [unrolled: 3-line block ×4, first 2 shown]
	s_mov_b32 s13, 0xbfc55555
	v_fma_f64 v[10:11], v[6:7], v[10:11], s[12:13]
	v_fma_f64 v[10:11], v[6:7], v[10:11], 1.0
.LBB0_85:
	s_or_b64 exec, exec, s[2:3]
.LBB0_86:
	s_or_b64 exec, exec, s[10:11]
.LBB0_87:
	s_or_b64 exec, exec, s[6:7]
	v_or_b32_e32 v6, 0x300, v0
	v_cmp_gt_i32_e32 vcc, s18, v6
	s_and_saveexec_b64 s[6:7], vcc
	s_cbranch_execnz .LBB0_94
; %bb.88:
	s_or_b64 exec, exec, s[6:7]
	s_and_saveexec_b64 s[2:3], s[0:1]
	s_xor_b64 s[0:1], exec, s[2:3]
	s_cbranch_execnz .LBB0_105
.LBB0_89:
	s_or_b64 exec, exec, s[0:1]
	v_cmp_gt_i32_e32 vcc, s18, v0
	s_and_saveexec_b64 s[0:1], vcc
	s_cbranch_execnz .LBB0_106
.LBB0_90:
	s_or_b64 exec, exec, s[0:1]
	v_cmp_gt_i32_e32 vcc, s18, v0
	s_and_saveexec_b64 s[0:1], vcc
	s_cbranch_execnz .LBB0_107
.LBB0_91:
	s_or_b64 exec, exec, s[0:1]
	v_cmp_gt_i32_e32 vcc, s18, v0
	s_and_saveexec_b64 s[0:1], vcc
	s_cbranch_execz .LBB0_93
.LBB0_92:
	v_add_u32_e32 v0, s4, v0
	v_mov_b32_e32 v1, 0
	v_lshlrev_b64 v[0:1], 3, v[0:1]
	v_mov_b32_e32 v2, s9
	v_add_co_u32_e32 v0, vcc, s8, v0
	v_addc_co_u32_e32 v1, vcc, v2, v1, vcc
	global_store_dwordx2 v[0:1], v[8:9], off
.LBB0_93:
	s_endpgm
.LBB0_94:
	s_mov_b32 s2, 0
	s_mov_b32 s3, 0x7ff00000
	v_cmp_neq_f64_e64 s[2:3], |v[2:3]|, s[2:3]
	v_mov_b32_e32 v8, 0
	v_mov_b32_e32 v9, 0
	s_and_saveexec_b64 s[10:11], s[2:3]
	s_cbranch_execz .LBB0_104
; %bb.95:
	v_cmp_nlt_f64_e64 s[2:3], |v[2:3]|, 0.5
	s_and_saveexec_b64 s[12:13], s[2:3]
	s_xor_b64 s[12:13], exec, s[12:13]
                                        ; implicit-def: $vgpr8_vgpr9
	s_cbranch_execz .LBB0_101
; %bb.96:
	s_mov_b32 s2, 0
	s_mov_b32 s3, 0x41d00000
	v_cmp_nlt_f64_e64 s[2:3], |v[2:3]|, s[2:3]
                                        ; implicit-def: $vgpr14
                                        ; implicit-def: $vgpr6_vgpr7
                                        ; implicit-def: $vgpr8_vgpr9
	s_and_saveexec_b64 s[14:15], s[2:3]
	s_xor_b64 s[14:15], exec, s[14:15]
	s_cbranch_execz .LBB0_98
; %bb.97:
	v_trig_preop_f64 v[6:7], |v[2:3]|, 0
	s_mov_b32 s2, 0
	s_mov_b32 s3, 0x7b000000
	s_movk_i32 s5, 0xff80
	v_ldexp_f64 v[14:15], |v[2:3]|, s5
	v_cmp_ge_f64_e64 vcc, |v[2:3]|, s[2:3]
	v_trig_preop_f64 v[8:9], |v[2:3]|, 1
	v_and_b32_e32 v16, 0x7fffffff, v3
	v_trig_preop_f64 v[23:24], |v[2:3]|, 2
	s_mov_b32 s2, 0
	s_mov_b32 s3, 0x7ff00000
	v_mov_b32_e32 v34, 0x40100000
	v_mov_b32_e32 v33, 0
	v_cndmask_b32_e32 v15, v16, v15, vcc
	v_cndmask_b32_e32 v14, v2, v14, vcc
	s_mov_b32 s16, 0x33145c07
	v_mul_f64 v[16:17], v[6:7], v[14:15]
	s_mov_b32 s17, 0x3c91a626
	v_mul_f64 v[19:20], v[8:9], v[14:15]
	v_mul_f64 v[29:30], v[23:24], v[14:15]
	v_fma_f64 v[6:7], v[6:7], v[14:15], -v[16:17]
	v_fma_f64 v[8:9], v[8:9], v[14:15], -v[19:20]
	;; [unrolled: 1-line block ×3, first 2 shown]
	v_add_f64 v[21:22], v[19:20], v[6:7]
	v_add_f64 v[25:26], v[21:22], -v[19:20]
	v_add_f64 v[31:32], v[16:17], v[21:22]
	v_add_f64 v[27:28], v[21:22], -v[25:26]
	v_add_f64 v[6:7], v[6:7], -v[25:26]
	v_add_f64 v[25:26], v[29:30], v[8:9]
	v_add_f64 v[16:17], v[31:32], -v[16:17]
	v_add_f64 v[19:20], v[19:20], -v[27:28]
	v_ldexp_f64 v[27:28], v[31:32], -2
	v_add_f64 v[35:36], v[25:26], -v[29:30]
	v_add_f64 v[16:17], v[21:22], -v[16:17]
	v_add_f64 v[6:7], v[6:7], v[19:20]
	v_fract_f64_e32 v[19:20], v[27:28]
	v_cmp_neq_f64_e64 vcc, |v[27:28]|, s[2:3]
	v_add_f64 v[8:9], v[8:9], -v[35:36]
	v_add_f64 v[21:22], v[25:26], v[6:7]
	v_ldexp_f64 v[19:20], v[19:20], 2
	v_add_f64 v[27:28], v[16:17], v[21:22]
	v_cndmask_b32_e32 v20, 0, v20, vcc
	v_cndmask_b32_e32 v19, 0, v19, vcc
	v_add_f64 v[37:38], v[21:22], -v[25:26]
	v_add_f64 v[31:32], v[27:28], v[19:20]
	v_add_f64 v[16:17], v[27:28], -v[16:17]
	v_add_f64 v[39:40], v[21:22], -v[37:38]
	;; [unrolled: 1-line block ×3, first 2 shown]
	v_cmp_gt_f64_e32 vcc, 0, v[31:32]
	v_add_f64 v[31:32], v[25:26], -v[35:36]
	v_add_f64 v[16:17], v[21:22], -v[16:17]
	;; [unrolled: 1-line block ×3, first 2 shown]
	v_cndmask_b32_e32 v34, 0, v34, vcc
	v_add_f64 v[19:20], v[19:20], v[33:34]
	v_add_f64 v[31:32], v[29:30], -v[31:32]
	v_add_f64 v[6:7], v[6:7], v[25:26]
	v_add_f64 v[41:42], v[27:28], v[19:20]
	;; [unrolled: 1-line block ×3, first 2 shown]
	v_cvt_i32_f64_e32 v36, v[41:42]
	v_add_f64 v[6:7], v[8:9], v[6:7]
	v_cvt_f64_i32_e32 v[34:35], v36
	v_add_f64 v[19:20], v[19:20], -v[34:35]
	v_add_f64 v[6:7], v[14:15], v[6:7]
	v_add_f64 v[8:9], v[27:28], v[19:20]
	;; [unrolled: 1-line block ×3, first 2 shown]
	v_mov_b32_e32 v17, 0x3ff00000
	v_add_f64 v[14:15], v[8:9], -v[19:20]
	v_cmp_le_f64_e32 vcc, 0.5, v[8:9]
	v_add_f64 v[15:16], v[27:28], -v[14:15]
	v_cndmask_b32_e32 v34, 0, v17, vcc
	v_add_f64 v[8:9], v[8:9], -v[33:34]
	v_addc_co_u32_e64 v14, s[2:3], 0, v36, vcc
	s_mov_b32 s2, 0x54442d18
	s_mov_b32 s3, 0x3ff921fb
	v_add_f64 v[6:7], v[6:7], v[15:16]
	v_add_f64 v[15:16], v[8:9], v[6:7]
	v_mul_f64 v[19:20], v[15:16], s[2:3]
	v_add_f64 v[8:9], v[15:16], -v[8:9]
	v_fma_f64 v[21:22], v[15:16], s[2:3], -v[19:20]
	v_add_f64 v[6:7], v[6:7], -v[8:9]
	v_fma_f64 v[8:9], v[15:16], s[16:17], v[21:22]
	v_fma_f64 v[8:9], v[6:7], s[2:3], v[8:9]
	v_add_f64 v[6:7], v[19:20], v[8:9]
	v_add_f64 v[15:16], v[6:7], -v[19:20]
	v_add_f64 v[8:9], v[8:9], -v[15:16]
.LBB0_98:
	s_andn2_saveexec_b64 s[2:3], s[14:15]
	s_cbranch_execz .LBB0_100
; %bb.99:
	s_mov_b32 s14, 0x6dc9c883
	s_mov_b32 s15, 0x3fe45f30
	v_mul_f64 v[6:7], |v[2:3]|, s[14:15]
	s_mov_b32 s14, 0x54442d18
	s_mov_b32 s15, 0xbff921fb
	;; [unrolled: 1-line block ×4, first 2 shown]
	v_rndne_f64_e32 v[14:15], v[6:7]
	v_fma_f64 v[6:7], v[14:15], s[14:15], |v[2:3]|
	v_mul_f64 v[8:9], v[14:15], s[16:17]
	s_mov_b32 s14, 0x252049c0
	s_mov_b32 s15, 0xb97b839a
	v_fma_f64 v[21:22], v[14:15], s[16:17], v[6:7]
	v_add_f64 v[16:17], v[6:7], v[8:9]
	s_mov_b32 s17, 0x3c91a626
	v_add_f64 v[19:20], v[6:7], -v[16:17]
	v_add_f64 v[16:17], v[16:17], -v[21:22]
	v_add_f64 v[6:7], v[19:20], v[8:9]
	v_fma_f64 v[8:9], v[14:15], s[16:17], v[8:9]
	v_add_f64 v[6:7], v[16:17], v[6:7]
	v_add_f64 v[6:7], v[6:7], -v[8:9]
	v_fma_f64 v[8:9], v[14:15], s[14:15], v[6:7]
	v_cvt_i32_f64_e32 v14, v[14:15]
	v_add_f64 v[6:7], v[21:22], v[8:9]
	v_add_f64 v[16:17], v[6:7], -v[21:22]
	v_add_f64 v[8:9], v[8:9], -v[16:17]
.LBB0_100:
	s_or_b64 exec, exec, s[2:3]
	v_mul_f64 v[15:16], v[6:7], v[6:7]
	s_mov_b32 s2, 0xf9a43bb8
	v_mov_b32_e32 v20, 0xb42fdfa7
	v_mov_b32_e32 v21, 0xbe5ae600
	s_mov_b32 s3, 0x3de5e0b2
	s_mov_b32 s14, 0x796cde01
	v_mov_b32_e32 v19, 0x9037ab78
	s_mov_b32 s15, 0x3ec71de3
	v_fma_f64 v[21:22], v[15:16], s[2:3], v[20:21]
	s_mov_b32 s2, 0x46cc5e42
	v_mov_b32_e32 v20, 0x3e21eeb6
	s_mov_b32 s3, 0xbda907db
	v_fma_f64 v[19:20], v[15:16], s[2:3], v[19:20]
	v_mul_f64 v[23:24], v[15:16], 0.5
	s_mov_b32 s2, 0xa17f65f6
	s_mov_b32 s16, 0x19e83e5c
	v_fma_f64 v[21:22], v[15:16], v[21:22], s[14:15]
	s_mov_b32 s3, 0xbe927e4f
	s_mov_b32 s17, 0xbf2a01a0
	;; [unrolled: 1-line block ×3, first 2 shown]
	v_fma_f64 v[19:20], v[15:16], v[19:20], s[2:3]
	v_add_f64 v[25:26], -v[23:24], 1.0
	s_mov_b32 s2, 0x11110bb3
	s_mov_b32 s15, 0x3efa01a0
	v_fma_f64 v[21:22], v[15:16], v[21:22], s[16:17]
	s_mov_b32 s3, 0x3f811111
	v_mul_f64 v[27:28], v[8:9], 0.5
	v_mul_f64 v[29:30], v[6:7], -v[15:16]
	v_fma_f64 v[19:20], v[15:16], v[19:20], s[14:15]
	v_add_f64 v[31:32], -v[25:26], 1.0
	v_fma_f64 v[21:22], v[15:16], v[21:22], s[2:3]
	s_mov_b32 s2, 0x16c16967
	s_mov_b32 s3, 0xbf56c16c
	v_fma_f64 v[19:20], v[15:16], v[19:20], s[2:3]
	v_add_f64 v[23:24], v[31:32], -v[23:24]
	s_mov_b32 s3, 0x3fa55555
	s_mov_b32 s2, 0x55555555
	v_fma_f64 v[21:22], v[29:30], v[21:22], v[27:28]
	v_mul_f64 v[27:28], v[15:16], v[15:16]
	v_fma_f64 v[19:20], v[15:16], v[19:20], s[2:3]
	v_fma_f64 v[23:24], v[6:7], -v[8:9], v[23:24]
	s_mov_b32 s3, 0xbfc55555
	v_fma_f64 v[8:9], v[15:16], v[21:22], -v[8:9]
	v_fma_f64 v[15:16], v[27:28], v[19:20], v[23:24]
	v_fma_f64 v[8:9], v[29:30], s[2:3], v[8:9]
	s_movk_i32 s2, 0x1f8
	v_cmp_class_f64_e64 s[2:3], v[2:3], s2
	v_add_f64 v[15:16], v[25:26], v[15:16]
	v_add_f64 v[6:7], v[6:7], -v[8:9]
	v_and_b32_e32 v8, 1, v14
	v_cmp_eq_u32_e32 vcc, 0, v8
	v_lshlrev_b32_e32 v8, 30, v14
	v_xor_b32_e32 v8, v8, v3
	v_and_b32_e32 v8, 0x80000000, v8
	v_mov_b32_e32 v9, 0x7ff80000
	v_cndmask_b32_e32 v7, v16, v7, vcc
	v_cndmask_b32_e32 v6, v15, v6, vcc
	v_xor_b32_e32 v7, v7, v8
	v_cndmask_b32_e64 v6, 0, v6, s[2:3]
	v_cndmask_b32_e64 v7, v9, v7, s[2:3]
	v_div_scale_f64 v[8:9], s[2:3], v[2:3], v[2:3], v[6:7]
	v_div_scale_f64 v[19:20], vcc, v[6:7], v[2:3], v[6:7]
	v_rcp_f64_e32 v[14:15], v[8:9]
	v_fma_f64 v[16:17], -v[8:9], v[14:15], 1.0
	v_fma_f64 v[14:15], v[14:15], v[16:17], v[14:15]
	v_fma_f64 v[16:17], -v[8:9], v[14:15], 1.0
	v_fma_f64 v[14:15], v[14:15], v[16:17], v[14:15]
	v_mul_f64 v[16:17], v[19:20], v[14:15]
	v_fma_f64 v[8:9], -v[8:9], v[16:17], v[19:20]
	v_div_fmas_f64 v[8:9], v[8:9], v[14:15], v[16:17]
	v_div_fixup_f64 v[8:9], v[8:9], v[2:3], v[6:7]
                                        ; implicit-def: $vgpr2_vgpr3
.LBB0_101:
	s_andn2_saveexec_b64 s[2:3], s[12:13]
	s_cbranch_execz .LBB0_103
; %bb.102:
	v_mul_f64 v[2:3], v[2:3], v[2:3]
	s_mov_b32 s12, 0x13a86d09
	v_mov_b32_e32 v6, 0x67f544e4
	v_mov_b32_e32 v7, 0xbe5ae645
	s_mov_b32 s13, 0x3de61246
	v_fma_f64 v[6:7], v[2:3], s[12:13], v[6:7]
	s_mov_b32 s12, 0xa556c734
	s_mov_b32 s13, 0x3ec71de3
	v_fma_f64 v[6:7], v[2:3], v[6:7], s[12:13]
	s_mov_b32 s12, 0x1a01a01a
	;; [unrolled: 3-line block ×4, first 2 shown]
	s_mov_b32 s13, 0xbfc55555
	v_fma_f64 v[6:7], v[2:3], v[6:7], s[12:13]
	v_fma_f64 v[8:9], v[2:3], v[6:7], 1.0
.LBB0_103:
	s_or_b64 exec, exec, s[2:3]
.LBB0_104:
	s_or_b64 exec, exec, s[10:11]
	s_or_b64 exec, exec, s[6:7]
	s_and_saveexec_b64 s[2:3], s[0:1]
	s_xor_b64 s[0:1], exec, s[2:3]
	s_cbranch_execz .LBB0_89
.LBB0_105:
	v_mov_b32_e32 v2, 0
	v_lshlrev_b64 v[0:1], 3, v[1:2]
	v_mov_b32_e32 v2, s9
	v_add_co_u32_e32 v0, vcc, s8, v0
	v_addc_co_u32_e32 v1, vcc, v2, v1, vcc
	global_store_dwordx2 v[0:1], v[4:5], off
	v_mov_b32_e32 v0, v18
	s_or_b64 exec, exec, s[0:1]
	v_cmp_gt_i32_e32 vcc, s18, v0
	s_and_saveexec_b64 s[0:1], vcc
	s_cbranch_execz .LBB0_90
.LBB0_106:
	v_add_u32_e32 v1, s4, v0
	v_mov_b32_e32 v2, 0
	v_lshlrev_b64 v[1:2], 3, v[1:2]
	v_mov_b32_e32 v3, s9
	v_add_co_u32_e32 v1, vcc, s8, v1
	v_addc_co_u32_e32 v2, vcc, v3, v2, vcc
	v_add_u32_e32 v0, 0x100, v0
	global_store_dwordx2 v[1:2], v[12:13], off
	s_or_b64 exec, exec, s[0:1]
	v_cmp_gt_i32_e32 vcc, s18, v0
	s_and_saveexec_b64 s[0:1], vcc
	s_cbranch_execz .LBB0_91
.LBB0_107:
	v_add_u32_e32 v1, s4, v0
	v_mov_b32_e32 v2, 0
	v_lshlrev_b64 v[1:2], 3, v[1:2]
	v_mov_b32_e32 v3, s9
	v_add_co_u32_e32 v1, vcc, s8, v1
	v_addc_co_u32_e32 v2, vcc, v3, v2, vcc
	v_add_u32_e32 v0, 0x100, v0
	global_store_dwordx2 v[1:2], v[10:11], off
	s_or_b64 exec, exec, s[0:1]
	v_cmp_gt_i32_e32 vcc, s18, v0
	s_and_saveexec_b64 s[0:1], vcc
	s_cbranch_execnz .LBB0_92
	s_branch .LBB0_93
	.section	.rodata,"a",@progbits
	.p2align	6, 0x0
	.amdhsa_kernel _ZN2at6native29vectorized_elementwise_kernelILi16EZZZNS0_12_GLOBAL__N_131spherical_bessel_j0_kernel_cudaERNS_18TensorIteratorBaseEENKUlvE_clEvENKUlvE_clEvEUldE_St5arrayIPcLm2EEEEviT0_T1_
		.amdhsa_group_segment_fixed_size 0
		.amdhsa_private_segment_fixed_size 0
		.amdhsa_kernarg_size 24
		.amdhsa_user_sgpr_count 6
		.amdhsa_user_sgpr_private_segment_buffer 1
		.amdhsa_user_sgpr_dispatch_ptr 0
		.amdhsa_user_sgpr_queue_ptr 0
		.amdhsa_user_sgpr_kernarg_segment_ptr 1
		.amdhsa_user_sgpr_dispatch_id 0
		.amdhsa_user_sgpr_flat_scratch_init 0
		.amdhsa_user_sgpr_private_segment_size 0
		.amdhsa_uses_dynamic_stack 0
		.amdhsa_system_sgpr_private_segment_wavefront_offset 0
		.amdhsa_system_sgpr_workgroup_id_x 1
		.amdhsa_system_sgpr_workgroup_id_y 0
		.amdhsa_system_sgpr_workgroup_id_z 0
		.amdhsa_system_sgpr_workgroup_info 0
		.amdhsa_system_vgpr_workitem_id 0
		.amdhsa_next_free_vgpr 47
		.amdhsa_next_free_sgpr 22
		.amdhsa_reserve_vcc 1
		.amdhsa_reserve_flat_scratch 0
		.amdhsa_float_round_mode_32 0
		.amdhsa_float_round_mode_16_64 0
		.amdhsa_float_denorm_mode_32 3
		.amdhsa_float_denorm_mode_16_64 3
		.amdhsa_dx10_clamp 1
		.amdhsa_ieee_mode 1
		.amdhsa_fp16_overflow 0
		.amdhsa_exception_fp_ieee_invalid_op 0
		.amdhsa_exception_fp_denorm_src 0
		.amdhsa_exception_fp_ieee_div_zero 0
		.amdhsa_exception_fp_ieee_overflow 0
		.amdhsa_exception_fp_ieee_underflow 0
		.amdhsa_exception_fp_ieee_inexact 0
		.amdhsa_exception_int_div_zero 0
	.end_amdhsa_kernel
	.section	.text._ZN2at6native29vectorized_elementwise_kernelILi16EZZZNS0_12_GLOBAL__N_131spherical_bessel_j0_kernel_cudaERNS_18TensorIteratorBaseEENKUlvE_clEvENKUlvE_clEvEUldE_St5arrayIPcLm2EEEEviT0_T1_,"axG",@progbits,_ZN2at6native29vectorized_elementwise_kernelILi16EZZZNS0_12_GLOBAL__N_131spherical_bessel_j0_kernel_cudaERNS_18TensorIteratorBaseEENKUlvE_clEvENKUlvE_clEvEUldE_St5arrayIPcLm2EEEEviT0_T1_,comdat
.Lfunc_end0:
	.size	_ZN2at6native29vectorized_elementwise_kernelILi16EZZZNS0_12_GLOBAL__N_131spherical_bessel_j0_kernel_cudaERNS_18TensorIteratorBaseEENKUlvE_clEvENKUlvE_clEvEUldE_St5arrayIPcLm2EEEEviT0_T1_, .Lfunc_end0-_ZN2at6native29vectorized_elementwise_kernelILi16EZZZNS0_12_GLOBAL__N_131spherical_bessel_j0_kernel_cudaERNS_18TensorIteratorBaseEENKUlvE_clEvENKUlvE_clEvEUldE_St5arrayIPcLm2EEEEviT0_T1_
                                        ; -- End function
	.set _ZN2at6native29vectorized_elementwise_kernelILi16EZZZNS0_12_GLOBAL__N_131spherical_bessel_j0_kernel_cudaERNS_18TensorIteratorBaseEENKUlvE_clEvENKUlvE_clEvEUldE_St5arrayIPcLm2EEEEviT0_T1_.num_vgpr, 47
	.set _ZN2at6native29vectorized_elementwise_kernelILi16EZZZNS0_12_GLOBAL__N_131spherical_bessel_j0_kernel_cudaERNS_18TensorIteratorBaseEENKUlvE_clEvENKUlvE_clEvEUldE_St5arrayIPcLm2EEEEviT0_T1_.num_agpr, 0
	.set _ZN2at6native29vectorized_elementwise_kernelILi16EZZZNS0_12_GLOBAL__N_131spherical_bessel_j0_kernel_cudaERNS_18TensorIteratorBaseEENKUlvE_clEvENKUlvE_clEvEUldE_St5arrayIPcLm2EEEEviT0_T1_.numbered_sgpr, 22
	.set _ZN2at6native29vectorized_elementwise_kernelILi16EZZZNS0_12_GLOBAL__N_131spherical_bessel_j0_kernel_cudaERNS_18TensorIteratorBaseEENKUlvE_clEvENKUlvE_clEvEUldE_St5arrayIPcLm2EEEEviT0_T1_.num_named_barrier, 0
	.set _ZN2at6native29vectorized_elementwise_kernelILi16EZZZNS0_12_GLOBAL__N_131spherical_bessel_j0_kernel_cudaERNS_18TensorIteratorBaseEENKUlvE_clEvENKUlvE_clEvEUldE_St5arrayIPcLm2EEEEviT0_T1_.private_seg_size, 0
	.set _ZN2at6native29vectorized_elementwise_kernelILi16EZZZNS0_12_GLOBAL__N_131spherical_bessel_j0_kernel_cudaERNS_18TensorIteratorBaseEENKUlvE_clEvENKUlvE_clEvEUldE_St5arrayIPcLm2EEEEviT0_T1_.uses_vcc, 1
	.set _ZN2at6native29vectorized_elementwise_kernelILi16EZZZNS0_12_GLOBAL__N_131spherical_bessel_j0_kernel_cudaERNS_18TensorIteratorBaseEENKUlvE_clEvENKUlvE_clEvEUldE_St5arrayIPcLm2EEEEviT0_T1_.uses_flat_scratch, 0
	.set _ZN2at6native29vectorized_elementwise_kernelILi16EZZZNS0_12_GLOBAL__N_131spherical_bessel_j0_kernel_cudaERNS_18TensorIteratorBaseEENKUlvE_clEvENKUlvE_clEvEUldE_St5arrayIPcLm2EEEEviT0_T1_.has_dyn_sized_stack, 0
	.set _ZN2at6native29vectorized_elementwise_kernelILi16EZZZNS0_12_GLOBAL__N_131spherical_bessel_j0_kernel_cudaERNS_18TensorIteratorBaseEENKUlvE_clEvENKUlvE_clEvEUldE_St5arrayIPcLm2EEEEviT0_T1_.has_recursion, 0
	.set _ZN2at6native29vectorized_elementwise_kernelILi16EZZZNS0_12_GLOBAL__N_131spherical_bessel_j0_kernel_cudaERNS_18TensorIteratorBaseEENKUlvE_clEvENKUlvE_clEvEUldE_St5arrayIPcLm2EEEEviT0_T1_.has_indirect_call, 0
	.section	.AMDGPU.csdata,"",@progbits
; Kernel info:
; codeLenInByte = 13768
; TotalNumSgprs: 26
; NumVgprs: 47
; ScratchSize: 0
; MemoryBound: 1
; FloatMode: 240
; IeeeMode: 1
; LDSByteSize: 0 bytes/workgroup (compile time only)
; SGPRBlocks: 3
; VGPRBlocks: 11
; NumSGPRsForWavesPerEU: 26
; NumVGPRsForWavesPerEU: 47
; Occupancy: 5
; WaveLimiterHint : 0
; COMPUTE_PGM_RSRC2:SCRATCH_EN: 0
; COMPUTE_PGM_RSRC2:USER_SGPR: 6
; COMPUTE_PGM_RSRC2:TRAP_HANDLER: 0
; COMPUTE_PGM_RSRC2:TGID_X_EN: 1
; COMPUTE_PGM_RSRC2:TGID_Y_EN: 0
; COMPUTE_PGM_RSRC2:TGID_Z_EN: 0
; COMPUTE_PGM_RSRC2:TIDIG_COMP_CNT: 0
	.section	.text._ZN2at6native29vectorized_elementwise_kernelILi8EZZZNS0_12_GLOBAL__N_131spherical_bessel_j0_kernel_cudaERNS_18TensorIteratorBaseEENKUlvE_clEvENKUlvE_clEvEUldE_St5arrayIPcLm2EEEEviT0_T1_,"axG",@progbits,_ZN2at6native29vectorized_elementwise_kernelILi8EZZZNS0_12_GLOBAL__N_131spherical_bessel_j0_kernel_cudaERNS_18TensorIteratorBaseEENKUlvE_clEvENKUlvE_clEvEUldE_St5arrayIPcLm2EEEEviT0_T1_,comdat
	.globl	_ZN2at6native29vectorized_elementwise_kernelILi8EZZZNS0_12_GLOBAL__N_131spherical_bessel_j0_kernel_cudaERNS_18TensorIteratorBaseEENKUlvE_clEvENKUlvE_clEvEUldE_St5arrayIPcLm2EEEEviT0_T1_ ; -- Begin function _ZN2at6native29vectorized_elementwise_kernelILi8EZZZNS0_12_GLOBAL__N_131spherical_bessel_j0_kernel_cudaERNS_18TensorIteratorBaseEENKUlvE_clEvENKUlvE_clEvEUldE_St5arrayIPcLm2EEEEviT0_T1_
	.p2align	8
	.type	_ZN2at6native29vectorized_elementwise_kernelILi8EZZZNS0_12_GLOBAL__N_131spherical_bessel_j0_kernel_cudaERNS_18TensorIteratorBaseEENKUlvE_clEvENKUlvE_clEvEUldE_St5arrayIPcLm2EEEEviT0_T1_,@function
_ZN2at6native29vectorized_elementwise_kernelILi8EZZZNS0_12_GLOBAL__N_131spherical_bessel_j0_kernel_cudaERNS_18TensorIteratorBaseEENKUlvE_clEvENKUlvE_clEvEUldE_St5arrayIPcLm2EEEEviT0_T1_: ; @_ZN2at6native29vectorized_elementwise_kernelILi8EZZZNS0_12_GLOBAL__N_131spherical_bessel_j0_kernel_cudaERNS_18TensorIteratorBaseEENKUlvE_clEvENKUlvE_clEvEUldE_St5arrayIPcLm2EEEEviT0_T1_
; %bb.0:
	s_load_dword s0, s[4:5], 0x0
	s_load_dwordx4 s[8:11], s[4:5], 0x8
	s_lshl_b32 s4, s6, 10
	s_waitcnt lgkmcnt(0)
	s_sub_i32 s18, s0, s4
	s_cmpk_gt_i32 s18, 0x3ff
	s_mov_b64 s[0:1], -1
	s_cbranch_scc0 .LBB1_42
; %bb.1:
	s_ashr_i32 s5, s4, 31
	s_lshl_b64 s[2:3], s[4:5], 3
	s_add_u32 s0, s10, s2
	s_addc_u32 s1, s11, s3
	v_lshlrev_b32_e32 v15, 5, v0
	global_load_dwordx4 v[9:12], v15, s[0:1]
	global_load_dwordx4 v[5:8], v15, s[0:1] offset:16
	s_mov_b32 s6, 0
	s_mov_b32 s7, 0x7ff00000
	v_mov_b32_e32 v3, 0
	v_mov_b32_e32 v1, 0
	;; [unrolled: 1-line block ×4, first 2 shown]
	s_waitcnt vmcnt(1)
	v_cmp_neq_f64_e64 s[0:1], |v[9:10]|, s[6:7]
	s_and_saveexec_b64 s[12:13], s[0:1]
	s_cbranch_execz .LBB1_11
; %bb.2:
	v_cmp_nlt_f64_e64 s[0:1], |v[9:10]|, 0.5
	s_and_saveexec_b64 s[14:15], s[0:1]
	s_xor_b64 s[14:15], exec, s[14:15]
	s_cbranch_execz .LBB1_8
; %bb.3:
	s_mov_b32 s0, 0
	s_mov_b32 s1, 0x41d00000
	v_cmp_nlt_f64_e64 s[0:1], |v[9:10]|, s[0:1]
                                        ; implicit-def: $vgpr16
                                        ; implicit-def: $vgpr1_vgpr2
                                        ; implicit-def: $vgpr13_vgpr14
	s_and_saveexec_b64 s[16:17], s[0:1]
	s_xor_b64 s[16:17], exec, s[16:17]
	s_cbranch_execz .LBB1_5
; %bb.4:
	v_trig_preop_f64 v[1:2], |v[9:10]|, 0
	s_mov_b32 s0, 0
	s_mov_b32 s1, 0x7b000000
	s_movk_i32 s5, 0xff80
	v_ldexp_f64 v[16:17], |v[9:10]|, s5
	v_cmp_ge_f64_e64 vcc, |v[9:10]|, s[0:1]
	v_trig_preop_f64 v[13:14], |v[9:10]|, 1
	v_and_b32_e32 v18, 0x7fffffff, v10
	v_trig_preop_f64 v[24:25], |v[9:10]|, 2
	s_mov_b32 s0, 0
	s_mov_b32 s1, 0x7ff00000
	v_mov_b32_e32 v35, 0x40100000
	v_mov_b32_e32 v34, 0
	v_cndmask_b32_e32 v17, v18, v17, vcc
	v_cndmask_b32_e32 v16, v9, v16, vcc
	s_mov_b32 s20, 0x33145c07
	v_mul_f64 v[18:19], v[1:2], v[16:17]
	s_mov_b32 s21, 0x3c91a626
	v_mul_f64 v[20:21], v[13:14], v[16:17]
	v_mul_f64 v[30:31], v[24:25], v[16:17]
	v_fma_f64 v[1:2], v[1:2], v[16:17], -v[18:19]
	v_fma_f64 v[13:14], v[13:14], v[16:17], -v[20:21]
	;; [unrolled: 1-line block ×3, first 2 shown]
	v_add_f64 v[22:23], v[20:21], v[1:2]
	v_add_f64 v[26:27], v[22:23], -v[20:21]
	v_add_f64 v[32:33], v[18:19], v[22:23]
	v_add_f64 v[28:29], v[22:23], -v[26:27]
	v_add_f64 v[1:2], v[1:2], -v[26:27]
	v_add_f64 v[26:27], v[30:31], v[13:14]
	v_add_f64 v[18:19], v[32:33], -v[18:19]
	v_add_f64 v[20:21], v[20:21], -v[28:29]
	v_ldexp_f64 v[28:29], v[32:33], -2
	v_add_f64 v[36:37], v[26:27], -v[30:31]
	v_add_f64 v[18:19], v[22:23], -v[18:19]
	v_add_f64 v[1:2], v[1:2], v[20:21]
	v_fract_f64_e32 v[20:21], v[28:29]
	v_cmp_neq_f64_e64 vcc, |v[28:29]|, s[0:1]
	v_add_f64 v[13:14], v[13:14], -v[36:37]
	v_add_f64 v[22:23], v[26:27], v[1:2]
	v_ldexp_f64 v[20:21], v[20:21], 2
	v_add_f64 v[28:29], v[18:19], v[22:23]
	v_cndmask_b32_e32 v21, 0, v21, vcc
	v_cndmask_b32_e32 v20, 0, v20, vcc
	v_add_f64 v[38:39], v[22:23], -v[26:27]
	v_add_f64 v[32:33], v[28:29], v[20:21]
	v_add_f64 v[18:19], v[28:29], -v[18:19]
	v_add_f64 v[40:41], v[22:23], -v[38:39]
	v_add_f64 v[1:2], v[1:2], -v[38:39]
	v_cmp_gt_f64_e32 vcc, 0, v[32:33]
	v_add_f64 v[32:33], v[26:27], -v[36:37]
	v_add_f64 v[18:19], v[22:23], -v[18:19]
	;; [unrolled: 1-line block ×3, first 2 shown]
	v_cndmask_b32_e32 v35, 0, v35, vcc
	v_add_f64 v[20:21], v[20:21], v[34:35]
	v_add_f64 v[32:33], v[30:31], -v[32:33]
	v_add_f64 v[1:2], v[1:2], v[26:27]
	v_add_f64 v[42:43], v[28:29], v[20:21]
	;; [unrolled: 1-line block ×3, first 2 shown]
	v_cvt_i32_f64_e32 v37, v[42:43]
	v_add_f64 v[1:2], v[13:14], v[1:2]
	v_cvt_f64_i32_e32 v[35:36], v37
	v_add_f64 v[20:21], v[20:21], -v[35:36]
	v_add_f64 v[1:2], v[16:17], v[1:2]
	v_add_f64 v[13:14], v[28:29], v[20:21]
	;; [unrolled: 1-line block ×3, first 2 shown]
	v_mov_b32_e32 v19, 0x3ff00000
	v_add_f64 v[16:17], v[13:14], -v[20:21]
	v_cmp_le_f64_e32 vcc, 0.5, v[13:14]
	v_add_f64 v[17:18], v[28:29], -v[16:17]
	v_cndmask_b32_e32 v35, 0, v19, vcc
	v_add_f64 v[13:14], v[13:14], -v[34:35]
	v_addc_co_u32_e64 v16, s[0:1], 0, v37, vcc
	s_mov_b32 s0, 0x54442d18
	s_mov_b32 s1, 0x3ff921fb
	v_add_f64 v[1:2], v[1:2], v[17:18]
	v_add_f64 v[17:18], v[13:14], v[1:2]
	v_mul_f64 v[19:20], v[17:18], s[0:1]
	v_add_f64 v[13:14], v[17:18], -v[13:14]
	v_fma_f64 v[21:22], v[17:18], s[0:1], -v[19:20]
	v_add_f64 v[1:2], v[1:2], -v[13:14]
	v_fma_f64 v[13:14], v[17:18], s[20:21], v[21:22]
	v_fma_f64 v[13:14], v[1:2], s[0:1], v[13:14]
	v_add_f64 v[1:2], v[19:20], v[13:14]
	v_add_f64 v[17:18], v[1:2], -v[19:20]
	v_add_f64 v[13:14], v[13:14], -v[17:18]
.LBB1_5:
	s_andn2_saveexec_b64 s[0:1], s[16:17]
	s_cbranch_execz .LBB1_7
; %bb.6:
	s_mov_b32 s16, 0x6dc9c883
	s_mov_b32 s17, 0x3fe45f30
	v_mul_f64 v[1:2], |v[9:10]|, s[16:17]
	s_mov_b32 s16, 0x54442d18
	s_mov_b32 s17, 0xbff921fb
	s_mov_b32 s21, 0xbc91a626
	s_mov_b32 s20, 0x33145c00
	v_rndne_f64_e32 v[16:17], v[1:2]
	v_fma_f64 v[1:2], v[16:17], s[16:17], |v[9:10]|
	v_mul_f64 v[13:14], v[16:17], s[20:21]
	s_mov_b32 s16, 0x252049c0
	s_mov_b32 s17, 0xb97b839a
	v_fma_f64 v[22:23], v[16:17], s[20:21], v[1:2]
	v_add_f64 v[18:19], v[1:2], v[13:14]
	s_mov_b32 s21, 0x3c91a626
	v_add_f64 v[20:21], v[1:2], -v[18:19]
	v_add_f64 v[18:19], v[18:19], -v[22:23]
	v_add_f64 v[1:2], v[20:21], v[13:14]
	v_fma_f64 v[13:14], v[16:17], s[20:21], v[13:14]
	v_add_f64 v[1:2], v[18:19], v[1:2]
	v_add_f64 v[1:2], v[1:2], -v[13:14]
	v_fma_f64 v[13:14], v[16:17], s[16:17], v[1:2]
	v_cvt_i32_f64_e32 v16, v[16:17]
	v_add_f64 v[1:2], v[22:23], v[13:14]
	v_add_f64 v[18:19], v[1:2], -v[22:23]
	v_add_f64 v[13:14], v[13:14], -v[18:19]
.LBB1_7:
	s_or_b64 exec, exec, s[0:1]
	v_mul_f64 v[17:18], v[1:2], v[1:2]
	s_mov_b32 s0, 0xf9a43bb8
	v_mov_b32_e32 v20, 0xb42fdfa7
	v_mov_b32_e32 v21, 0xbe5ae600
	s_mov_b32 s1, 0x3de5e0b2
	s_mov_b32 s16, 0x796cde01
	v_mov_b32_e32 v19, 0x9037ab78
	s_mov_b32 s17, 0x3ec71de3
	v_fma_f64 v[21:22], v[17:18], s[0:1], v[20:21]
	s_mov_b32 s0, 0x46cc5e42
	v_mov_b32_e32 v20, 0x3e21eeb6
	s_mov_b32 s1, 0xbda907db
	v_fma_f64 v[19:20], v[17:18], s[0:1], v[19:20]
	v_mul_f64 v[23:24], v[17:18], 0.5
	s_mov_b32 s0, 0xa17f65f6
	s_mov_b32 s20, 0x19e83e5c
	v_fma_f64 v[21:22], v[17:18], v[21:22], s[16:17]
	s_mov_b32 s1, 0xbe927e4f
	s_mov_b32 s21, 0xbf2a01a0
	;; [unrolled: 1-line block ×3, first 2 shown]
	v_fma_f64 v[19:20], v[17:18], v[19:20], s[0:1]
	v_add_f64 v[25:26], -v[23:24], 1.0
	s_mov_b32 s0, 0x11110bb3
	s_mov_b32 s17, 0x3efa01a0
	v_fma_f64 v[21:22], v[17:18], v[21:22], s[20:21]
	s_mov_b32 s1, 0x3f811111
	v_mul_f64 v[27:28], v[13:14], 0.5
	v_mul_f64 v[29:30], v[1:2], -v[17:18]
	v_fma_f64 v[19:20], v[17:18], v[19:20], s[16:17]
	v_add_f64 v[31:32], -v[25:26], 1.0
	v_fma_f64 v[21:22], v[17:18], v[21:22], s[0:1]
	s_mov_b32 s0, 0x16c16967
	s_mov_b32 s1, 0xbf56c16c
	v_fma_f64 v[19:20], v[17:18], v[19:20], s[0:1]
	v_add_f64 v[23:24], v[31:32], -v[23:24]
	s_mov_b32 s1, 0x3fa55555
	s_mov_b32 s0, 0x55555555
	v_fma_f64 v[21:22], v[29:30], v[21:22], v[27:28]
	v_mul_f64 v[27:28], v[17:18], v[17:18]
	v_fma_f64 v[19:20], v[17:18], v[19:20], s[0:1]
	v_fma_f64 v[23:24], v[1:2], -v[13:14], v[23:24]
	s_mov_b32 s1, 0xbfc55555
	v_fma_f64 v[13:14], v[17:18], v[21:22], -v[13:14]
	v_fma_f64 v[17:18], v[27:28], v[19:20], v[23:24]
	v_fma_f64 v[13:14], v[29:30], s[0:1], v[13:14]
	s_movk_i32 s0, 0x1f8
	v_cmp_class_f64_e64 s[0:1], v[9:10], s0
	v_add_f64 v[17:18], v[25:26], v[17:18]
	v_add_f64 v[1:2], v[1:2], -v[13:14]
	v_and_b32_e32 v13, 1, v16
	v_cmp_eq_u32_e32 vcc, 0, v13
	v_lshlrev_b32_e32 v13, 30, v16
	v_xor_b32_e32 v13, v13, v10
	v_and_b32_e32 v13, 0x80000000, v13
	v_mov_b32_e32 v14, 0x7ff80000
	v_cndmask_b32_e32 v2, v18, v2, vcc
	v_cndmask_b32_e32 v1, v17, v1, vcc
	v_xor_b32_e32 v2, v2, v13
	v_cndmask_b32_e64 v1, 0, v1, s[0:1]
	v_cndmask_b32_e64 v2, v14, v2, s[0:1]
	v_div_scale_f64 v[13:14], s[0:1], v[9:10], v[9:10], v[1:2]
	v_div_scale_f64 v[20:21], vcc, v[1:2], v[9:10], v[1:2]
	v_rcp_f64_e32 v[16:17], v[13:14]
	v_fma_f64 v[18:19], -v[13:14], v[16:17], 1.0
	v_fma_f64 v[16:17], v[16:17], v[18:19], v[16:17]
	v_fma_f64 v[18:19], -v[13:14], v[16:17], 1.0
	v_fma_f64 v[16:17], v[16:17], v[18:19], v[16:17]
	v_mul_f64 v[18:19], v[20:21], v[16:17]
	v_fma_f64 v[13:14], -v[13:14], v[18:19], v[20:21]
	v_div_fmas_f64 v[13:14], v[13:14], v[16:17], v[18:19]
	v_div_fixup_f64 v[1:2], v[13:14], v[9:10], v[1:2]
.LBB1_8:
	s_andn2_saveexec_b64 s[0:1], s[14:15]
	s_cbranch_execz .LBB1_10
; %bb.9:
	v_mul_f64 v[1:2], v[9:10], v[9:10]
	s_mov_b32 s14, 0x13a86d09
	v_mov_b32_e32 v9, 0x67f544e4
	v_mov_b32_e32 v10, 0xbe5ae645
	s_mov_b32 s15, 0x3de61246
	v_fma_f64 v[9:10], v[1:2], s[14:15], v[9:10]
	s_mov_b32 s14, 0xa556c734
	s_mov_b32 s15, 0x3ec71de3
	v_fma_f64 v[9:10], v[1:2], v[9:10], s[14:15]
	s_mov_b32 s14, 0x1a01a01a
	;; [unrolled: 3-line block ×4, first 2 shown]
	s_mov_b32 s15, 0xbfc55555
	v_fma_f64 v[9:10], v[1:2], v[9:10], s[14:15]
	v_fma_f64 v[1:2], v[1:2], v[9:10], 1.0
.LBB1_10:
	s_or_b64 exec, exec, s[0:1]
.LBB1_11:
	s_or_b64 exec, exec, s[12:13]
	v_cmp_neq_f64_e64 s[0:1], |v[11:12]|, s[6:7]
	s_and_saveexec_b64 s[6:7], s[0:1]
	s_cbranch_execz .LBB1_21
; %bb.12:
	v_cmp_nlt_f64_e64 s[0:1], |v[11:12]|, 0.5
	s_and_saveexec_b64 s[12:13], s[0:1]
	s_xor_b64 s[12:13], exec, s[12:13]
	s_cbranch_execz .LBB1_18
; %bb.13:
	s_mov_b32 s0, 0
	s_mov_b32 s1, 0x41d00000
	v_cmp_nlt_f64_e64 s[0:1], |v[11:12]|, s[0:1]
                                        ; implicit-def: $vgpr13
                                        ; implicit-def: $vgpr3_vgpr4
                                        ; implicit-def: $vgpr9_vgpr10
	s_and_saveexec_b64 s[14:15], s[0:1]
	s_xor_b64 s[14:15], exec, s[14:15]
	s_cbranch_execz .LBB1_15
; %bb.14:
	v_trig_preop_f64 v[3:4], |v[11:12]|, 0
	s_mov_b32 s0, 0
	s_mov_b32 s1, 0x7b000000
	s_movk_i32 s5, 0xff80
	v_ldexp_f64 v[13:14], |v[11:12]|, s5
	v_cmp_ge_f64_e64 vcc, |v[11:12]|, s[0:1]
	v_trig_preop_f64 v[9:10], |v[11:12]|, 1
	v_and_b32_e32 v16, 0x7fffffff, v12
	v_trig_preop_f64 v[22:23], |v[11:12]|, 2
	s_mov_b32 s0, 0
	s_mov_b32 s1, 0x7ff00000
	v_mov_b32_e32 v33, 0x40100000
	v_mov_b32_e32 v32, 0
	v_cndmask_b32_e32 v14, v16, v14, vcc
	v_cndmask_b32_e32 v13, v11, v13, vcc
	s_mov_b32 s16, 0x33145c07
	v_mul_f64 v[16:17], v[3:4], v[13:14]
	s_mov_b32 s17, 0x3c91a626
	v_mul_f64 v[18:19], v[9:10], v[13:14]
	v_mul_f64 v[28:29], v[22:23], v[13:14]
	v_fma_f64 v[3:4], v[3:4], v[13:14], -v[16:17]
	v_fma_f64 v[9:10], v[9:10], v[13:14], -v[18:19]
	v_fma_f64 v[13:14], v[22:23], v[13:14], -v[28:29]
	v_add_f64 v[20:21], v[18:19], v[3:4]
	v_add_f64 v[24:25], v[20:21], -v[18:19]
	v_add_f64 v[30:31], v[16:17], v[20:21]
	v_add_f64 v[26:27], v[20:21], -v[24:25]
	v_add_f64 v[3:4], v[3:4], -v[24:25]
	v_add_f64 v[24:25], v[28:29], v[9:10]
	v_add_f64 v[16:17], v[30:31], -v[16:17]
	v_add_f64 v[18:19], v[18:19], -v[26:27]
	v_ldexp_f64 v[26:27], v[30:31], -2
	v_add_f64 v[34:35], v[24:25], -v[28:29]
	v_add_f64 v[16:17], v[20:21], -v[16:17]
	v_add_f64 v[3:4], v[3:4], v[18:19]
	v_fract_f64_e32 v[18:19], v[26:27]
	v_cmp_neq_f64_e64 vcc, |v[26:27]|, s[0:1]
	v_add_f64 v[9:10], v[9:10], -v[34:35]
	v_add_f64 v[20:21], v[24:25], v[3:4]
	v_ldexp_f64 v[18:19], v[18:19], 2
	v_add_f64 v[26:27], v[16:17], v[20:21]
	v_cndmask_b32_e32 v19, 0, v19, vcc
	v_cndmask_b32_e32 v18, 0, v18, vcc
	v_add_f64 v[36:37], v[20:21], -v[24:25]
	v_add_f64 v[30:31], v[26:27], v[18:19]
	v_add_f64 v[16:17], v[26:27], -v[16:17]
	v_add_f64 v[38:39], v[20:21], -v[36:37]
	;; [unrolled: 1-line block ×3, first 2 shown]
	v_cmp_gt_f64_e32 vcc, 0, v[30:31]
	v_add_f64 v[30:31], v[24:25], -v[34:35]
	v_add_f64 v[16:17], v[20:21], -v[16:17]
	;; [unrolled: 1-line block ×3, first 2 shown]
	v_cndmask_b32_e32 v33, 0, v33, vcc
	v_add_f64 v[18:19], v[18:19], v[32:33]
	v_add_f64 v[30:31], v[28:29], -v[30:31]
	v_add_f64 v[3:4], v[3:4], v[24:25]
	v_add_f64 v[40:41], v[26:27], v[18:19]
	;; [unrolled: 1-line block ×3, first 2 shown]
	v_cvt_i32_f64_e32 v35, v[40:41]
	v_add_f64 v[3:4], v[9:10], v[3:4]
	v_cvt_f64_i32_e32 v[33:34], v35
	v_add_f64 v[18:19], v[18:19], -v[33:34]
	v_add_f64 v[3:4], v[13:14], v[3:4]
	v_add_f64 v[9:10], v[26:27], v[18:19]
	;; [unrolled: 1-line block ×3, first 2 shown]
	v_add_f64 v[13:14], v[9:10], -v[18:19]
	v_cmp_le_f64_e32 vcc, 0.5, v[9:10]
	v_add_f64 v[16:17], v[26:27], -v[13:14]
	v_mov_b32_e32 v14, 0x3ff00000
	v_cndmask_b32_e32 v33, 0, v14, vcc
	v_add_f64 v[9:10], v[9:10], -v[32:33]
	v_addc_co_u32_e64 v13, s[0:1], 0, v35, vcc
	s_mov_b32 s0, 0x54442d18
	s_mov_b32 s1, 0x3ff921fb
	v_add_f64 v[3:4], v[3:4], v[16:17]
	v_add_f64 v[16:17], v[9:10], v[3:4]
	v_mul_f64 v[18:19], v[16:17], s[0:1]
	v_add_f64 v[9:10], v[16:17], -v[9:10]
	v_fma_f64 v[20:21], v[16:17], s[0:1], -v[18:19]
	v_add_f64 v[3:4], v[3:4], -v[9:10]
	v_fma_f64 v[9:10], v[16:17], s[16:17], v[20:21]
	v_fma_f64 v[9:10], v[3:4], s[0:1], v[9:10]
	v_add_f64 v[3:4], v[18:19], v[9:10]
	v_add_f64 v[16:17], v[3:4], -v[18:19]
	v_add_f64 v[9:10], v[9:10], -v[16:17]
.LBB1_15:
	s_andn2_saveexec_b64 s[0:1], s[14:15]
	s_cbranch_execz .LBB1_17
; %bb.16:
	s_mov_b32 s14, 0x6dc9c883
	s_mov_b32 s15, 0x3fe45f30
	v_mul_f64 v[3:4], |v[11:12]|, s[14:15]
	s_mov_b32 s14, 0x54442d18
	s_mov_b32 s15, 0xbff921fb
	;; [unrolled: 1-line block ×4, first 2 shown]
	v_rndne_f64_e32 v[13:14], v[3:4]
	v_fma_f64 v[3:4], v[13:14], s[14:15], |v[11:12]|
	v_mul_f64 v[9:10], v[13:14], s[16:17]
	s_mov_b32 s14, 0x252049c0
	s_mov_b32 s15, 0xb97b839a
	v_fma_f64 v[20:21], v[13:14], s[16:17], v[3:4]
	v_add_f64 v[16:17], v[3:4], v[9:10]
	s_mov_b32 s17, 0x3c91a626
	v_add_f64 v[18:19], v[3:4], -v[16:17]
	v_add_f64 v[16:17], v[16:17], -v[20:21]
	v_add_f64 v[3:4], v[18:19], v[9:10]
	v_fma_f64 v[9:10], v[13:14], s[16:17], v[9:10]
	v_add_f64 v[3:4], v[16:17], v[3:4]
	v_add_f64 v[3:4], v[3:4], -v[9:10]
	v_fma_f64 v[9:10], v[13:14], s[14:15], v[3:4]
	v_cvt_i32_f64_e32 v13, v[13:14]
	v_add_f64 v[3:4], v[20:21], v[9:10]
	v_add_f64 v[16:17], v[3:4], -v[20:21]
	v_add_f64 v[9:10], v[9:10], -v[16:17]
.LBB1_17:
	s_or_b64 exec, exec, s[0:1]
	v_mul_f64 v[16:17], v[3:4], v[3:4]
	s_mov_b32 s0, 0xf9a43bb8
	v_mov_b32_e32 v19, 0xb42fdfa7
	v_mov_b32_e32 v20, 0xbe5ae600
	s_mov_b32 s1, 0x3de5e0b2
	s_mov_b32 s14, 0x796cde01
	v_mov_b32_e32 v18, 0x9037ab78
	s_mov_b32 s15, 0x3ec71de3
	v_fma_f64 v[20:21], v[16:17], s[0:1], v[19:20]
	s_mov_b32 s0, 0x46cc5e42
	v_mov_b32_e32 v19, 0x3e21eeb6
	s_mov_b32 s1, 0xbda907db
	v_fma_f64 v[18:19], v[16:17], s[0:1], v[18:19]
	v_mul_f64 v[22:23], v[16:17], 0.5
	s_mov_b32 s0, 0xa17f65f6
	s_mov_b32 s16, 0x19e83e5c
	v_fma_f64 v[20:21], v[16:17], v[20:21], s[14:15]
	s_mov_b32 s1, 0xbe927e4f
	s_mov_b32 s17, 0xbf2a01a0
	;; [unrolled: 1-line block ×3, first 2 shown]
	v_fma_f64 v[18:19], v[16:17], v[18:19], s[0:1]
	v_add_f64 v[24:25], -v[22:23], 1.0
	s_mov_b32 s0, 0x11110bb3
	s_mov_b32 s15, 0x3efa01a0
	v_fma_f64 v[20:21], v[16:17], v[20:21], s[16:17]
	s_mov_b32 s1, 0x3f811111
	v_mul_f64 v[26:27], v[9:10], 0.5
	v_mul_f64 v[28:29], v[3:4], -v[16:17]
	v_fma_f64 v[18:19], v[16:17], v[18:19], s[14:15]
	v_add_f64 v[30:31], -v[24:25], 1.0
	v_fma_f64 v[20:21], v[16:17], v[20:21], s[0:1]
	s_mov_b32 s0, 0x16c16967
	s_mov_b32 s1, 0xbf56c16c
	v_fma_f64 v[18:19], v[16:17], v[18:19], s[0:1]
	v_add_f64 v[22:23], v[30:31], -v[22:23]
	s_mov_b32 s1, 0x3fa55555
	s_mov_b32 s0, 0x55555555
	v_fma_f64 v[20:21], v[28:29], v[20:21], v[26:27]
	v_mul_f64 v[26:27], v[16:17], v[16:17]
	v_fma_f64 v[18:19], v[16:17], v[18:19], s[0:1]
	v_fma_f64 v[22:23], v[3:4], -v[9:10], v[22:23]
	s_mov_b32 s1, 0xbfc55555
	v_fma_f64 v[9:10], v[16:17], v[20:21], -v[9:10]
	v_fma_f64 v[16:17], v[26:27], v[18:19], v[22:23]
	v_fma_f64 v[9:10], v[28:29], s[0:1], v[9:10]
	s_movk_i32 s0, 0x1f8
	v_cmp_class_f64_e64 s[0:1], v[11:12], s0
	v_add_f64 v[16:17], v[24:25], v[16:17]
	v_add_f64 v[3:4], v[3:4], -v[9:10]
	v_and_b32_e32 v9, 1, v13
	v_cmp_eq_u32_e32 vcc, 0, v9
	v_lshlrev_b32_e32 v9, 30, v13
	v_xor_b32_e32 v9, v9, v12
	v_and_b32_e32 v9, 0x80000000, v9
	v_mov_b32_e32 v10, 0x7ff80000
	v_cndmask_b32_e32 v4, v17, v4, vcc
	v_cndmask_b32_e32 v3, v16, v3, vcc
	v_xor_b32_e32 v4, v4, v9
	v_cndmask_b32_e64 v3, 0, v3, s[0:1]
	v_cndmask_b32_e64 v4, v10, v4, s[0:1]
	v_div_scale_f64 v[9:10], s[0:1], v[11:12], v[11:12], v[3:4]
	v_div_scale_f64 v[18:19], vcc, v[3:4], v[11:12], v[3:4]
	v_rcp_f64_e32 v[13:14], v[9:10]
	v_fma_f64 v[16:17], -v[9:10], v[13:14], 1.0
	v_fma_f64 v[13:14], v[13:14], v[16:17], v[13:14]
	v_fma_f64 v[16:17], -v[9:10], v[13:14], 1.0
	v_fma_f64 v[13:14], v[13:14], v[16:17], v[13:14]
	v_mul_f64 v[16:17], v[18:19], v[13:14]
	v_fma_f64 v[9:10], -v[9:10], v[16:17], v[18:19]
	v_div_fmas_f64 v[9:10], v[9:10], v[13:14], v[16:17]
	v_div_fixup_f64 v[3:4], v[9:10], v[11:12], v[3:4]
                                        ; implicit-def: $vgpr11_vgpr12
.LBB1_18:
	s_andn2_saveexec_b64 s[0:1], s[12:13]
	s_cbranch_execz .LBB1_20
; %bb.19:
	v_mul_f64 v[3:4], v[11:12], v[11:12]
	s_mov_b32 s12, 0x13a86d09
	v_mov_b32_e32 v9, 0x67f544e4
	v_mov_b32_e32 v10, 0xbe5ae645
	s_mov_b32 s13, 0x3de61246
	v_fma_f64 v[9:10], v[3:4], s[12:13], v[9:10]
	s_mov_b32 s12, 0xa556c734
	s_mov_b32 s13, 0x3ec71de3
	v_fma_f64 v[9:10], v[3:4], v[9:10], s[12:13]
	s_mov_b32 s12, 0x1a01a01a
	;; [unrolled: 3-line block ×4, first 2 shown]
	s_mov_b32 s13, 0xbfc55555
	v_fma_f64 v[9:10], v[3:4], v[9:10], s[12:13]
	v_fma_f64 v[3:4], v[3:4], v[9:10], 1.0
.LBB1_20:
	s_or_b64 exec, exec, s[0:1]
.LBB1_21:
	s_or_b64 exec, exec, s[6:7]
	s_mov_b32 s6, 0
	s_mov_b32 s7, 0x7ff00000
	s_waitcnt vmcnt(0)
	v_cmp_neq_f64_e64 s[0:1], |v[5:6]|, s[6:7]
	v_mov_b32_e32 v11, 0
	v_mov_b32_e32 v9, 0
	;; [unrolled: 1-line block ×4, first 2 shown]
	s_and_saveexec_b64 s[12:13], s[0:1]
	s_cbranch_execz .LBB1_31
; %bb.22:
	v_cmp_nlt_f64_e64 s[0:1], |v[5:6]|, 0.5
	s_and_saveexec_b64 s[14:15], s[0:1]
	s_xor_b64 s[14:15], exec, s[14:15]
	s_cbranch_execz .LBB1_28
; %bb.23:
	s_mov_b32 s0, 0
	s_mov_b32 s1, 0x41d00000
	v_cmp_nlt_f64_e64 s[0:1], |v[5:6]|, s[0:1]
                                        ; implicit-def: $vgpr16
                                        ; implicit-def: $vgpr9_vgpr10
                                        ; implicit-def: $vgpr13_vgpr14
	s_and_saveexec_b64 s[16:17], s[0:1]
	s_xor_b64 s[16:17], exec, s[16:17]
	s_cbranch_execz .LBB1_25
; %bb.24:
	v_trig_preop_f64 v[9:10], |v[5:6]|, 0
	s_mov_b32 s0, 0
	s_mov_b32 s1, 0x7b000000
	s_movk_i32 s5, 0xff80
	v_ldexp_f64 v[16:17], |v[5:6]|, s5
	v_cmp_ge_f64_e64 vcc, |v[5:6]|, s[0:1]
	v_trig_preop_f64 v[13:14], |v[5:6]|, 1
	v_and_b32_e32 v18, 0x7fffffff, v6
	v_trig_preop_f64 v[24:25], |v[5:6]|, 2
	s_mov_b32 s0, 0
	s_mov_b32 s1, 0x7ff00000
	v_mov_b32_e32 v35, 0x40100000
	v_mov_b32_e32 v34, 0
	v_cndmask_b32_e32 v17, v18, v17, vcc
	v_cndmask_b32_e32 v16, v5, v16, vcc
	s_mov_b32 s20, 0x33145c07
	v_mul_f64 v[18:19], v[9:10], v[16:17]
	s_mov_b32 s21, 0x3c91a626
	v_mul_f64 v[20:21], v[13:14], v[16:17]
	v_mul_f64 v[30:31], v[24:25], v[16:17]
	v_fma_f64 v[9:10], v[9:10], v[16:17], -v[18:19]
	v_fma_f64 v[13:14], v[13:14], v[16:17], -v[20:21]
	;; [unrolled: 1-line block ×3, first 2 shown]
	v_add_f64 v[22:23], v[20:21], v[9:10]
	v_add_f64 v[26:27], v[22:23], -v[20:21]
	v_add_f64 v[32:33], v[18:19], v[22:23]
	v_add_f64 v[28:29], v[22:23], -v[26:27]
	v_add_f64 v[9:10], v[9:10], -v[26:27]
	v_add_f64 v[26:27], v[30:31], v[13:14]
	v_add_f64 v[18:19], v[32:33], -v[18:19]
	v_add_f64 v[20:21], v[20:21], -v[28:29]
	v_ldexp_f64 v[28:29], v[32:33], -2
	v_add_f64 v[36:37], v[26:27], -v[30:31]
	v_add_f64 v[18:19], v[22:23], -v[18:19]
	v_add_f64 v[9:10], v[9:10], v[20:21]
	v_fract_f64_e32 v[20:21], v[28:29]
	v_cmp_neq_f64_e64 vcc, |v[28:29]|, s[0:1]
	v_add_f64 v[13:14], v[13:14], -v[36:37]
	v_add_f64 v[22:23], v[26:27], v[9:10]
	v_ldexp_f64 v[20:21], v[20:21], 2
	v_add_f64 v[28:29], v[18:19], v[22:23]
	v_cndmask_b32_e32 v21, 0, v21, vcc
	v_cndmask_b32_e32 v20, 0, v20, vcc
	v_add_f64 v[38:39], v[22:23], -v[26:27]
	v_add_f64 v[32:33], v[28:29], v[20:21]
	v_add_f64 v[18:19], v[28:29], -v[18:19]
	v_add_f64 v[40:41], v[22:23], -v[38:39]
	;; [unrolled: 1-line block ×3, first 2 shown]
	v_cmp_gt_f64_e32 vcc, 0, v[32:33]
	v_add_f64 v[32:33], v[26:27], -v[36:37]
	v_add_f64 v[18:19], v[22:23], -v[18:19]
	v_add_f64 v[26:27], v[26:27], -v[40:41]
	v_cndmask_b32_e32 v35, 0, v35, vcc
	v_add_f64 v[20:21], v[20:21], v[34:35]
	v_add_f64 v[32:33], v[30:31], -v[32:33]
	v_add_f64 v[9:10], v[9:10], v[26:27]
	v_add_f64 v[42:43], v[28:29], v[20:21]
	;; [unrolled: 1-line block ×3, first 2 shown]
	v_cvt_i32_f64_e32 v37, v[42:43]
	v_add_f64 v[9:10], v[13:14], v[9:10]
	v_cvt_f64_i32_e32 v[35:36], v37
	v_add_f64 v[20:21], v[20:21], -v[35:36]
	v_add_f64 v[9:10], v[16:17], v[9:10]
	v_add_f64 v[13:14], v[28:29], v[20:21]
	;; [unrolled: 1-line block ×3, first 2 shown]
	v_mov_b32_e32 v19, 0x3ff00000
	v_add_f64 v[16:17], v[13:14], -v[20:21]
	v_cmp_le_f64_e32 vcc, 0.5, v[13:14]
	v_add_f64 v[17:18], v[28:29], -v[16:17]
	v_cndmask_b32_e32 v35, 0, v19, vcc
	v_add_f64 v[13:14], v[13:14], -v[34:35]
	v_addc_co_u32_e64 v16, s[0:1], 0, v37, vcc
	s_mov_b32 s0, 0x54442d18
	s_mov_b32 s1, 0x3ff921fb
	v_add_f64 v[9:10], v[9:10], v[17:18]
	v_add_f64 v[17:18], v[13:14], v[9:10]
	v_mul_f64 v[19:20], v[17:18], s[0:1]
	v_add_f64 v[13:14], v[17:18], -v[13:14]
	v_fma_f64 v[21:22], v[17:18], s[0:1], -v[19:20]
	v_add_f64 v[9:10], v[9:10], -v[13:14]
	v_fma_f64 v[13:14], v[17:18], s[20:21], v[21:22]
	v_fma_f64 v[13:14], v[9:10], s[0:1], v[13:14]
	v_add_f64 v[9:10], v[19:20], v[13:14]
	v_add_f64 v[17:18], v[9:10], -v[19:20]
	v_add_f64 v[13:14], v[13:14], -v[17:18]
.LBB1_25:
	s_andn2_saveexec_b64 s[0:1], s[16:17]
	s_cbranch_execz .LBB1_27
; %bb.26:
	s_mov_b32 s16, 0x6dc9c883
	s_mov_b32 s17, 0x3fe45f30
	v_mul_f64 v[9:10], |v[5:6]|, s[16:17]
	s_mov_b32 s16, 0x54442d18
	s_mov_b32 s17, 0xbff921fb
	;; [unrolled: 1-line block ×4, first 2 shown]
	v_rndne_f64_e32 v[16:17], v[9:10]
	v_fma_f64 v[9:10], v[16:17], s[16:17], |v[5:6]|
	v_mul_f64 v[13:14], v[16:17], s[20:21]
	s_mov_b32 s16, 0x252049c0
	s_mov_b32 s17, 0xb97b839a
	v_fma_f64 v[22:23], v[16:17], s[20:21], v[9:10]
	v_add_f64 v[18:19], v[9:10], v[13:14]
	s_mov_b32 s21, 0x3c91a626
	v_add_f64 v[20:21], v[9:10], -v[18:19]
	v_add_f64 v[18:19], v[18:19], -v[22:23]
	v_add_f64 v[9:10], v[20:21], v[13:14]
	v_fma_f64 v[13:14], v[16:17], s[20:21], v[13:14]
	v_add_f64 v[9:10], v[18:19], v[9:10]
	v_add_f64 v[9:10], v[9:10], -v[13:14]
	v_fma_f64 v[13:14], v[16:17], s[16:17], v[9:10]
	v_cvt_i32_f64_e32 v16, v[16:17]
	v_add_f64 v[9:10], v[22:23], v[13:14]
	v_add_f64 v[18:19], v[9:10], -v[22:23]
	v_add_f64 v[13:14], v[13:14], -v[18:19]
.LBB1_27:
	s_or_b64 exec, exec, s[0:1]
	v_mul_f64 v[17:18], v[9:10], v[9:10]
	s_mov_b32 s0, 0xf9a43bb8
	v_mov_b32_e32 v20, 0xb42fdfa7
	v_mov_b32_e32 v21, 0xbe5ae600
	s_mov_b32 s1, 0x3de5e0b2
	s_mov_b32 s16, 0x796cde01
	v_mov_b32_e32 v19, 0x9037ab78
	s_mov_b32 s17, 0x3ec71de3
	v_fma_f64 v[21:22], v[17:18], s[0:1], v[20:21]
	s_mov_b32 s0, 0x46cc5e42
	v_mov_b32_e32 v20, 0x3e21eeb6
	s_mov_b32 s1, 0xbda907db
	v_fma_f64 v[19:20], v[17:18], s[0:1], v[19:20]
	v_mul_f64 v[23:24], v[17:18], 0.5
	s_mov_b32 s0, 0xa17f65f6
	s_mov_b32 s20, 0x19e83e5c
	v_fma_f64 v[21:22], v[17:18], v[21:22], s[16:17]
	s_mov_b32 s1, 0xbe927e4f
	s_mov_b32 s21, 0xbf2a01a0
	;; [unrolled: 1-line block ×3, first 2 shown]
	v_fma_f64 v[19:20], v[17:18], v[19:20], s[0:1]
	v_add_f64 v[25:26], -v[23:24], 1.0
	s_mov_b32 s0, 0x11110bb3
	s_mov_b32 s17, 0x3efa01a0
	v_fma_f64 v[21:22], v[17:18], v[21:22], s[20:21]
	s_mov_b32 s1, 0x3f811111
	v_mul_f64 v[27:28], v[13:14], 0.5
	v_mul_f64 v[29:30], v[9:10], -v[17:18]
	v_fma_f64 v[19:20], v[17:18], v[19:20], s[16:17]
	v_add_f64 v[31:32], -v[25:26], 1.0
	v_fma_f64 v[21:22], v[17:18], v[21:22], s[0:1]
	s_mov_b32 s0, 0x16c16967
	s_mov_b32 s1, 0xbf56c16c
	v_fma_f64 v[19:20], v[17:18], v[19:20], s[0:1]
	v_add_f64 v[23:24], v[31:32], -v[23:24]
	s_mov_b32 s1, 0x3fa55555
	s_mov_b32 s0, 0x55555555
	v_fma_f64 v[21:22], v[29:30], v[21:22], v[27:28]
	v_mul_f64 v[27:28], v[17:18], v[17:18]
	v_fma_f64 v[19:20], v[17:18], v[19:20], s[0:1]
	v_fma_f64 v[23:24], v[9:10], -v[13:14], v[23:24]
	s_mov_b32 s1, 0xbfc55555
	v_fma_f64 v[13:14], v[17:18], v[21:22], -v[13:14]
	v_fma_f64 v[17:18], v[27:28], v[19:20], v[23:24]
	v_fma_f64 v[13:14], v[29:30], s[0:1], v[13:14]
	s_movk_i32 s0, 0x1f8
	v_cmp_class_f64_e64 s[0:1], v[5:6], s0
	v_add_f64 v[17:18], v[25:26], v[17:18]
	v_add_f64 v[9:10], v[9:10], -v[13:14]
	v_and_b32_e32 v13, 1, v16
	v_cmp_eq_u32_e32 vcc, 0, v13
	v_lshlrev_b32_e32 v13, 30, v16
	v_xor_b32_e32 v13, v13, v6
	v_and_b32_e32 v13, 0x80000000, v13
	v_mov_b32_e32 v14, 0x7ff80000
	v_cndmask_b32_e32 v10, v18, v10, vcc
	v_cndmask_b32_e32 v9, v17, v9, vcc
	v_xor_b32_e32 v10, v10, v13
	v_cndmask_b32_e64 v9, 0, v9, s[0:1]
	v_cndmask_b32_e64 v10, v14, v10, s[0:1]
	v_div_scale_f64 v[13:14], s[0:1], v[5:6], v[5:6], v[9:10]
	v_div_scale_f64 v[20:21], vcc, v[9:10], v[5:6], v[9:10]
	v_rcp_f64_e32 v[16:17], v[13:14]
	v_fma_f64 v[18:19], -v[13:14], v[16:17], 1.0
	v_fma_f64 v[16:17], v[16:17], v[18:19], v[16:17]
	v_fma_f64 v[18:19], -v[13:14], v[16:17], 1.0
	v_fma_f64 v[16:17], v[16:17], v[18:19], v[16:17]
	v_mul_f64 v[18:19], v[20:21], v[16:17]
	v_fma_f64 v[13:14], -v[13:14], v[18:19], v[20:21]
	v_div_fmas_f64 v[13:14], v[13:14], v[16:17], v[18:19]
	v_div_fixup_f64 v[9:10], v[13:14], v[5:6], v[9:10]
.LBB1_28:
	s_andn2_saveexec_b64 s[0:1], s[14:15]
	s_cbranch_execz .LBB1_30
; %bb.29:
	v_mul_f64 v[5:6], v[5:6], v[5:6]
	s_mov_b32 s14, 0x13a86d09
	v_mov_b32_e32 v9, 0x67f544e4
	v_mov_b32_e32 v10, 0xbe5ae645
	s_mov_b32 s15, 0x3de61246
	v_fma_f64 v[9:10], v[5:6], s[14:15], v[9:10]
	s_mov_b32 s14, 0xa556c734
	s_mov_b32 s15, 0x3ec71de3
	v_fma_f64 v[9:10], v[5:6], v[9:10], s[14:15]
	s_mov_b32 s14, 0x1a01a01a
	;; [unrolled: 3-line block ×4, first 2 shown]
	s_mov_b32 s15, 0xbfc55555
	v_fma_f64 v[9:10], v[5:6], v[9:10], s[14:15]
	v_fma_f64 v[9:10], v[5:6], v[9:10], 1.0
.LBB1_30:
	s_or_b64 exec, exec, s[0:1]
.LBB1_31:
	s_or_b64 exec, exec, s[12:13]
	v_cmp_neq_f64_e64 s[0:1], |v[7:8]|, s[6:7]
	s_and_saveexec_b64 s[6:7], s[0:1]
	s_cbranch_execz .LBB1_41
; %bb.32:
	v_cmp_nlt_f64_e64 s[0:1], |v[7:8]|, 0.5
	s_and_saveexec_b64 s[12:13], s[0:1]
	s_xor_b64 s[12:13], exec, s[12:13]
	s_cbranch_execz .LBB1_38
; %bb.33:
	s_mov_b32 s0, 0
	s_mov_b32 s1, 0x41d00000
	v_cmp_nlt_f64_e64 s[0:1], |v[7:8]|, s[0:1]
                                        ; implicit-def: $vgpr13
                                        ; implicit-def: $vgpr5_vgpr6
                                        ; implicit-def: $vgpr11_vgpr12
	s_and_saveexec_b64 s[14:15], s[0:1]
	s_xor_b64 s[14:15], exec, s[14:15]
	s_cbranch_execz .LBB1_35
; %bb.34:
	v_trig_preop_f64 v[5:6], |v[7:8]|, 0
	s_mov_b32 s0, 0
	s_mov_b32 s1, 0x7b000000
	s_movk_i32 s5, 0xff80
	v_ldexp_f64 v[13:14], |v[7:8]|, s5
	v_cmp_ge_f64_e64 vcc, |v[7:8]|, s[0:1]
	v_trig_preop_f64 v[11:12], |v[7:8]|, 1
	v_and_b32_e32 v16, 0x7fffffff, v8
	v_trig_preop_f64 v[22:23], |v[7:8]|, 2
	s_mov_b32 s0, 0
	s_mov_b32 s1, 0x7ff00000
	v_mov_b32_e32 v33, 0x40100000
	v_mov_b32_e32 v32, 0
	v_cndmask_b32_e32 v14, v16, v14, vcc
	v_cndmask_b32_e32 v13, v7, v13, vcc
	s_mov_b32 s16, 0x33145c07
	v_mul_f64 v[16:17], v[5:6], v[13:14]
	s_mov_b32 s17, 0x3c91a626
	v_mul_f64 v[18:19], v[11:12], v[13:14]
	v_mul_f64 v[28:29], v[22:23], v[13:14]
	v_fma_f64 v[5:6], v[5:6], v[13:14], -v[16:17]
	v_fma_f64 v[11:12], v[11:12], v[13:14], -v[18:19]
	;; [unrolled: 1-line block ×3, first 2 shown]
	v_add_f64 v[20:21], v[18:19], v[5:6]
	v_add_f64 v[24:25], v[20:21], -v[18:19]
	v_add_f64 v[30:31], v[16:17], v[20:21]
	v_add_f64 v[26:27], v[20:21], -v[24:25]
	v_add_f64 v[5:6], v[5:6], -v[24:25]
	v_add_f64 v[24:25], v[28:29], v[11:12]
	v_add_f64 v[16:17], v[30:31], -v[16:17]
	v_add_f64 v[18:19], v[18:19], -v[26:27]
	v_ldexp_f64 v[26:27], v[30:31], -2
	v_add_f64 v[34:35], v[24:25], -v[28:29]
	v_add_f64 v[16:17], v[20:21], -v[16:17]
	v_add_f64 v[5:6], v[5:6], v[18:19]
	v_fract_f64_e32 v[18:19], v[26:27]
	v_cmp_neq_f64_e64 vcc, |v[26:27]|, s[0:1]
	v_add_f64 v[11:12], v[11:12], -v[34:35]
	v_add_f64 v[20:21], v[24:25], v[5:6]
	v_ldexp_f64 v[18:19], v[18:19], 2
	v_add_f64 v[26:27], v[16:17], v[20:21]
	v_cndmask_b32_e32 v19, 0, v19, vcc
	v_cndmask_b32_e32 v18, 0, v18, vcc
	v_add_f64 v[36:37], v[20:21], -v[24:25]
	v_add_f64 v[30:31], v[26:27], v[18:19]
	v_add_f64 v[16:17], v[26:27], -v[16:17]
	v_add_f64 v[38:39], v[20:21], -v[36:37]
	;; [unrolled: 1-line block ×3, first 2 shown]
	v_cmp_gt_f64_e32 vcc, 0, v[30:31]
	v_add_f64 v[30:31], v[24:25], -v[34:35]
	v_add_f64 v[16:17], v[20:21], -v[16:17]
	;; [unrolled: 1-line block ×3, first 2 shown]
	v_cndmask_b32_e32 v33, 0, v33, vcc
	v_add_f64 v[18:19], v[18:19], v[32:33]
	v_add_f64 v[30:31], v[28:29], -v[30:31]
	v_add_f64 v[5:6], v[5:6], v[24:25]
	v_add_f64 v[40:41], v[26:27], v[18:19]
	;; [unrolled: 1-line block ×3, first 2 shown]
	v_cvt_i32_f64_e32 v35, v[40:41]
	v_add_f64 v[5:6], v[11:12], v[5:6]
	v_cvt_f64_i32_e32 v[33:34], v35
	v_add_f64 v[18:19], v[18:19], -v[33:34]
	v_add_f64 v[5:6], v[13:14], v[5:6]
	v_add_f64 v[11:12], v[26:27], v[18:19]
	;; [unrolled: 1-line block ×3, first 2 shown]
	v_add_f64 v[13:14], v[11:12], -v[18:19]
	v_cmp_le_f64_e32 vcc, 0.5, v[11:12]
	v_add_f64 v[16:17], v[26:27], -v[13:14]
	v_mov_b32_e32 v14, 0x3ff00000
	v_cndmask_b32_e32 v33, 0, v14, vcc
	v_add_f64 v[11:12], v[11:12], -v[32:33]
	v_addc_co_u32_e64 v13, s[0:1], 0, v35, vcc
	s_mov_b32 s0, 0x54442d18
	s_mov_b32 s1, 0x3ff921fb
	v_add_f64 v[5:6], v[5:6], v[16:17]
	v_add_f64 v[16:17], v[11:12], v[5:6]
	v_mul_f64 v[18:19], v[16:17], s[0:1]
	v_add_f64 v[11:12], v[16:17], -v[11:12]
	v_fma_f64 v[20:21], v[16:17], s[0:1], -v[18:19]
	v_add_f64 v[5:6], v[5:6], -v[11:12]
	v_fma_f64 v[11:12], v[16:17], s[16:17], v[20:21]
	v_fma_f64 v[11:12], v[5:6], s[0:1], v[11:12]
	v_add_f64 v[5:6], v[18:19], v[11:12]
	v_add_f64 v[16:17], v[5:6], -v[18:19]
	v_add_f64 v[11:12], v[11:12], -v[16:17]
.LBB1_35:
	s_andn2_saveexec_b64 s[0:1], s[14:15]
	s_cbranch_execz .LBB1_37
; %bb.36:
	s_mov_b32 s14, 0x6dc9c883
	s_mov_b32 s15, 0x3fe45f30
	v_mul_f64 v[5:6], |v[7:8]|, s[14:15]
	s_mov_b32 s14, 0x54442d18
	s_mov_b32 s15, 0xbff921fb
	;; [unrolled: 1-line block ×4, first 2 shown]
	v_rndne_f64_e32 v[13:14], v[5:6]
	v_fma_f64 v[5:6], v[13:14], s[14:15], |v[7:8]|
	v_mul_f64 v[11:12], v[13:14], s[16:17]
	s_mov_b32 s14, 0x252049c0
	s_mov_b32 s15, 0xb97b839a
	v_fma_f64 v[20:21], v[13:14], s[16:17], v[5:6]
	v_add_f64 v[16:17], v[5:6], v[11:12]
	s_mov_b32 s17, 0x3c91a626
	v_add_f64 v[18:19], v[5:6], -v[16:17]
	v_add_f64 v[16:17], v[16:17], -v[20:21]
	v_add_f64 v[5:6], v[18:19], v[11:12]
	v_fma_f64 v[11:12], v[13:14], s[16:17], v[11:12]
	v_add_f64 v[5:6], v[16:17], v[5:6]
	v_add_f64 v[5:6], v[5:6], -v[11:12]
	v_fma_f64 v[11:12], v[13:14], s[14:15], v[5:6]
	v_cvt_i32_f64_e32 v13, v[13:14]
	v_add_f64 v[5:6], v[20:21], v[11:12]
	v_add_f64 v[16:17], v[5:6], -v[20:21]
	v_add_f64 v[11:12], v[11:12], -v[16:17]
.LBB1_37:
	s_or_b64 exec, exec, s[0:1]
	v_mul_f64 v[16:17], v[5:6], v[5:6]
	s_mov_b32 s0, 0xf9a43bb8
	v_mov_b32_e32 v19, 0xb42fdfa7
	v_mov_b32_e32 v20, 0xbe5ae600
	s_mov_b32 s1, 0x3de5e0b2
	s_mov_b32 s14, 0x796cde01
	v_mov_b32_e32 v18, 0x9037ab78
	s_mov_b32 s15, 0x3ec71de3
	v_fma_f64 v[20:21], v[16:17], s[0:1], v[19:20]
	s_mov_b32 s0, 0x46cc5e42
	v_mov_b32_e32 v19, 0x3e21eeb6
	s_mov_b32 s1, 0xbda907db
	v_fma_f64 v[18:19], v[16:17], s[0:1], v[18:19]
	v_mul_f64 v[22:23], v[16:17], 0.5
	s_mov_b32 s0, 0xa17f65f6
	s_mov_b32 s16, 0x19e83e5c
	v_fma_f64 v[20:21], v[16:17], v[20:21], s[14:15]
	s_mov_b32 s1, 0xbe927e4f
	s_mov_b32 s17, 0xbf2a01a0
	s_mov_b32 s14, 0x19f4ec90
	v_fma_f64 v[18:19], v[16:17], v[18:19], s[0:1]
	v_add_f64 v[24:25], -v[22:23], 1.0
	s_mov_b32 s0, 0x11110bb3
	s_mov_b32 s15, 0x3efa01a0
	v_fma_f64 v[20:21], v[16:17], v[20:21], s[16:17]
	s_mov_b32 s1, 0x3f811111
	v_mul_f64 v[26:27], v[11:12], 0.5
	v_mul_f64 v[28:29], v[5:6], -v[16:17]
	v_fma_f64 v[18:19], v[16:17], v[18:19], s[14:15]
	v_add_f64 v[30:31], -v[24:25], 1.0
	v_fma_f64 v[20:21], v[16:17], v[20:21], s[0:1]
	s_mov_b32 s0, 0x16c16967
	s_mov_b32 s1, 0xbf56c16c
	v_fma_f64 v[18:19], v[16:17], v[18:19], s[0:1]
	v_add_f64 v[22:23], v[30:31], -v[22:23]
	s_mov_b32 s1, 0x3fa55555
	s_mov_b32 s0, 0x55555555
	v_fma_f64 v[20:21], v[28:29], v[20:21], v[26:27]
	v_mul_f64 v[26:27], v[16:17], v[16:17]
	v_fma_f64 v[18:19], v[16:17], v[18:19], s[0:1]
	v_fma_f64 v[22:23], v[5:6], -v[11:12], v[22:23]
	s_mov_b32 s1, 0xbfc55555
	v_fma_f64 v[11:12], v[16:17], v[20:21], -v[11:12]
	v_fma_f64 v[16:17], v[26:27], v[18:19], v[22:23]
	v_fma_f64 v[11:12], v[28:29], s[0:1], v[11:12]
	s_movk_i32 s0, 0x1f8
	v_cmp_class_f64_e64 s[0:1], v[7:8], s0
	v_add_f64 v[16:17], v[24:25], v[16:17]
	v_add_f64 v[5:6], v[5:6], -v[11:12]
	v_and_b32_e32 v11, 1, v13
	v_cmp_eq_u32_e32 vcc, 0, v11
	v_lshlrev_b32_e32 v11, 30, v13
	v_xor_b32_e32 v11, v11, v8
	v_and_b32_e32 v11, 0x80000000, v11
	v_mov_b32_e32 v12, 0x7ff80000
	v_cndmask_b32_e32 v6, v17, v6, vcc
	v_cndmask_b32_e32 v5, v16, v5, vcc
	v_xor_b32_e32 v6, v6, v11
	v_cndmask_b32_e64 v5, 0, v5, s[0:1]
	v_cndmask_b32_e64 v6, v12, v6, s[0:1]
	v_div_scale_f64 v[11:12], s[0:1], v[7:8], v[7:8], v[5:6]
	v_div_scale_f64 v[18:19], vcc, v[5:6], v[7:8], v[5:6]
	v_rcp_f64_e32 v[13:14], v[11:12]
	v_fma_f64 v[16:17], -v[11:12], v[13:14], 1.0
	v_fma_f64 v[13:14], v[13:14], v[16:17], v[13:14]
	v_fma_f64 v[16:17], -v[11:12], v[13:14], 1.0
	v_fma_f64 v[13:14], v[13:14], v[16:17], v[13:14]
	v_mul_f64 v[16:17], v[18:19], v[13:14]
	v_fma_f64 v[11:12], -v[11:12], v[16:17], v[18:19]
	v_div_fmas_f64 v[11:12], v[11:12], v[13:14], v[16:17]
	v_div_fixup_f64 v[11:12], v[11:12], v[7:8], v[5:6]
                                        ; implicit-def: $vgpr7_vgpr8
.LBB1_38:
	s_andn2_saveexec_b64 s[0:1], s[12:13]
	s_cbranch_execz .LBB1_40
; %bb.39:
	v_mul_f64 v[5:6], v[7:8], v[7:8]
	s_mov_b32 s12, 0x13a86d09
	v_mov_b32_e32 v7, 0x67f544e4
	v_mov_b32_e32 v8, 0xbe5ae645
	s_mov_b32 s13, 0x3de61246
	v_fma_f64 v[7:8], v[5:6], s[12:13], v[7:8]
	s_mov_b32 s12, 0xa556c734
	s_mov_b32 s13, 0x3ec71de3
	v_fma_f64 v[7:8], v[5:6], v[7:8], s[12:13]
	s_mov_b32 s12, 0x1a01a01a
	;; [unrolled: 3-line block ×4, first 2 shown]
	s_mov_b32 s13, 0xbfc55555
	v_fma_f64 v[7:8], v[5:6], v[7:8], s[12:13]
	v_fma_f64 v[11:12], v[5:6], v[7:8], 1.0
.LBB1_40:
	s_or_b64 exec, exec, s[0:1]
.LBB1_41:
	s_or_b64 exec, exec, s[6:7]
	s_add_u32 s0, s8, s2
	s_addc_u32 s1, s9, s3
	global_store_dwordx4 v15, v[1:4], s[0:1]
	global_store_dwordx4 v15, v[9:12], s[0:1] offset:16
	s_mov_b64 s[0:1], 0
.LBB1_42:
	s_and_b64 vcc, exec, s[0:1]
	s_cbranch_vccz .LBB1_93
; %bb.43:
	v_mov_b32_e32 v14, 0
	v_mov_b32_e32 v16, 0
	v_cmp_gt_i32_e64 s[0:1], s18, v0
	v_mov_b32_e32 v15, 0
	v_or_b32_e32 v1, s4, v0
	v_mov_b32_e32 v17, 0
	v_mov_b32_e32 v4, v0
	s_and_saveexec_b64 s[2:3], s[0:1]
	s_cbranch_execz .LBB1_45
; %bb.44:
	v_mov_b32_e32 v2, 0
	v_lshlrev_b64 v[2:3], 3, v[1:2]
	v_mov_b32_e32 v4, s11
	v_add_co_u32_e32 v2, vcc, s10, v2
	v_addc_co_u32_e32 v3, vcc, v4, v3, vcc
	global_load_dwordx2 v[16:17], v[2:3], off
	v_or_b32_e32 v4, 0x100, v0
.LBB1_45:
	s_or_b64 exec, exec, s[2:3]
	v_cmp_gt_i32_e32 vcc, s18, v4
	s_and_saveexec_b64 s[2:3], vcc
	s_cbranch_execz .LBB1_47
; %bb.46:
	v_add_u32_e32 v2, s4, v4
	v_mov_b32_e32 v3, 0
	v_lshlrev_b64 v[2:3], 3, v[2:3]
	v_mov_b32_e32 v5, s11
	v_add_co_u32_e32 v2, vcc, s10, v2
	v_addc_co_u32_e32 v3, vcc, v5, v3, vcc
	global_load_dwordx2 v[14:15], v[2:3], off
	v_add_u32_e32 v4, 0x100, v4
.LBB1_47:
	s_or_b64 exec, exec, s[2:3]
	v_mov_b32_e32 v2, 0
	v_mov_b32_e32 v6, 0
	;; [unrolled: 1-line block ×4, first 2 shown]
	v_cmp_gt_i32_e32 vcc, s18, v4
	s_and_saveexec_b64 s[2:3], vcc
	s_cbranch_execz .LBB1_49
; %bb.48:
	v_add_u32_e32 v5, s4, v4
	v_mov_b32_e32 v6, 0
	v_lshlrev_b64 v[5:6], 3, v[5:6]
	v_mov_b32_e32 v7, s11
	v_add_co_u32_e32 v5, vcc, s10, v5
	v_addc_co_u32_e32 v6, vcc, v7, v6, vcc
	global_load_dwordx2 v[6:7], v[5:6], off
	v_add_u32_e32 v4, 0x100, v4
.LBB1_49:
	s_or_b64 exec, exec, s[2:3]
	v_cmp_gt_i32_e32 vcc, s18, v4
	s_and_saveexec_b64 s[2:3], vcc
	s_cbranch_execz .LBB1_51
; %bb.50:
	v_add_u32_e32 v2, s4, v4
	v_mov_b32_e32 v3, 0
	v_lshlrev_b64 v[2:3], 3, v[2:3]
	v_mov_b32_e32 v4, s11
	v_add_co_u32_e32 v2, vcc, s10, v2
	v_addc_co_u32_e32 v3, vcc, v4, v3, vcc
	global_load_dwordx2 v[2:3], v[2:3], off
.LBB1_51:
	s_or_b64 exec, exec, s[2:3]
	v_mov_b32_e32 v4, 0
	v_mov_b32_e32 v5, v4
	;; [unrolled: 1-line block ×8, first 2 shown]
	s_and_saveexec_b64 s[6:7], s[0:1]
	s_cbranch_execz .LBB1_63
; %bb.52:
	s_mov_b32 s2, 0
	s_mov_b32 s3, 0x7ff00000
	s_waitcnt vmcnt(0)
	v_cmp_neq_f64_e64 s[2:3], |v[16:17]|, s[2:3]
	v_mov_b32_e32 v4, 0
	v_mov_b32_e32 v5, 0
	s_and_saveexec_b64 s[10:11], s[2:3]
	s_cbranch_execz .LBB1_62
; %bb.53:
	v_cmp_nlt_f64_e64 s[2:3], |v[16:17]|, 0.5
                                        ; implicit-def: $vgpr4_vgpr5
	s_and_saveexec_b64 s[12:13], s[2:3]
	s_xor_b64 s[12:13], exec, s[12:13]
	s_cbranch_execz .LBB1_59
; %bb.54:
	s_mov_b32 s2, 0
	s_mov_b32 s3, 0x41d00000
	v_cmp_nlt_f64_e64 s[2:3], |v[16:17]|, s[2:3]
                                        ; implicit-def: $vgpr10
                                        ; implicit-def: $vgpr4_vgpr5
                                        ; implicit-def: $vgpr8_vgpr9
	s_and_saveexec_b64 s[14:15], s[2:3]
	s_xor_b64 s[14:15], exec, s[14:15]
	s_cbranch_execz .LBB1_56
; %bb.55:
	v_trig_preop_f64 v[4:5], |v[16:17]|, 0
	s_mov_b32 s2, 0
	s_mov_b32 s3, 0x7b000000
	s_movk_i32 s5, 0xff80
	v_ldexp_f64 v[10:11], |v[16:17]|, s5
	v_cmp_ge_f64_e64 vcc, |v[16:17]|, s[2:3]
	v_trig_preop_f64 v[8:9], |v[16:17]|, 1
	v_and_b32_e32 v12, 0x7fffffff, v17
	v_trig_preop_f64 v[22:23], |v[16:17]|, 2
	s_mov_b32 s2, 0
	s_mov_b32 s3, 0x7ff00000
	v_mov_b32_e32 v33, 0x40100000
	v_mov_b32_e32 v32, 0
	v_cndmask_b32_e32 v11, v12, v11, vcc
	v_cndmask_b32_e32 v10, v16, v10, vcc
	s_mov_b32 s16, 0x33145c07
	v_mul_f64 v[12:13], v[4:5], v[10:11]
	s_mov_b32 s17, 0x3c91a626
	v_mul_f64 v[18:19], v[8:9], v[10:11]
	v_mul_f64 v[28:29], v[22:23], v[10:11]
	v_fma_f64 v[4:5], v[4:5], v[10:11], -v[12:13]
	v_fma_f64 v[8:9], v[8:9], v[10:11], -v[18:19]
	;; [unrolled: 1-line block ×3, first 2 shown]
	v_add_f64 v[20:21], v[18:19], v[4:5]
	v_add_f64 v[24:25], v[20:21], -v[18:19]
	v_add_f64 v[30:31], v[12:13], v[20:21]
	v_add_f64 v[26:27], v[20:21], -v[24:25]
	v_add_f64 v[4:5], v[4:5], -v[24:25]
	v_add_f64 v[24:25], v[28:29], v[8:9]
	v_add_f64 v[12:13], v[30:31], -v[12:13]
	v_add_f64 v[18:19], v[18:19], -v[26:27]
	v_ldexp_f64 v[26:27], v[30:31], -2
	v_add_f64 v[34:35], v[24:25], -v[28:29]
	v_add_f64 v[12:13], v[20:21], -v[12:13]
	v_add_f64 v[4:5], v[4:5], v[18:19]
	v_fract_f64_e32 v[18:19], v[26:27]
	v_cmp_neq_f64_e64 vcc, |v[26:27]|, s[2:3]
	v_add_f64 v[8:9], v[8:9], -v[34:35]
	v_add_f64 v[20:21], v[24:25], v[4:5]
	v_ldexp_f64 v[18:19], v[18:19], 2
	v_add_f64 v[26:27], v[12:13], v[20:21]
	v_cndmask_b32_e32 v19, 0, v19, vcc
	v_cndmask_b32_e32 v18, 0, v18, vcc
	v_add_f64 v[36:37], v[20:21], -v[24:25]
	v_add_f64 v[30:31], v[26:27], v[18:19]
	v_add_f64 v[12:13], v[26:27], -v[12:13]
	v_add_f64 v[38:39], v[20:21], -v[36:37]
	;; [unrolled: 1-line block ×3, first 2 shown]
	v_cmp_gt_f64_e32 vcc, 0, v[30:31]
	v_add_f64 v[30:31], v[24:25], -v[34:35]
	v_add_f64 v[12:13], v[20:21], -v[12:13]
	;; [unrolled: 1-line block ×3, first 2 shown]
	v_cndmask_b32_e32 v33, 0, v33, vcc
	v_add_f64 v[18:19], v[18:19], v[32:33]
	v_add_f64 v[30:31], v[28:29], -v[30:31]
	v_add_f64 v[4:5], v[4:5], v[24:25]
	v_add_f64 v[40:41], v[26:27], v[18:19]
	;; [unrolled: 1-line block ×3, first 2 shown]
	v_cvt_i32_f64_e32 v35, v[40:41]
	v_add_f64 v[4:5], v[8:9], v[4:5]
	v_cvt_f64_i32_e32 v[33:34], v35
	v_add_f64 v[18:19], v[18:19], -v[33:34]
	v_add_f64 v[4:5], v[10:11], v[4:5]
	v_add_f64 v[8:9], v[26:27], v[18:19]
	;; [unrolled: 1-line block ×3, first 2 shown]
	v_mov_b32_e32 v13, 0x3ff00000
	v_add_f64 v[10:11], v[8:9], -v[18:19]
	v_cmp_le_f64_e32 vcc, 0.5, v[8:9]
	v_add_f64 v[11:12], v[26:27], -v[10:11]
	v_cndmask_b32_e32 v33, 0, v13, vcc
	v_add_f64 v[8:9], v[8:9], -v[32:33]
	v_addc_co_u32_e64 v10, s[2:3], 0, v35, vcc
	s_mov_b32 s2, 0x54442d18
	s_mov_b32 s3, 0x3ff921fb
	v_add_f64 v[4:5], v[4:5], v[11:12]
	v_add_f64 v[11:12], v[8:9], v[4:5]
	v_mul_f64 v[18:19], v[11:12], s[2:3]
	v_add_f64 v[8:9], v[11:12], -v[8:9]
	v_fma_f64 v[20:21], v[11:12], s[2:3], -v[18:19]
	v_add_f64 v[4:5], v[4:5], -v[8:9]
	v_fma_f64 v[8:9], v[11:12], s[16:17], v[20:21]
	v_fma_f64 v[8:9], v[4:5], s[2:3], v[8:9]
	v_add_f64 v[4:5], v[18:19], v[8:9]
	v_add_f64 v[11:12], v[4:5], -v[18:19]
	v_add_f64 v[8:9], v[8:9], -v[11:12]
.LBB1_56:
	s_andn2_saveexec_b64 s[2:3], s[14:15]
	s_cbranch_execz .LBB1_58
; %bb.57:
	s_mov_b32 s14, 0x6dc9c883
	s_mov_b32 s15, 0x3fe45f30
	v_mul_f64 v[4:5], |v[16:17]|, s[14:15]
	s_mov_b32 s14, 0x54442d18
	s_mov_b32 s15, 0xbff921fb
	;; [unrolled: 1-line block ×4, first 2 shown]
	v_rndne_f64_e32 v[10:11], v[4:5]
	v_fma_f64 v[4:5], v[10:11], s[14:15], |v[16:17]|
	v_mul_f64 v[8:9], v[10:11], s[16:17]
	s_mov_b32 s14, 0x252049c0
	s_mov_b32 s15, 0xb97b839a
	v_fma_f64 v[20:21], v[10:11], s[16:17], v[4:5]
	v_add_f64 v[12:13], v[4:5], v[8:9]
	s_mov_b32 s17, 0x3c91a626
	v_add_f64 v[18:19], v[4:5], -v[12:13]
	v_add_f64 v[12:13], v[12:13], -v[20:21]
	v_add_f64 v[4:5], v[18:19], v[8:9]
	v_fma_f64 v[8:9], v[10:11], s[16:17], v[8:9]
	v_add_f64 v[4:5], v[12:13], v[4:5]
	v_add_f64 v[4:5], v[4:5], -v[8:9]
	v_fma_f64 v[8:9], v[10:11], s[14:15], v[4:5]
	v_cvt_i32_f64_e32 v10, v[10:11]
	v_add_f64 v[4:5], v[20:21], v[8:9]
	v_add_f64 v[12:13], v[4:5], -v[20:21]
	v_add_f64 v[8:9], v[8:9], -v[12:13]
.LBB1_58:
	s_or_b64 exec, exec, s[2:3]
	v_mul_f64 v[11:12], v[4:5], v[4:5]
	s_mov_b32 s2, 0xf9a43bb8
	v_mov_b32_e32 v19, 0xb42fdfa7
	v_mov_b32_e32 v20, 0xbe5ae600
	s_mov_b32 s3, 0x3de5e0b2
	s_mov_b32 s14, 0x796cde01
	v_mov_b32_e32 v18, 0x9037ab78
	s_mov_b32 s15, 0x3ec71de3
	v_fma_f64 v[20:21], v[11:12], s[2:3], v[19:20]
	s_mov_b32 s2, 0x46cc5e42
	v_mov_b32_e32 v19, 0x3e21eeb6
	s_mov_b32 s3, 0xbda907db
	v_fma_f64 v[18:19], v[11:12], s[2:3], v[18:19]
	v_mul_f64 v[22:23], v[11:12], 0.5
	s_mov_b32 s2, 0xa17f65f6
	s_mov_b32 s16, 0x19e83e5c
	v_fma_f64 v[20:21], v[11:12], v[20:21], s[14:15]
	s_mov_b32 s3, 0xbe927e4f
	s_mov_b32 s17, 0xbf2a01a0
	;; [unrolled: 1-line block ×3, first 2 shown]
	v_fma_f64 v[18:19], v[11:12], v[18:19], s[2:3]
	v_add_f64 v[24:25], -v[22:23], 1.0
	s_mov_b32 s2, 0x11110bb3
	s_mov_b32 s15, 0x3efa01a0
	v_fma_f64 v[20:21], v[11:12], v[20:21], s[16:17]
	s_mov_b32 s3, 0x3f811111
	v_mul_f64 v[26:27], v[8:9], 0.5
	v_mul_f64 v[28:29], v[4:5], -v[11:12]
	v_fma_f64 v[18:19], v[11:12], v[18:19], s[14:15]
	v_add_f64 v[30:31], -v[24:25], 1.0
	v_fma_f64 v[20:21], v[11:12], v[20:21], s[2:3]
	s_mov_b32 s2, 0x16c16967
	s_mov_b32 s3, 0xbf56c16c
	v_fma_f64 v[18:19], v[11:12], v[18:19], s[2:3]
	v_add_f64 v[22:23], v[30:31], -v[22:23]
	s_mov_b32 s3, 0x3fa55555
	s_mov_b32 s2, 0x55555555
	v_fma_f64 v[20:21], v[28:29], v[20:21], v[26:27]
	v_mul_f64 v[26:27], v[11:12], v[11:12]
	v_fma_f64 v[18:19], v[11:12], v[18:19], s[2:3]
	v_fma_f64 v[22:23], v[4:5], -v[8:9], v[22:23]
	s_mov_b32 s3, 0xbfc55555
	v_fma_f64 v[8:9], v[11:12], v[20:21], -v[8:9]
	v_fma_f64 v[11:12], v[26:27], v[18:19], v[22:23]
	v_fma_f64 v[8:9], v[28:29], s[2:3], v[8:9]
	s_movk_i32 s2, 0x1f8
	v_cmp_class_f64_e64 s[2:3], v[16:17], s2
	v_add_f64 v[11:12], v[24:25], v[11:12]
	v_add_f64 v[4:5], v[4:5], -v[8:9]
	v_and_b32_e32 v8, 1, v10
	v_cmp_eq_u32_e32 vcc, 0, v8
	v_lshlrev_b32_e32 v8, 30, v10
	v_xor_b32_e32 v8, v8, v17
	v_and_b32_e32 v8, 0x80000000, v8
	v_mov_b32_e32 v9, 0x7ff80000
	v_cndmask_b32_e32 v5, v12, v5, vcc
	v_cndmask_b32_e32 v4, v11, v4, vcc
	v_xor_b32_e32 v5, v5, v8
	v_cndmask_b32_e64 v4, 0, v4, s[2:3]
	v_cndmask_b32_e64 v5, v9, v5, s[2:3]
	v_div_scale_f64 v[8:9], s[2:3], v[16:17], v[16:17], v[4:5]
	v_div_scale_f64 v[18:19], vcc, v[4:5], v[16:17], v[4:5]
	v_rcp_f64_e32 v[10:11], v[8:9]
	v_fma_f64 v[12:13], -v[8:9], v[10:11], 1.0
	v_fma_f64 v[10:11], v[10:11], v[12:13], v[10:11]
	v_fma_f64 v[12:13], -v[8:9], v[10:11], 1.0
	v_fma_f64 v[10:11], v[10:11], v[12:13], v[10:11]
	v_mul_f64 v[12:13], v[18:19], v[10:11]
	v_fma_f64 v[8:9], -v[8:9], v[12:13], v[18:19]
	v_div_fmas_f64 v[8:9], v[8:9], v[10:11], v[12:13]
	v_div_fixup_f64 v[4:5], v[8:9], v[16:17], v[4:5]
                                        ; implicit-def: $vgpr16_vgpr17
.LBB1_59:
	s_andn2_saveexec_b64 s[2:3], s[12:13]
	s_cbranch_execz .LBB1_61
; %bb.60:
	v_mul_f64 v[4:5], v[16:17], v[16:17]
	s_mov_b32 s12, 0x13a86d09
	v_mov_b32_e32 v8, 0x67f544e4
	v_mov_b32_e32 v9, 0xbe5ae645
	s_mov_b32 s13, 0x3de61246
	v_fma_f64 v[8:9], v[4:5], s[12:13], v[8:9]
	s_mov_b32 s12, 0xa556c734
	s_mov_b32 s13, 0x3ec71de3
	v_fma_f64 v[8:9], v[4:5], v[8:9], s[12:13]
	s_mov_b32 s12, 0x1a01a01a
	;; [unrolled: 3-line block ×4, first 2 shown]
	s_mov_b32 s13, 0xbfc55555
	v_fma_f64 v[8:9], v[4:5], v[8:9], s[12:13]
	v_fma_f64 v[4:5], v[4:5], v[8:9], 1.0
.LBB1_61:
	s_or_b64 exec, exec, s[2:3]
.LBB1_62:
	s_or_b64 exec, exec, s[10:11]
	v_mov_b32_e32 v12, 0
	v_mov_b32_e32 v13, v12
	;; [unrolled: 1-line block ×6, first 2 shown]
.LBB1_63:
	s_or_b64 exec, exec, s[6:7]
	v_or_b32_e32 v18, 0x100, v0
	v_cmp_gt_i32_e32 vcc, s18, v18
	s_and_saveexec_b64 s[6:7], vcc
	s_cbranch_execz .LBB1_75
; %bb.64:
	s_mov_b32 s2, 0
	s_mov_b32 s3, 0x7ff00000
	s_waitcnt vmcnt(0)
	v_cmp_neq_f64_e64 s[2:3], |v[14:15]|, s[2:3]
	v_mov_b32_e32 v12, 0
	v_mov_b32_e32 v13, 0
	s_and_saveexec_b64 s[10:11], s[2:3]
	s_cbranch_execz .LBB1_74
; %bb.65:
	v_cmp_nlt_f64_e64 s[2:3], |v[14:15]|, 0.5
	s_and_saveexec_b64 s[12:13], s[2:3]
	s_xor_b64 s[12:13], exec, s[12:13]
                                        ; implicit-def: $vgpr12_vgpr13
	s_cbranch_execz .LBB1_71
; %bb.66:
	s_mov_b32 s2, 0
	s_mov_b32 s3, 0x41d00000
	v_cmp_nlt_f64_e64 s[2:3], |v[14:15]|, s[2:3]
                                        ; implicit-def: $vgpr19
                                        ; implicit-def: $vgpr12_vgpr13
                                        ; implicit-def: $vgpr16_vgpr17
	s_and_saveexec_b64 s[14:15], s[2:3]
	s_xor_b64 s[2:3], exec, s[14:15]
	s_cbranch_execz .LBB1_68
; %bb.67:
	v_trig_preop_f64 v[12:13], |v[14:15]|, 0
	s_mov_b32 s14, 0
	s_mov_b32 s15, 0x7b000000
	s_movk_i32 s5, 0xff80
	v_ldexp_f64 v[19:20], |v[14:15]|, s5
	v_cmp_ge_f64_e64 vcc, |v[14:15]|, s[14:15]
	v_trig_preop_f64 v[16:17], |v[14:15]|, 1
	v_and_b32_e32 v21, 0x7fffffff, v15
	v_trig_preop_f64 v[27:28], |v[14:15]|, 2
	s_mov_b32 s14, 0
	s_mov_b32 s15, 0x7ff00000
	v_mov_b32_e32 v38, 0x40100000
	v_mov_b32_e32 v37, 0
	v_cndmask_b32_e32 v20, v21, v20, vcc
	v_cndmask_b32_e32 v19, v14, v19, vcc
	s_mov_b32 s16, 0x33145c07
	v_mul_f64 v[21:22], v[12:13], v[19:20]
	s_mov_b32 s17, 0x3c91a626
	v_mul_f64 v[23:24], v[16:17], v[19:20]
	v_mul_f64 v[33:34], v[27:28], v[19:20]
	v_fma_f64 v[12:13], v[12:13], v[19:20], -v[21:22]
	v_fma_f64 v[16:17], v[16:17], v[19:20], -v[23:24]
	;; [unrolled: 1-line block ×3, first 2 shown]
	v_add_f64 v[25:26], v[23:24], v[12:13]
	v_add_f64 v[29:30], v[25:26], -v[23:24]
	v_add_f64 v[35:36], v[21:22], v[25:26]
	v_add_f64 v[31:32], v[25:26], -v[29:30]
	v_add_f64 v[12:13], v[12:13], -v[29:30]
	v_add_f64 v[29:30], v[33:34], v[16:17]
	v_add_f64 v[21:22], v[35:36], -v[21:22]
	v_add_f64 v[23:24], v[23:24], -v[31:32]
	v_ldexp_f64 v[31:32], v[35:36], -2
	v_add_f64 v[39:40], v[29:30], -v[33:34]
	v_add_f64 v[21:22], v[25:26], -v[21:22]
	v_add_f64 v[12:13], v[12:13], v[23:24]
	v_fract_f64_e32 v[23:24], v[31:32]
	v_cmp_neq_f64_e64 vcc, |v[31:32]|, s[14:15]
	v_add_f64 v[16:17], v[16:17], -v[39:40]
	s_mov_b32 s14, 0x54442d18
	s_mov_b32 s15, 0x3ff921fb
	v_add_f64 v[25:26], v[29:30], v[12:13]
	v_ldexp_f64 v[23:24], v[23:24], 2
	v_add_f64 v[31:32], v[21:22], v[25:26]
	v_cndmask_b32_e32 v24, 0, v24, vcc
	v_cndmask_b32_e32 v23, 0, v23, vcc
	v_add_f64 v[41:42], v[25:26], -v[29:30]
	v_add_f64 v[35:36], v[31:32], v[23:24]
	v_add_f64 v[21:22], v[31:32], -v[21:22]
	v_add_f64 v[43:44], v[25:26], -v[41:42]
	;; [unrolled: 1-line block ×3, first 2 shown]
	v_cmp_gt_f64_e32 vcc, 0, v[35:36]
	v_add_f64 v[35:36], v[29:30], -v[39:40]
	v_add_f64 v[21:22], v[25:26], -v[21:22]
	;; [unrolled: 1-line block ×3, first 2 shown]
	v_cndmask_b32_e32 v38, 0, v38, vcc
	v_add_f64 v[23:24], v[23:24], v[37:38]
	v_add_f64 v[35:36], v[33:34], -v[35:36]
	v_add_f64 v[12:13], v[12:13], v[29:30]
	v_add_f64 v[45:46], v[31:32], v[23:24]
	;; [unrolled: 1-line block ×3, first 2 shown]
	v_cvt_i32_f64_e32 v40, v[45:46]
	v_add_f64 v[12:13], v[16:17], v[12:13]
	v_cvt_f64_i32_e32 v[38:39], v40
	v_add_f64 v[23:24], v[23:24], -v[38:39]
	v_add_f64 v[12:13], v[19:20], v[12:13]
	v_add_f64 v[16:17], v[31:32], v[23:24]
	;; [unrolled: 1-line block ×3, first 2 shown]
	v_mov_b32_e32 v21, 0x3ff00000
	v_add_f64 v[19:20], v[16:17], -v[23:24]
	v_cmp_le_f64_e32 vcc, 0.5, v[16:17]
	v_add_f64 v[19:20], v[31:32], -v[19:20]
	v_cndmask_b32_e32 v38, 0, v21, vcc
	v_add_f64 v[16:17], v[16:17], -v[37:38]
	v_add_f64 v[12:13], v[12:13], v[19:20]
	v_add_f64 v[19:20], v[16:17], v[12:13]
	v_mul_f64 v[21:22], v[19:20], s[14:15]
	v_add_f64 v[16:17], v[19:20], -v[16:17]
	v_fma_f64 v[23:24], v[19:20], s[14:15], -v[21:22]
	v_add_f64 v[12:13], v[12:13], -v[16:17]
	v_fma_f64 v[16:17], v[19:20], s[16:17], v[23:24]
	v_fma_f64 v[16:17], v[12:13], s[14:15], v[16:17]
	v_add_f64 v[12:13], v[21:22], v[16:17]
	v_add_f64 v[19:20], v[12:13], -v[21:22]
	v_add_f64 v[16:17], v[16:17], -v[19:20]
	v_addc_co_u32_e32 v19, vcc, 0, v40, vcc
.LBB1_68:
	s_andn2_saveexec_b64 s[2:3], s[2:3]
	s_cbranch_execz .LBB1_70
; %bb.69:
	s_mov_b32 s14, 0x6dc9c883
	s_mov_b32 s15, 0x3fe45f30
	v_mul_f64 v[12:13], |v[14:15]|, s[14:15]
	s_mov_b32 s14, 0x54442d18
	s_mov_b32 s15, 0xbff921fb
	;; [unrolled: 1-line block ×4, first 2 shown]
	v_rndne_f64_e32 v[19:20], v[12:13]
	v_fma_f64 v[12:13], v[19:20], s[14:15], |v[14:15]|
	v_mul_f64 v[16:17], v[19:20], s[16:17]
	s_mov_b32 s14, 0x252049c0
	s_mov_b32 s15, 0xb97b839a
	v_fma_f64 v[25:26], v[19:20], s[16:17], v[12:13]
	v_add_f64 v[21:22], v[12:13], v[16:17]
	s_mov_b32 s17, 0x3c91a626
	v_add_f64 v[23:24], v[12:13], -v[21:22]
	v_add_f64 v[21:22], v[21:22], -v[25:26]
	v_add_f64 v[12:13], v[23:24], v[16:17]
	v_fma_f64 v[16:17], v[19:20], s[16:17], v[16:17]
	v_add_f64 v[12:13], v[21:22], v[12:13]
	v_add_f64 v[12:13], v[12:13], -v[16:17]
	v_fma_f64 v[16:17], v[19:20], s[14:15], v[12:13]
	v_cvt_i32_f64_e32 v19, v[19:20]
	v_add_f64 v[12:13], v[25:26], v[16:17]
	v_add_f64 v[21:22], v[12:13], -v[25:26]
	v_add_f64 v[16:17], v[16:17], -v[21:22]
.LBB1_70:
	s_or_b64 exec, exec, s[2:3]
	v_mul_f64 v[20:21], v[12:13], v[12:13]
	s_mov_b32 s2, 0xf9a43bb8
	v_mov_b32_e32 v23, 0xb42fdfa7
	v_mov_b32_e32 v24, 0xbe5ae600
	s_mov_b32 s3, 0x3de5e0b2
	s_mov_b32 s14, 0x796cde01
	v_mov_b32_e32 v22, 0x9037ab78
	s_mov_b32 s15, 0x3ec71de3
	v_fma_f64 v[24:25], v[20:21], s[2:3], v[23:24]
	s_mov_b32 s2, 0x46cc5e42
	v_mov_b32_e32 v23, 0x3e21eeb6
	s_mov_b32 s3, 0xbda907db
	v_fma_f64 v[22:23], v[20:21], s[2:3], v[22:23]
	v_mul_f64 v[26:27], v[20:21], 0.5
	s_mov_b32 s2, 0xa17f65f6
	s_mov_b32 s16, 0x19e83e5c
	v_fma_f64 v[24:25], v[20:21], v[24:25], s[14:15]
	s_mov_b32 s3, 0xbe927e4f
	s_mov_b32 s17, 0xbf2a01a0
	;; [unrolled: 1-line block ×3, first 2 shown]
	v_fma_f64 v[22:23], v[20:21], v[22:23], s[2:3]
	v_add_f64 v[28:29], -v[26:27], 1.0
	s_mov_b32 s2, 0x11110bb3
	s_mov_b32 s15, 0x3efa01a0
	v_fma_f64 v[24:25], v[20:21], v[24:25], s[16:17]
	s_mov_b32 s3, 0x3f811111
	v_mul_f64 v[30:31], v[16:17], 0.5
	v_mul_f64 v[32:33], v[12:13], -v[20:21]
	v_fma_f64 v[22:23], v[20:21], v[22:23], s[14:15]
	v_add_f64 v[34:35], -v[28:29], 1.0
	v_fma_f64 v[24:25], v[20:21], v[24:25], s[2:3]
	s_mov_b32 s2, 0x16c16967
	s_mov_b32 s3, 0xbf56c16c
	v_fma_f64 v[22:23], v[20:21], v[22:23], s[2:3]
	v_add_f64 v[26:27], v[34:35], -v[26:27]
	s_mov_b32 s3, 0x3fa55555
	s_mov_b32 s2, 0x55555555
	v_fma_f64 v[24:25], v[32:33], v[24:25], v[30:31]
	v_mul_f64 v[30:31], v[20:21], v[20:21]
	v_fma_f64 v[22:23], v[20:21], v[22:23], s[2:3]
	v_fma_f64 v[26:27], v[12:13], -v[16:17], v[26:27]
	s_mov_b32 s3, 0xbfc55555
	v_fma_f64 v[16:17], v[20:21], v[24:25], -v[16:17]
	v_fma_f64 v[20:21], v[30:31], v[22:23], v[26:27]
	v_fma_f64 v[16:17], v[32:33], s[2:3], v[16:17]
	s_movk_i32 s2, 0x1f8
	v_cmp_class_f64_e64 s[2:3], v[14:15], s2
	v_add_f64 v[20:21], v[28:29], v[20:21]
	v_add_f64 v[12:13], v[12:13], -v[16:17]
	v_and_b32_e32 v16, 1, v19
	v_cmp_eq_u32_e32 vcc, 0, v16
	v_lshlrev_b32_e32 v16, 30, v19
	v_xor_b32_e32 v16, v16, v15
	v_and_b32_e32 v16, 0x80000000, v16
	v_mov_b32_e32 v17, 0x7ff80000
	v_cndmask_b32_e32 v13, v21, v13, vcc
	v_cndmask_b32_e32 v12, v20, v12, vcc
	v_xor_b32_e32 v13, v13, v16
	v_cndmask_b32_e64 v12, 0, v12, s[2:3]
	v_cndmask_b32_e64 v13, v17, v13, s[2:3]
	v_div_scale_f64 v[16:17], s[2:3], v[14:15], v[14:15], v[12:13]
	v_div_scale_f64 v[23:24], vcc, v[12:13], v[14:15], v[12:13]
	v_rcp_f64_e32 v[19:20], v[16:17]
	v_fma_f64 v[21:22], -v[16:17], v[19:20], 1.0
	v_fma_f64 v[19:20], v[19:20], v[21:22], v[19:20]
	v_fma_f64 v[21:22], -v[16:17], v[19:20], 1.0
	v_fma_f64 v[19:20], v[19:20], v[21:22], v[19:20]
	v_mul_f64 v[21:22], v[23:24], v[19:20]
	v_fma_f64 v[16:17], -v[16:17], v[21:22], v[23:24]
	v_div_fmas_f64 v[16:17], v[16:17], v[19:20], v[21:22]
	v_div_fixup_f64 v[12:13], v[16:17], v[14:15], v[12:13]
                                        ; implicit-def: $vgpr14_vgpr15
.LBB1_71:
	s_andn2_saveexec_b64 s[2:3], s[12:13]
	s_cbranch_execz .LBB1_73
; %bb.72:
	v_mul_f64 v[12:13], v[14:15], v[14:15]
	s_mov_b32 s12, 0x13a86d09
	v_mov_b32_e32 v14, 0x67f544e4
	v_mov_b32_e32 v15, 0xbe5ae645
	s_mov_b32 s13, 0x3de61246
	v_fma_f64 v[14:15], v[12:13], s[12:13], v[14:15]
	s_mov_b32 s12, 0xa556c734
	s_mov_b32 s13, 0x3ec71de3
	v_fma_f64 v[14:15], v[12:13], v[14:15], s[12:13]
	s_mov_b32 s12, 0x1a01a01a
	;; [unrolled: 3-line block ×4, first 2 shown]
	s_mov_b32 s13, 0xbfc55555
	v_fma_f64 v[14:15], v[12:13], v[14:15], s[12:13]
	v_fma_f64 v[12:13], v[12:13], v[14:15], 1.0
.LBB1_73:
	s_or_b64 exec, exec, s[2:3]
.LBB1_74:
	s_or_b64 exec, exec, s[10:11]
.LBB1_75:
	s_or_b64 exec, exec, s[6:7]
	s_waitcnt vmcnt(0)
	v_or_b32_e32 v14, 0x200, v0
	v_cmp_gt_i32_e32 vcc, s18, v14
	s_and_saveexec_b64 s[6:7], vcc
	s_cbranch_execz .LBB1_87
; %bb.76:
	s_mov_b32 s2, 0
	s_mov_b32 s3, 0x7ff00000
	v_cmp_neq_f64_e64 s[2:3], |v[6:7]|, s[2:3]
	v_mov_b32_e32 v10, 0
	v_mov_b32_e32 v11, 0
	s_and_saveexec_b64 s[10:11], s[2:3]
	s_cbranch_execz .LBB1_86
; %bb.77:
	v_cmp_nlt_f64_e64 s[2:3], |v[6:7]|, 0.5
	s_and_saveexec_b64 s[12:13], s[2:3]
	s_xor_b64 s[12:13], exec, s[12:13]
                                        ; implicit-def: $vgpr10_vgpr11
	s_cbranch_execz .LBB1_83
; %bb.78:
	s_mov_b32 s2, 0
	s_mov_b32 s3, 0x41d00000
	v_cmp_nlt_f64_e64 s[2:3], |v[6:7]|, s[2:3]
                                        ; implicit-def: $vgpr16
                                        ; implicit-def: $vgpr10_vgpr11
                                        ; implicit-def: $vgpr14_vgpr15
	s_and_saveexec_b64 s[14:15], s[2:3]
	s_xor_b64 s[14:15], exec, s[14:15]
	s_cbranch_execz .LBB1_80
; %bb.79:
	v_trig_preop_f64 v[10:11], |v[6:7]|, 0
	s_mov_b32 s2, 0
	s_mov_b32 s3, 0x7b000000
	s_movk_i32 s5, 0xff80
	v_ldexp_f64 v[16:17], |v[6:7]|, s5
	v_cmp_ge_f64_e64 vcc, |v[6:7]|, s[2:3]
	v_trig_preop_f64 v[14:15], |v[6:7]|, 1
	v_and_b32_e32 v19, 0x7fffffff, v7
	v_trig_preop_f64 v[25:26], |v[6:7]|, 2
	s_mov_b32 s2, 0
	s_mov_b32 s3, 0x7ff00000
	v_mov_b32_e32 v36, 0x40100000
	v_mov_b32_e32 v35, 0
	v_cndmask_b32_e32 v17, v19, v17, vcc
	v_cndmask_b32_e32 v16, v6, v16, vcc
	s_mov_b32 s16, 0x33145c07
	v_mul_f64 v[19:20], v[10:11], v[16:17]
	s_mov_b32 s17, 0x3c91a626
	v_mul_f64 v[21:22], v[14:15], v[16:17]
	v_mul_f64 v[31:32], v[25:26], v[16:17]
	v_fma_f64 v[10:11], v[10:11], v[16:17], -v[19:20]
	v_fma_f64 v[14:15], v[14:15], v[16:17], -v[21:22]
	;; [unrolled: 1-line block ×3, first 2 shown]
	v_add_f64 v[23:24], v[21:22], v[10:11]
	v_add_f64 v[27:28], v[23:24], -v[21:22]
	v_add_f64 v[33:34], v[19:20], v[23:24]
	v_add_f64 v[29:30], v[23:24], -v[27:28]
	v_add_f64 v[10:11], v[10:11], -v[27:28]
	v_add_f64 v[27:28], v[31:32], v[14:15]
	v_add_f64 v[19:20], v[33:34], -v[19:20]
	v_add_f64 v[21:22], v[21:22], -v[29:30]
	v_ldexp_f64 v[29:30], v[33:34], -2
	v_add_f64 v[37:38], v[27:28], -v[31:32]
	v_add_f64 v[19:20], v[23:24], -v[19:20]
	v_add_f64 v[10:11], v[10:11], v[21:22]
	v_fract_f64_e32 v[21:22], v[29:30]
	v_cmp_neq_f64_e64 vcc, |v[29:30]|, s[2:3]
	v_add_f64 v[14:15], v[14:15], -v[37:38]
	v_add_f64 v[23:24], v[27:28], v[10:11]
	v_ldexp_f64 v[21:22], v[21:22], 2
	v_add_f64 v[29:30], v[19:20], v[23:24]
	v_cndmask_b32_e32 v22, 0, v22, vcc
	v_cndmask_b32_e32 v21, 0, v21, vcc
	v_add_f64 v[39:40], v[23:24], -v[27:28]
	v_add_f64 v[33:34], v[29:30], v[21:22]
	v_add_f64 v[19:20], v[29:30], -v[19:20]
	v_add_f64 v[41:42], v[23:24], -v[39:40]
	;; [unrolled: 1-line block ×3, first 2 shown]
	v_cmp_gt_f64_e32 vcc, 0, v[33:34]
	v_add_f64 v[33:34], v[27:28], -v[37:38]
	v_add_f64 v[19:20], v[23:24], -v[19:20]
	;; [unrolled: 1-line block ×3, first 2 shown]
	v_cndmask_b32_e32 v36, 0, v36, vcc
	v_add_f64 v[21:22], v[21:22], v[35:36]
	v_add_f64 v[33:34], v[31:32], -v[33:34]
	v_add_f64 v[10:11], v[10:11], v[27:28]
	v_add_f64 v[43:44], v[29:30], v[21:22]
	;; [unrolled: 1-line block ×3, first 2 shown]
	v_cvt_i32_f64_e32 v38, v[43:44]
	v_add_f64 v[10:11], v[14:15], v[10:11]
	v_cvt_f64_i32_e32 v[36:37], v38
	v_add_f64 v[21:22], v[21:22], -v[36:37]
	v_add_f64 v[10:11], v[16:17], v[10:11]
	v_add_f64 v[14:15], v[29:30], v[21:22]
	;; [unrolled: 1-line block ×3, first 2 shown]
	v_add_f64 v[16:17], v[14:15], -v[21:22]
	v_cmp_le_f64_e32 vcc, 0.5, v[14:15]
	v_add_f64 v[19:20], v[29:30], -v[16:17]
	v_mov_b32_e32 v17, 0x3ff00000
	v_cndmask_b32_e32 v36, 0, v17, vcc
	v_add_f64 v[14:15], v[14:15], -v[35:36]
	v_addc_co_u32_e64 v16, s[2:3], 0, v38, vcc
	s_mov_b32 s2, 0x54442d18
	s_mov_b32 s3, 0x3ff921fb
	v_add_f64 v[10:11], v[10:11], v[19:20]
	v_add_f64 v[19:20], v[14:15], v[10:11]
	v_mul_f64 v[21:22], v[19:20], s[2:3]
	v_add_f64 v[14:15], v[19:20], -v[14:15]
	v_fma_f64 v[23:24], v[19:20], s[2:3], -v[21:22]
	v_add_f64 v[10:11], v[10:11], -v[14:15]
	v_fma_f64 v[14:15], v[19:20], s[16:17], v[23:24]
	v_fma_f64 v[14:15], v[10:11], s[2:3], v[14:15]
	v_add_f64 v[10:11], v[21:22], v[14:15]
	v_add_f64 v[19:20], v[10:11], -v[21:22]
	v_add_f64 v[14:15], v[14:15], -v[19:20]
.LBB1_80:
	s_andn2_saveexec_b64 s[2:3], s[14:15]
	s_cbranch_execz .LBB1_82
; %bb.81:
	s_mov_b32 s14, 0x6dc9c883
	s_mov_b32 s15, 0x3fe45f30
	v_mul_f64 v[10:11], |v[6:7]|, s[14:15]
	s_mov_b32 s14, 0x54442d18
	s_mov_b32 s15, 0xbff921fb
	;; [unrolled: 1-line block ×4, first 2 shown]
	v_rndne_f64_e32 v[16:17], v[10:11]
	v_fma_f64 v[10:11], v[16:17], s[14:15], |v[6:7]|
	v_mul_f64 v[14:15], v[16:17], s[16:17]
	s_mov_b32 s14, 0x252049c0
	s_mov_b32 s15, 0xb97b839a
	v_fma_f64 v[23:24], v[16:17], s[16:17], v[10:11]
	v_add_f64 v[19:20], v[10:11], v[14:15]
	s_mov_b32 s17, 0x3c91a626
	v_add_f64 v[21:22], v[10:11], -v[19:20]
	v_add_f64 v[19:20], v[19:20], -v[23:24]
	v_add_f64 v[10:11], v[21:22], v[14:15]
	v_fma_f64 v[14:15], v[16:17], s[16:17], v[14:15]
	v_add_f64 v[10:11], v[19:20], v[10:11]
	v_add_f64 v[10:11], v[10:11], -v[14:15]
	v_fma_f64 v[14:15], v[16:17], s[14:15], v[10:11]
	v_cvt_i32_f64_e32 v16, v[16:17]
	v_add_f64 v[10:11], v[23:24], v[14:15]
	v_add_f64 v[19:20], v[10:11], -v[23:24]
	v_add_f64 v[14:15], v[14:15], -v[19:20]
.LBB1_82:
	s_or_b64 exec, exec, s[2:3]
	v_mul_f64 v[19:20], v[10:11], v[10:11]
	s_mov_b32 s2, 0xf9a43bb8
	v_mov_b32_e32 v22, 0xb42fdfa7
	v_mov_b32_e32 v23, 0xbe5ae600
	s_mov_b32 s3, 0x3de5e0b2
	s_mov_b32 s14, 0x796cde01
	v_mov_b32_e32 v21, 0x9037ab78
	s_mov_b32 s15, 0x3ec71de3
	v_fma_f64 v[23:24], v[19:20], s[2:3], v[22:23]
	s_mov_b32 s2, 0x46cc5e42
	v_mov_b32_e32 v22, 0x3e21eeb6
	s_mov_b32 s3, 0xbda907db
	v_fma_f64 v[21:22], v[19:20], s[2:3], v[21:22]
	v_mul_f64 v[25:26], v[19:20], 0.5
	s_mov_b32 s2, 0xa17f65f6
	s_mov_b32 s16, 0x19e83e5c
	v_fma_f64 v[23:24], v[19:20], v[23:24], s[14:15]
	s_mov_b32 s3, 0xbe927e4f
	s_mov_b32 s17, 0xbf2a01a0
	;; [unrolled: 1-line block ×3, first 2 shown]
	v_fma_f64 v[21:22], v[19:20], v[21:22], s[2:3]
	v_add_f64 v[27:28], -v[25:26], 1.0
	s_mov_b32 s2, 0x11110bb3
	s_mov_b32 s15, 0x3efa01a0
	v_fma_f64 v[23:24], v[19:20], v[23:24], s[16:17]
	s_mov_b32 s3, 0x3f811111
	v_mul_f64 v[29:30], v[14:15], 0.5
	v_mul_f64 v[31:32], v[10:11], -v[19:20]
	v_fma_f64 v[21:22], v[19:20], v[21:22], s[14:15]
	v_add_f64 v[33:34], -v[27:28], 1.0
	v_fma_f64 v[23:24], v[19:20], v[23:24], s[2:3]
	s_mov_b32 s2, 0x16c16967
	s_mov_b32 s3, 0xbf56c16c
	v_fma_f64 v[21:22], v[19:20], v[21:22], s[2:3]
	v_add_f64 v[25:26], v[33:34], -v[25:26]
	s_mov_b32 s3, 0x3fa55555
	s_mov_b32 s2, 0x55555555
	v_fma_f64 v[23:24], v[31:32], v[23:24], v[29:30]
	v_mul_f64 v[29:30], v[19:20], v[19:20]
	v_fma_f64 v[21:22], v[19:20], v[21:22], s[2:3]
	v_fma_f64 v[25:26], v[10:11], -v[14:15], v[25:26]
	s_mov_b32 s3, 0xbfc55555
	v_fma_f64 v[14:15], v[19:20], v[23:24], -v[14:15]
	v_fma_f64 v[19:20], v[29:30], v[21:22], v[25:26]
	v_fma_f64 v[14:15], v[31:32], s[2:3], v[14:15]
	s_movk_i32 s2, 0x1f8
	v_cmp_class_f64_e64 s[2:3], v[6:7], s2
	v_add_f64 v[19:20], v[27:28], v[19:20]
	v_add_f64 v[10:11], v[10:11], -v[14:15]
	v_and_b32_e32 v14, 1, v16
	v_cmp_eq_u32_e32 vcc, 0, v14
	v_lshlrev_b32_e32 v14, 30, v16
	v_xor_b32_e32 v14, v14, v7
	v_and_b32_e32 v14, 0x80000000, v14
	v_mov_b32_e32 v15, 0x7ff80000
	v_cndmask_b32_e32 v11, v20, v11, vcc
	v_cndmask_b32_e32 v10, v19, v10, vcc
	v_xor_b32_e32 v11, v11, v14
	v_cndmask_b32_e64 v10, 0, v10, s[2:3]
	v_cndmask_b32_e64 v11, v15, v11, s[2:3]
	v_div_scale_f64 v[14:15], s[2:3], v[6:7], v[6:7], v[10:11]
	v_div_scale_f64 v[21:22], vcc, v[10:11], v[6:7], v[10:11]
	v_rcp_f64_e32 v[16:17], v[14:15]
	v_fma_f64 v[19:20], -v[14:15], v[16:17], 1.0
	v_fma_f64 v[16:17], v[16:17], v[19:20], v[16:17]
	v_fma_f64 v[19:20], -v[14:15], v[16:17], 1.0
	v_fma_f64 v[16:17], v[16:17], v[19:20], v[16:17]
	v_mul_f64 v[19:20], v[21:22], v[16:17]
	v_fma_f64 v[14:15], -v[14:15], v[19:20], v[21:22]
	v_div_fmas_f64 v[14:15], v[14:15], v[16:17], v[19:20]
	v_div_fixup_f64 v[10:11], v[14:15], v[6:7], v[10:11]
                                        ; implicit-def: $vgpr6_vgpr7
.LBB1_83:
	s_andn2_saveexec_b64 s[2:3], s[12:13]
	s_cbranch_execz .LBB1_85
; %bb.84:
	v_mul_f64 v[6:7], v[6:7], v[6:7]
	s_mov_b32 s12, 0x13a86d09
	v_mov_b32_e32 v10, 0x67f544e4
	v_mov_b32_e32 v11, 0xbe5ae645
	s_mov_b32 s13, 0x3de61246
	v_fma_f64 v[10:11], v[6:7], s[12:13], v[10:11]
	s_mov_b32 s12, 0xa556c734
	s_mov_b32 s13, 0x3ec71de3
	v_fma_f64 v[10:11], v[6:7], v[10:11], s[12:13]
	s_mov_b32 s12, 0x1a01a01a
	;; [unrolled: 3-line block ×4, first 2 shown]
	s_mov_b32 s13, 0xbfc55555
	v_fma_f64 v[10:11], v[6:7], v[10:11], s[12:13]
	v_fma_f64 v[10:11], v[6:7], v[10:11], 1.0
.LBB1_85:
	s_or_b64 exec, exec, s[2:3]
.LBB1_86:
	s_or_b64 exec, exec, s[10:11]
.LBB1_87:
	s_or_b64 exec, exec, s[6:7]
	v_or_b32_e32 v6, 0x300, v0
	v_cmp_gt_i32_e32 vcc, s18, v6
	s_and_saveexec_b64 s[6:7], vcc
	s_cbranch_execnz .LBB1_94
; %bb.88:
	s_or_b64 exec, exec, s[6:7]
	s_and_saveexec_b64 s[2:3], s[0:1]
	s_xor_b64 s[0:1], exec, s[2:3]
	s_cbranch_execnz .LBB1_105
.LBB1_89:
	s_or_b64 exec, exec, s[0:1]
	v_cmp_gt_i32_e32 vcc, s18, v0
	s_and_saveexec_b64 s[0:1], vcc
	s_cbranch_execnz .LBB1_106
.LBB1_90:
	s_or_b64 exec, exec, s[0:1]
	v_cmp_gt_i32_e32 vcc, s18, v0
	s_and_saveexec_b64 s[0:1], vcc
	s_cbranch_execnz .LBB1_107
.LBB1_91:
	s_or_b64 exec, exec, s[0:1]
	v_cmp_gt_i32_e32 vcc, s18, v0
	s_and_saveexec_b64 s[0:1], vcc
	s_cbranch_execz .LBB1_93
.LBB1_92:
	v_add_u32_e32 v0, s4, v0
	v_mov_b32_e32 v1, 0
	v_lshlrev_b64 v[0:1], 3, v[0:1]
	v_mov_b32_e32 v2, s9
	v_add_co_u32_e32 v0, vcc, s8, v0
	v_addc_co_u32_e32 v1, vcc, v2, v1, vcc
	global_store_dwordx2 v[0:1], v[8:9], off
.LBB1_93:
	s_endpgm
.LBB1_94:
	s_mov_b32 s2, 0
	s_mov_b32 s3, 0x7ff00000
	v_cmp_neq_f64_e64 s[2:3], |v[2:3]|, s[2:3]
	v_mov_b32_e32 v8, 0
	v_mov_b32_e32 v9, 0
	s_and_saveexec_b64 s[10:11], s[2:3]
	s_cbranch_execz .LBB1_104
; %bb.95:
	v_cmp_nlt_f64_e64 s[2:3], |v[2:3]|, 0.5
	s_and_saveexec_b64 s[12:13], s[2:3]
	s_xor_b64 s[12:13], exec, s[12:13]
                                        ; implicit-def: $vgpr8_vgpr9
	s_cbranch_execz .LBB1_101
; %bb.96:
	s_mov_b32 s2, 0
	s_mov_b32 s3, 0x41d00000
	v_cmp_nlt_f64_e64 s[2:3], |v[2:3]|, s[2:3]
                                        ; implicit-def: $vgpr14
                                        ; implicit-def: $vgpr6_vgpr7
                                        ; implicit-def: $vgpr8_vgpr9
	s_and_saveexec_b64 s[14:15], s[2:3]
	s_xor_b64 s[14:15], exec, s[14:15]
	s_cbranch_execz .LBB1_98
; %bb.97:
	v_trig_preop_f64 v[6:7], |v[2:3]|, 0
	s_mov_b32 s2, 0
	s_mov_b32 s3, 0x7b000000
	s_movk_i32 s5, 0xff80
	v_ldexp_f64 v[14:15], |v[2:3]|, s5
	v_cmp_ge_f64_e64 vcc, |v[2:3]|, s[2:3]
	v_trig_preop_f64 v[8:9], |v[2:3]|, 1
	v_and_b32_e32 v16, 0x7fffffff, v3
	v_trig_preop_f64 v[23:24], |v[2:3]|, 2
	s_mov_b32 s2, 0
	s_mov_b32 s3, 0x7ff00000
	v_mov_b32_e32 v34, 0x40100000
	v_mov_b32_e32 v33, 0
	v_cndmask_b32_e32 v15, v16, v15, vcc
	v_cndmask_b32_e32 v14, v2, v14, vcc
	s_mov_b32 s16, 0x33145c07
	v_mul_f64 v[16:17], v[6:7], v[14:15]
	s_mov_b32 s17, 0x3c91a626
	v_mul_f64 v[19:20], v[8:9], v[14:15]
	v_mul_f64 v[29:30], v[23:24], v[14:15]
	v_fma_f64 v[6:7], v[6:7], v[14:15], -v[16:17]
	v_fma_f64 v[8:9], v[8:9], v[14:15], -v[19:20]
	;; [unrolled: 1-line block ×3, first 2 shown]
	v_add_f64 v[21:22], v[19:20], v[6:7]
	v_add_f64 v[25:26], v[21:22], -v[19:20]
	v_add_f64 v[31:32], v[16:17], v[21:22]
	v_add_f64 v[27:28], v[21:22], -v[25:26]
	v_add_f64 v[6:7], v[6:7], -v[25:26]
	v_add_f64 v[25:26], v[29:30], v[8:9]
	v_add_f64 v[16:17], v[31:32], -v[16:17]
	v_add_f64 v[19:20], v[19:20], -v[27:28]
	v_ldexp_f64 v[27:28], v[31:32], -2
	v_add_f64 v[35:36], v[25:26], -v[29:30]
	v_add_f64 v[16:17], v[21:22], -v[16:17]
	v_add_f64 v[6:7], v[6:7], v[19:20]
	v_fract_f64_e32 v[19:20], v[27:28]
	v_cmp_neq_f64_e64 vcc, |v[27:28]|, s[2:3]
	v_add_f64 v[8:9], v[8:9], -v[35:36]
	v_add_f64 v[21:22], v[25:26], v[6:7]
	v_ldexp_f64 v[19:20], v[19:20], 2
	v_add_f64 v[27:28], v[16:17], v[21:22]
	v_cndmask_b32_e32 v20, 0, v20, vcc
	v_cndmask_b32_e32 v19, 0, v19, vcc
	v_add_f64 v[37:38], v[21:22], -v[25:26]
	v_add_f64 v[31:32], v[27:28], v[19:20]
	v_add_f64 v[16:17], v[27:28], -v[16:17]
	v_add_f64 v[39:40], v[21:22], -v[37:38]
	;; [unrolled: 1-line block ×3, first 2 shown]
	v_cmp_gt_f64_e32 vcc, 0, v[31:32]
	v_add_f64 v[31:32], v[25:26], -v[35:36]
	v_add_f64 v[16:17], v[21:22], -v[16:17]
	;; [unrolled: 1-line block ×3, first 2 shown]
	v_cndmask_b32_e32 v34, 0, v34, vcc
	v_add_f64 v[19:20], v[19:20], v[33:34]
	v_add_f64 v[31:32], v[29:30], -v[31:32]
	v_add_f64 v[6:7], v[6:7], v[25:26]
	v_add_f64 v[41:42], v[27:28], v[19:20]
	;; [unrolled: 1-line block ×3, first 2 shown]
	v_cvt_i32_f64_e32 v36, v[41:42]
	v_add_f64 v[6:7], v[8:9], v[6:7]
	v_cvt_f64_i32_e32 v[34:35], v36
	v_add_f64 v[19:20], v[19:20], -v[34:35]
	v_add_f64 v[6:7], v[14:15], v[6:7]
	v_add_f64 v[8:9], v[27:28], v[19:20]
	;; [unrolled: 1-line block ×3, first 2 shown]
	v_mov_b32_e32 v17, 0x3ff00000
	v_add_f64 v[14:15], v[8:9], -v[19:20]
	v_cmp_le_f64_e32 vcc, 0.5, v[8:9]
	v_add_f64 v[15:16], v[27:28], -v[14:15]
	v_cndmask_b32_e32 v34, 0, v17, vcc
	v_add_f64 v[8:9], v[8:9], -v[33:34]
	v_addc_co_u32_e64 v14, s[2:3], 0, v36, vcc
	s_mov_b32 s2, 0x54442d18
	s_mov_b32 s3, 0x3ff921fb
	v_add_f64 v[6:7], v[6:7], v[15:16]
	v_add_f64 v[15:16], v[8:9], v[6:7]
	v_mul_f64 v[19:20], v[15:16], s[2:3]
	v_add_f64 v[8:9], v[15:16], -v[8:9]
	v_fma_f64 v[21:22], v[15:16], s[2:3], -v[19:20]
	v_add_f64 v[6:7], v[6:7], -v[8:9]
	v_fma_f64 v[8:9], v[15:16], s[16:17], v[21:22]
	v_fma_f64 v[8:9], v[6:7], s[2:3], v[8:9]
	v_add_f64 v[6:7], v[19:20], v[8:9]
	v_add_f64 v[15:16], v[6:7], -v[19:20]
	v_add_f64 v[8:9], v[8:9], -v[15:16]
.LBB1_98:
	s_andn2_saveexec_b64 s[2:3], s[14:15]
	s_cbranch_execz .LBB1_100
; %bb.99:
	s_mov_b32 s14, 0x6dc9c883
	s_mov_b32 s15, 0x3fe45f30
	v_mul_f64 v[6:7], |v[2:3]|, s[14:15]
	s_mov_b32 s14, 0x54442d18
	s_mov_b32 s15, 0xbff921fb
	;; [unrolled: 1-line block ×4, first 2 shown]
	v_rndne_f64_e32 v[14:15], v[6:7]
	v_fma_f64 v[6:7], v[14:15], s[14:15], |v[2:3]|
	v_mul_f64 v[8:9], v[14:15], s[16:17]
	s_mov_b32 s14, 0x252049c0
	s_mov_b32 s15, 0xb97b839a
	v_fma_f64 v[21:22], v[14:15], s[16:17], v[6:7]
	v_add_f64 v[16:17], v[6:7], v[8:9]
	s_mov_b32 s17, 0x3c91a626
	v_add_f64 v[19:20], v[6:7], -v[16:17]
	v_add_f64 v[16:17], v[16:17], -v[21:22]
	v_add_f64 v[6:7], v[19:20], v[8:9]
	v_fma_f64 v[8:9], v[14:15], s[16:17], v[8:9]
	v_add_f64 v[6:7], v[16:17], v[6:7]
	v_add_f64 v[6:7], v[6:7], -v[8:9]
	v_fma_f64 v[8:9], v[14:15], s[14:15], v[6:7]
	v_cvt_i32_f64_e32 v14, v[14:15]
	v_add_f64 v[6:7], v[21:22], v[8:9]
	v_add_f64 v[16:17], v[6:7], -v[21:22]
	v_add_f64 v[8:9], v[8:9], -v[16:17]
.LBB1_100:
	s_or_b64 exec, exec, s[2:3]
	v_mul_f64 v[15:16], v[6:7], v[6:7]
	s_mov_b32 s2, 0xf9a43bb8
	v_mov_b32_e32 v20, 0xb42fdfa7
	v_mov_b32_e32 v21, 0xbe5ae600
	s_mov_b32 s3, 0x3de5e0b2
	s_mov_b32 s14, 0x796cde01
	v_mov_b32_e32 v19, 0x9037ab78
	s_mov_b32 s15, 0x3ec71de3
	v_fma_f64 v[21:22], v[15:16], s[2:3], v[20:21]
	s_mov_b32 s2, 0x46cc5e42
	v_mov_b32_e32 v20, 0x3e21eeb6
	s_mov_b32 s3, 0xbda907db
	v_fma_f64 v[19:20], v[15:16], s[2:3], v[19:20]
	v_mul_f64 v[23:24], v[15:16], 0.5
	s_mov_b32 s2, 0xa17f65f6
	s_mov_b32 s16, 0x19e83e5c
	v_fma_f64 v[21:22], v[15:16], v[21:22], s[14:15]
	s_mov_b32 s3, 0xbe927e4f
	s_mov_b32 s17, 0xbf2a01a0
	s_mov_b32 s14, 0x19f4ec90
	v_fma_f64 v[19:20], v[15:16], v[19:20], s[2:3]
	v_add_f64 v[25:26], -v[23:24], 1.0
	s_mov_b32 s2, 0x11110bb3
	s_mov_b32 s15, 0x3efa01a0
	v_fma_f64 v[21:22], v[15:16], v[21:22], s[16:17]
	s_mov_b32 s3, 0x3f811111
	v_mul_f64 v[27:28], v[8:9], 0.5
	v_mul_f64 v[29:30], v[6:7], -v[15:16]
	v_fma_f64 v[19:20], v[15:16], v[19:20], s[14:15]
	v_add_f64 v[31:32], -v[25:26], 1.0
	v_fma_f64 v[21:22], v[15:16], v[21:22], s[2:3]
	s_mov_b32 s2, 0x16c16967
	s_mov_b32 s3, 0xbf56c16c
	v_fma_f64 v[19:20], v[15:16], v[19:20], s[2:3]
	v_add_f64 v[23:24], v[31:32], -v[23:24]
	s_mov_b32 s3, 0x3fa55555
	s_mov_b32 s2, 0x55555555
	v_fma_f64 v[21:22], v[29:30], v[21:22], v[27:28]
	v_mul_f64 v[27:28], v[15:16], v[15:16]
	v_fma_f64 v[19:20], v[15:16], v[19:20], s[2:3]
	v_fma_f64 v[23:24], v[6:7], -v[8:9], v[23:24]
	s_mov_b32 s3, 0xbfc55555
	v_fma_f64 v[8:9], v[15:16], v[21:22], -v[8:9]
	v_fma_f64 v[15:16], v[27:28], v[19:20], v[23:24]
	v_fma_f64 v[8:9], v[29:30], s[2:3], v[8:9]
	s_movk_i32 s2, 0x1f8
	v_cmp_class_f64_e64 s[2:3], v[2:3], s2
	v_add_f64 v[15:16], v[25:26], v[15:16]
	v_add_f64 v[6:7], v[6:7], -v[8:9]
	v_and_b32_e32 v8, 1, v14
	v_cmp_eq_u32_e32 vcc, 0, v8
	v_lshlrev_b32_e32 v8, 30, v14
	v_xor_b32_e32 v8, v8, v3
	v_and_b32_e32 v8, 0x80000000, v8
	v_mov_b32_e32 v9, 0x7ff80000
	v_cndmask_b32_e32 v7, v16, v7, vcc
	v_cndmask_b32_e32 v6, v15, v6, vcc
	v_xor_b32_e32 v7, v7, v8
	v_cndmask_b32_e64 v6, 0, v6, s[2:3]
	v_cndmask_b32_e64 v7, v9, v7, s[2:3]
	v_div_scale_f64 v[8:9], s[2:3], v[2:3], v[2:3], v[6:7]
	v_div_scale_f64 v[19:20], vcc, v[6:7], v[2:3], v[6:7]
	v_rcp_f64_e32 v[14:15], v[8:9]
	v_fma_f64 v[16:17], -v[8:9], v[14:15], 1.0
	v_fma_f64 v[14:15], v[14:15], v[16:17], v[14:15]
	v_fma_f64 v[16:17], -v[8:9], v[14:15], 1.0
	v_fma_f64 v[14:15], v[14:15], v[16:17], v[14:15]
	v_mul_f64 v[16:17], v[19:20], v[14:15]
	v_fma_f64 v[8:9], -v[8:9], v[16:17], v[19:20]
	v_div_fmas_f64 v[8:9], v[8:9], v[14:15], v[16:17]
	v_div_fixup_f64 v[8:9], v[8:9], v[2:3], v[6:7]
                                        ; implicit-def: $vgpr2_vgpr3
.LBB1_101:
	s_andn2_saveexec_b64 s[2:3], s[12:13]
	s_cbranch_execz .LBB1_103
; %bb.102:
	v_mul_f64 v[2:3], v[2:3], v[2:3]
	s_mov_b32 s12, 0x13a86d09
	v_mov_b32_e32 v6, 0x67f544e4
	v_mov_b32_e32 v7, 0xbe5ae645
	s_mov_b32 s13, 0x3de61246
	v_fma_f64 v[6:7], v[2:3], s[12:13], v[6:7]
	s_mov_b32 s12, 0xa556c734
	s_mov_b32 s13, 0x3ec71de3
	v_fma_f64 v[6:7], v[2:3], v[6:7], s[12:13]
	s_mov_b32 s12, 0x1a01a01a
	;; [unrolled: 3-line block ×4, first 2 shown]
	s_mov_b32 s13, 0xbfc55555
	v_fma_f64 v[6:7], v[2:3], v[6:7], s[12:13]
	v_fma_f64 v[8:9], v[2:3], v[6:7], 1.0
.LBB1_103:
	s_or_b64 exec, exec, s[2:3]
.LBB1_104:
	s_or_b64 exec, exec, s[10:11]
	s_or_b64 exec, exec, s[6:7]
	s_and_saveexec_b64 s[2:3], s[0:1]
	s_xor_b64 s[0:1], exec, s[2:3]
	s_cbranch_execz .LBB1_89
.LBB1_105:
	v_mov_b32_e32 v2, 0
	v_lshlrev_b64 v[0:1], 3, v[1:2]
	v_mov_b32_e32 v2, s9
	v_add_co_u32_e32 v0, vcc, s8, v0
	v_addc_co_u32_e32 v1, vcc, v2, v1, vcc
	global_store_dwordx2 v[0:1], v[4:5], off
	v_mov_b32_e32 v0, v18
	s_or_b64 exec, exec, s[0:1]
	v_cmp_gt_i32_e32 vcc, s18, v0
	s_and_saveexec_b64 s[0:1], vcc
	s_cbranch_execz .LBB1_90
.LBB1_106:
	v_add_u32_e32 v1, s4, v0
	v_mov_b32_e32 v2, 0
	v_lshlrev_b64 v[1:2], 3, v[1:2]
	v_mov_b32_e32 v3, s9
	v_add_co_u32_e32 v1, vcc, s8, v1
	v_addc_co_u32_e32 v2, vcc, v3, v2, vcc
	v_add_u32_e32 v0, 0x100, v0
	global_store_dwordx2 v[1:2], v[12:13], off
	s_or_b64 exec, exec, s[0:1]
	v_cmp_gt_i32_e32 vcc, s18, v0
	s_and_saveexec_b64 s[0:1], vcc
	s_cbranch_execz .LBB1_91
.LBB1_107:
	v_add_u32_e32 v1, s4, v0
	v_mov_b32_e32 v2, 0
	v_lshlrev_b64 v[1:2], 3, v[1:2]
	v_mov_b32_e32 v3, s9
	v_add_co_u32_e32 v1, vcc, s8, v1
	v_addc_co_u32_e32 v2, vcc, v3, v2, vcc
	v_add_u32_e32 v0, 0x100, v0
	global_store_dwordx2 v[1:2], v[10:11], off
	s_or_b64 exec, exec, s[0:1]
	v_cmp_gt_i32_e32 vcc, s18, v0
	s_and_saveexec_b64 s[0:1], vcc
	s_cbranch_execnz .LBB1_92
	s_branch .LBB1_93
	.section	.rodata,"a",@progbits
	.p2align	6, 0x0
	.amdhsa_kernel _ZN2at6native29vectorized_elementwise_kernelILi8EZZZNS0_12_GLOBAL__N_131spherical_bessel_j0_kernel_cudaERNS_18TensorIteratorBaseEENKUlvE_clEvENKUlvE_clEvEUldE_St5arrayIPcLm2EEEEviT0_T1_
		.amdhsa_group_segment_fixed_size 0
		.amdhsa_private_segment_fixed_size 0
		.amdhsa_kernarg_size 24
		.amdhsa_user_sgpr_count 6
		.amdhsa_user_sgpr_private_segment_buffer 1
		.amdhsa_user_sgpr_dispatch_ptr 0
		.amdhsa_user_sgpr_queue_ptr 0
		.amdhsa_user_sgpr_kernarg_segment_ptr 1
		.amdhsa_user_sgpr_dispatch_id 0
		.amdhsa_user_sgpr_flat_scratch_init 0
		.amdhsa_user_sgpr_private_segment_size 0
		.amdhsa_uses_dynamic_stack 0
		.amdhsa_system_sgpr_private_segment_wavefront_offset 0
		.amdhsa_system_sgpr_workgroup_id_x 1
		.amdhsa_system_sgpr_workgroup_id_y 0
		.amdhsa_system_sgpr_workgroup_id_z 0
		.amdhsa_system_sgpr_workgroup_info 0
		.amdhsa_system_vgpr_workitem_id 0
		.amdhsa_next_free_vgpr 47
		.amdhsa_next_free_sgpr 22
		.amdhsa_reserve_vcc 1
		.amdhsa_reserve_flat_scratch 0
		.amdhsa_float_round_mode_32 0
		.amdhsa_float_round_mode_16_64 0
		.amdhsa_float_denorm_mode_32 3
		.amdhsa_float_denorm_mode_16_64 3
		.amdhsa_dx10_clamp 1
		.amdhsa_ieee_mode 1
		.amdhsa_fp16_overflow 0
		.amdhsa_exception_fp_ieee_invalid_op 0
		.amdhsa_exception_fp_denorm_src 0
		.amdhsa_exception_fp_ieee_div_zero 0
		.amdhsa_exception_fp_ieee_overflow 0
		.amdhsa_exception_fp_ieee_underflow 0
		.amdhsa_exception_fp_ieee_inexact 0
		.amdhsa_exception_int_div_zero 0
	.end_amdhsa_kernel
	.section	.text._ZN2at6native29vectorized_elementwise_kernelILi8EZZZNS0_12_GLOBAL__N_131spherical_bessel_j0_kernel_cudaERNS_18TensorIteratorBaseEENKUlvE_clEvENKUlvE_clEvEUldE_St5arrayIPcLm2EEEEviT0_T1_,"axG",@progbits,_ZN2at6native29vectorized_elementwise_kernelILi8EZZZNS0_12_GLOBAL__N_131spherical_bessel_j0_kernel_cudaERNS_18TensorIteratorBaseEENKUlvE_clEvENKUlvE_clEvEUldE_St5arrayIPcLm2EEEEviT0_T1_,comdat
.Lfunc_end1:
	.size	_ZN2at6native29vectorized_elementwise_kernelILi8EZZZNS0_12_GLOBAL__N_131spherical_bessel_j0_kernel_cudaERNS_18TensorIteratorBaseEENKUlvE_clEvENKUlvE_clEvEUldE_St5arrayIPcLm2EEEEviT0_T1_, .Lfunc_end1-_ZN2at6native29vectorized_elementwise_kernelILi8EZZZNS0_12_GLOBAL__N_131spherical_bessel_j0_kernel_cudaERNS_18TensorIteratorBaseEENKUlvE_clEvENKUlvE_clEvEUldE_St5arrayIPcLm2EEEEviT0_T1_
                                        ; -- End function
	.set _ZN2at6native29vectorized_elementwise_kernelILi8EZZZNS0_12_GLOBAL__N_131spherical_bessel_j0_kernel_cudaERNS_18TensorIteratorBaseEENKUlvE_clEvENKUlvE_clEvEUldE_St5arrayIPcLm2EEEEviT0_T1_.num_vgpr, 47
	.set _ZN2at6native29vectorized_elementwise_kernelILi8EZZZNS0_12_GLOBAL__N_131spherical_bessel_j0_kernel_cudaERNS_18TensorIteratorBaseEENKUlvE_clEvENKUlvE_clEvEUldE_St5arrayIPcLm2EEEEviT0_T1_.num_agpr, 0
	.set _ZN2at6native29vectorized_elementwise_kernelILi8EZZZNS0_12_GLOBAL__N_131spherical_bessel_j0_kernel_cudaERNS_18TensorIteratorBaseEENKUlvE_clEvENKUlvE_clEvEUldE_St5arrayIPcLm2EEEEviT0_T1_.numbered_sgpr, 22
	.set _ZN2at6native29vectorized_elementwise_kernelILi8EZZZNS0_12_GLOBAL__N_131spherical_bessel_j0_kernel_cudaERNS_18TensorIteratorBaseEENKUlvE_clEvENKUlvE_clEvEUldE_St5arrayIPcLm2EEEEviT0_T1_.num_named_barrier, 0
	.set _ZN2at6native29vectorized_elementwise_kernelILi8EZZZNS0_12_GLOBAL__N_131spherical_bessel_j0_kernel_cudaERNS_18TensorIteratorBaseEENKUlvE_clEvENKUlvE_clEvEUldE_St5arrayIPcLm2EEEEviT0_T1_.private_seg_size, 0
	.set _ZN2at6native29vectorized_elementwise_kernelILi8EZZZNS0_12_GLOBAL__N_131spherical_bessel_j0_kernel_cudaERNS_18TensorIteratorBaseEENKUlvE_clEvENKUlvE_clEvEUldE_St5arrayIPcLm2EEEEviT0_T1_.uses_vcc, 1
	.set _ZN2at6native29vectorized_elementwise_kernelILi8EZZZNS0_12_GLOBAL__N_131spherical_bessel_j0_kernel_cudaERNS_18TensorIteratorBaseEENKUlvE_clEvENKUlvE_clEvEUldE_St5arrayIPcLm2EEEEviT0_T1_.uses_flat_scratch, 0
	.set _ZN2at6native29vectorized_elementwise_kernelILi8EZZZNS0_12_GLOBAL__N_131spherical_bessel_j0_kernel_cudaERNS_18TensorIteratorBaseEENKUlvE_clEvENKUlvE_clEvEUldE_St5arrayIPcLm2EEEEviT0_T1_.has_dyn_sized_stack, 0
	.set _ZN2at6native29vectorized_elementwise_kernelILi8EZZZNS0_12_GLOBAL__N_131spherical_bessel_j0_kernel_cudaERNS_18TensorIteratorBaseEENKUlvE_clEvENKUlvE_clEvEUldE_St5arrayIPcLm2EEEEviT0_T1_.has_recursion, 0
	.set _ZN2at6native29vectorized_elementwise_kernelILi8EZZZNS0_12_GLOBAL__N_131spherical_bessel_j0_kernel_cudaERNS_18TensorIteratorBaseEENKUlvE_clEvENKUlvE_clEvEUldE_St5arrayIPcLm2EEEEviT0_T1_.has_indirect_call, 0
	.section	.AMDGPU.csdata,"",@progbits
; Kernel info:
; codeLenInByte = 13768
; TotalNumSgprs: 26
; NumVgprs: 47
; ScratchSize: 0
; MemoryBound: 1
; FloatMode: 240
; IeeeMode: 1
; LDSByteSize: 0 bytes/workgroup (compile time only)
; SGPRBlocks: 3
; VGPRBlocks: 11
; NumSGPRsForWavesPerEU: 26
; NumVGPRsForWavesPerEU: 47
; Occupancy: 5
; WaveLimiterHint : 0
; COMPUTE_PGM_RSRC2:SCRATCH_EN: 0
; COMPUTE_PGM_RSRC2:USER_SGPR: 6
; COMPUTE_PGM_RSRC2:TRAP_HANDLER: 0
; COMPUTE_PGM_RSRC2:TGID_X_EN: 1
; COMPUTE_PGM_RSRC2:TGID_Y_EN: 0
; COMPUTE_PGM_RSRC2:TGID_Z_EN: 0
; COMPUTE_PGM_RSRC2:TIDIG_COMP_CNT: 0
	.section	.text._ZN2at6native29vectorized_elementwise_kernelILi4EZZZNS0_12_GLOBAL__N_131spherical_bessel_j0_kernel_cudaERNS_18TensorIteratorBaseEENKUlvE_clEvENKUlvE_clEvEUldE_St5arrayIPcLm2EEEEviT0_T1_,"axG",@progbits,_ZN2at6native29vectorized_elementwise_kernelILi4EZZZNS0_12_GLOBAL__N_131spherical_bessel_j0_kernel_cudaERNS_18TensorIteratorBaseEENKUlvE_clEvENKUlvE_clEvEUldE_St5arrayIPcLm2EEEEviT0_T1_,comdat
	.globl	_ZN2at6native29vectorized_elementwise_kernelILi4EZZZNS0_12_GLOBAL__N_131spherical_bessel_j0_kernel_cudaERNS_18TensorIteratorBaseEENKUlvE_clEvENKUlvE_clEvEUldE_St5arrayIPcLm2EEEEviT0_T1_ ; -- Begin function _ZN2at6native29vectorized_elementwise_kernelILi4EZZZNS0_12_GLOBAL__N_131spherical_bessel_j0_kernel_cudaERNS_18TensorIteratorBaseEENKUlvE_clEvENKUlvE_clEvEUldE_St5arrayIPcLm2EEEEviT0_T1_
	.p2align	8
	.type	_ZN2at6native29vectorized_elementwise_kernelILi4EZZZNS0_12_GLOBAL__N_131spherical_bessel_j0_kernel_cudaERNS_18TensorIteratorBaseEENKUlvE_clEvENKUlvE_clEvEUldE_St5arrayIPcLm2EEEEviT0_T1_,@function
_ZN2at6native29vectorized_elementwise_kernelILi4EZZZNS0_12_GLOBAL__N_131spherical_bessel_j0_kernel_cudaERNS_18TensorIteratorBaseEENKUlvE_clEvENKUlvE_clEvEUldE_St5arrayIPcLm2EEEEviT0_T1_: ; @_ZN2at6native29vectorized_elementwise_kernelILi4EZZZNS0_12_GLOBAL__N_131spherical_bessel_j0_kernel_cudaERNS_18TensorIteratorBaseEENKUlvE_clEvENKUlvE_clEvEUldE_St5arrayIPcLm2EEEEviT0_T1_
; %bb.0:
	s_load_dword s0, s[4:5], 0x0
	s_load_dwordx4 s[8:11], s[4:5], 0x8
	s_lshl_b32 s4, s6, 10
	s_waitcnt lgkmcnt(0)
	s_sub_i32 s18, s0, s4
	s_cmpk_gt_i32 s18, 0x3ff
	s_mov_b64 s[0:1], -1
	s_cbranch_scc0 .LBB2_42
; %bb.1:
	s_ashr_i32 s5, s4, 31
	s_lshl_b64 s[2:3], s[4:5], 3
	s_add_u32 s0, s10, s2
	s_addc_u32 s1, s11, s3
	v_lshlrev_b32_e32 v15, 5, v0
	global_load_dwordx4 v[9:12], v15, s[0:1]
	global_load_dwordx4 v[5:8], v15, s[0:1] offset:16
	s_mov_b32 s6, 0
	s_mov_b32 s7, 0x7ff00000
	v_mov_b32_e32 v3, 0
	v_mov_b32_e32 v1, 0
	;; [unrolled: 1-line block ×4, first 2 shown]
	s_waitcnt vmcnt(1)
	v_cmp_neq_f64_e64 s[0:1], |v[9:10]|, s[6:7]
	s_and_saveexec_b64 s[12:13], s[0:1]
	s_cbranch_execz .LBB2_11
; %bb.2:
	v_cmp_nlt_f64_e64 s[0:1], |v[9:10]|, 0.5
	s_and_saveexec_b64 s[14:15], s[0:1]
	s_xor_b64 s[14:15], exec, s[14:15]
	s_cbranch_execz .LBB2_8
; %bb.3:
	s_mov_b32 s0, 0
	s_mov_b32 s1, 0x41d00000
	v_cmp_nlt_f64_e64 s[0:1], |v[9:10]|, s[0:1]
                                        ; implicit-def: $vgpr16
                                        ; implicit-def: $vgpr1_vgpr2
                                        ; implicit-def: $vgpr13_vgpr14
	s_and_saveexec_b64 s[16:17], s[0:1]
	s_xor_b64 s[16:17], exec, s[16:17]
	s_cbranch_execz .LBB2_5
; %bb.4:
	v_trig_preop_f64 v[1:2], |v[9:10]|, 0
	s_mov_b32 s0, 0
	s_mov_b32 s1, 0x7b000000
	s_movk_i32 s5, 0xff80
	v_ldexp_f64 v[16:17], |v[9:10]|, s5
	v_cmp_ge_f64_e64 vcc, |v[9:10]|, s[0:1]
	v_trig_preop_f64 v[13:14], |v[9:10]|, 1
	v_and_b32_e32 v18, 0x7fffffff, v10
	v_trig_preop_f64 v[24:25], |v[9:10]|, 2
	s_mov_b32 s0, 0
	s_mov_b32 s1, 0x7ff00000
	v_mov_b32_e32 v35, 0x40100000
	v_mov_b32_e32 v34, 0
	v_cndmask_b32_e32 v17, v18, v17, vcc
	v_cndmask_b32_e32 v16, v9, v16, vcc
	s_mov_b32 s20, 0x33145c07
	v_mul_f64 v[18:19], v[1:2], v[16:17]
	s_mov_b32 s21, 0x3c91a626
	v_mul_f64 v[20:21], v[13:14], v[16:17]
	v_mul_f64 v[30:31], v[24:25], v[16:17]
	v_fma_f64 v[1:2], v[1:2], v[16:17], -v[18:19]
	v_fma_f64 v[13:14], v[13:14], v[16:17], -v[20:21]
	v_fma_f64 v[16:17], v[24:25], v[16:17], -v[30:31]
	v_add_f64 v[22:23], v[20:21], v[1:2]
	v_add_f64 v[26:27], v[22:23], -v[20:21]
	v_add_f64 v[32:33], v[18:19], v[22:23]
	v_add_f64 v[28:29], v[22:23], -v[26:27]
	v_add_f64 v[1:2], v[1:2], -v[26:27]
	v_add_f64 v[26:27], v[30:31], v[13:14]
	v_add_f64 v[18:19], v[32:33], -v[18:19]
	v_add_f64 v[20:21], v[20:21], -v[28:29]
	v_ldexp_f64 v[28:29], v[32:33], -2
	v_add_f64 v[36:37], v[26:27], -v[30:31]
	v_add_f64 v[18:19], v[22:23], -v[18:19]
	v_add_f64 v[1:2], v[1:2], v[20:21]
	v_fract_f64_e32 v[20:21], v[28:29]
	v_cmp_neq_f64_e64 vcc, |v[28:29]|, s[0:1]
	v_add_f64 v[13:14], v[13:14], -v[36:37]
	v_add_f64 v[22:23], v[26:27], v[1:2]
	v_ldexp_f64 v[20:21], v[20:21], 2
	v_add_f64 v[28:29], v[18:19], v[22:23]
	v_cndmask_b32_e32 v21, 0, v21, vcc
	v_cndmask_b32_e32 v20, 0, v20, vcc
	v_add_f64 v[38:39], v[22:23], -v[26:27]
	v_add_f64 v[32:33], v[28:29], v[20:21]
	v_add_f64 v[18:19], v[28:29], -v[18:19]
	v_add_f64 v[40:41], v[22:23], -v[38:39]
	;; [unrolled: 1-line block ×3, first 2 shown]
	v_cmp_gt_f64_e32 vcc, 0, v[32:33]
	v_add_f64 v[32:33], v[26:27], -v[36:37]
	v_add_f64 v[18:19], v[22:23], -v[18:19]
	;; [unrolled: 1-line block ×3, first 2 shown]
	v_cndmask_b32_e32 v35, 0, v35, vcc
	v_add_f64 v[20:21], v[20:21], v[34:35]
	v_add_f64 v[32:33], v[30:31], -v[32:33]
	v_add_f64 v[1:2], v[1:2], v[26:27]
	v_add_f64 v[42:43], v[28:29], v[20:21]
	;; [unrolled: 1-line block ×3, first 2 shown]
	v_cvt_i32_f64_e32 v37, v[42:43]
	v_add_f64 v[1:2], v[13:14], v[1:2]
	v_cvt_f64_i32_e32 v[35:36], v37
	v_add_f64 v[20:21], v[20:21], -v[35:36]
	v_add_f64 v[1:2], v[16:17], v[1:2]
	v_add_f64 v[13:14], v[28:29], v[20:21]
	;; [unrolled: 1-line block ×3, first 2 shown]
	v_mov_b32_e32 v19, 0x3ff00000
	v_add_f64 v[16:17], v[13:14], -v[20:21]
	v_cmp_le_f64_e32 vcc, 0.5, v[13:14]
	v_add_f64 v[17:18], v[28:29], -v[16:17]
	v_cndmask_b32_e32 v35, 0, v19, vcc
	v_add_f64 v[13:14], v[13:14], -v[34:35]
	v_addc_co_u32_e64 v16, s[0:1], 0, v37, vcc
	s_mov_b32 s0, 0x54442d18
	s_mov_b32 s1, 0x3ff921fb
	v_add_f64 v[1:2], v[1:2], v[17:18]
	v_add_f64 v[17:18], v[13:14], v[1:2]
	v_mul_f64 v[19:20], v[17:18], s[0:1]
	v_add_f64 v[13:14], v[17:18], -v[13:14]
	v_fma_f64 v[21:22], v[17:18], s[0:1], -v[19:20]
	v_add_f64 v[1:2], v[1:2], -v[13:14]
	v_fma_f64 v[13:14], v[17:18], s[20:21], v[21:22]
	v_fma_f64 v[13:14], v[1:2], s[0:1], v[13:14]
	v_add_f64 v[1:2], v[19:20], v[13:14]
	v_add_f64 v[17:18], v[1:2], -v[19:20]
	v_add_f64 v[13:14], v[13:14], -v[17:18]
.LBB2_5:
	s_andn2_saveexec_b64 s[0:1], s[16:17]
	s_cbranch_execz .LBB2_7
; %bb.6:
	s_mov_b32 s16, 0x6dc9c883
	s_mov_b32 s17, 0x3fe45f30
	v_mul_f64 v[1:2], |v[9:10]|, s[16:17]
	s_mov_b32 s16, 0x54442d18
	s_mov_b32 s17, 0xbff921fb
	;; [unrolled: 1-line block ×4, first 2 shown]
	v_rndne_f64_e32 v[16:17], v[1:2]
	v_fma_f64 v[1:2], v[16:17], s[16:17], |v[9:10]|
	v_mul_f64 v[13:14], v[16:17], s[20:21]
	s_mov_b32 s16, 0x252049c0
	s_mov_b32 s17, 0xb97b839a
	v_fma_f64 v[22:23], v[16:17], s[20:21], v[1:2]
	v_add_f64 v[18:19], v[1:2], v[13:14]
	s_mov_b32 s21, 0x3c91a626
	v_add_f64 v[20:21], v[1:2], -v[18:19]
	v_add_f64 v[18:19], v[18:19], -v[22:23]
	v_add_f64 v[1:2], v[20:21], v[13:14]
	v_fma_f64 v[13:14], v[16:17], s[20:21], v[13:14]
	v_add_f64 v[1:2], v[18:19], v[1:2]
	v_add_f64 v[1:2], v[1:2], -v[13:14]
	v_fma_f64 v[13:14], v[16:17], s[16:17], v[1:2]
	v_cvt_i32_f64_e32 v16, v[16:17]
	v_add_f64 v[1:2], v[22:23], v[13:14]
	v_add_f64 v[18:19], v[1:2], -v[22:23]
	v_add_f64 v[13:14], v[13:14], -v[18:19]
.LBB2_7:
	s_or_b64 exec, exec, s[0:1]
	v_mul_f64 v[17:18], v[1:2], v[1:2]
	s_mov_b32 s0, 0xf9a43bb8
	v_mov_b32_e32 v20, 0xb42fdfa7
	v_mov_b32_e32 v21, 0xbe5ae600
	s_mov_b32 s1, 0x3de5e0b2
	s_mov_b32 s16, 0x796cde01
	v_mov_b32_e32 v19, 0x9037ab78
	s_mov_b32 s17, 0x3ec71de3
	v_fma_f64 v[21:22], v[17:18], s[0:1], v[20:21]
	s_mov_b32 s0, 0x46cc5e42
	v_mov_b32_e32 v20, 0x3e21eeb6
	s_mov_b32 s1, 0xbda907db
	v_fma_f64 v[19:20], v[17:18], s[0:1], v[19:20]
	v_mul_f64 v[23:24], v[17:18], 0.5
	s_mov_b32 s0, 0xa17f65f6
	s_mov_b32 s20, 0x19e83e5c
	v_fma_f64 v[21:22], v[17:18], v[21:22], s[16:17]
	s_mov_b32 s1, 0xbe927e4f
	s_mov_b32 s21, 0xbf2a01a0
	;; [unrolled: 1-line block ×3, first 2 shown]
	v_fma_f64 v[19:20], v[17:18], v[19:20], s[0:1]
	v_add_f64 v[25:26], -v[23:24], 1.0
	s_mov_b32 s0, 0x11110bb3
	s_mov_b32 s17, 0x3efa01a0
	v_fma_f64 v[21:22], v[17:18], v[21:22], s[20:21]
	s_mov_b32 s1, 0x3f811111
	v_mul_f64 v[27:28], v[13:14], 0.5
	v_mul_f64 v[29:30], v[1:2], -v[17:18]
	v_fma_f64 v[19:20], v[17:18], v[19:20], s[16:17]
	v_add_f64 v[31:32], -v[25:26], 1.0
	v_fma_f64 v[21:22], v[17:18], v[21:22], s[0:1]
	s_mov_b32 s0, 0x16c16967
	s_mov_b32 s1, 0xbf56c16c
	v_fma_f64 v[19:20], v[17:18], v[19:20], s[0:1]
	v_add_f64 v[23:24], v[31:32], -v[23:24]
	s_mov_b32 s1, 0x3fa55555
	s_mov_b32 s0, 0x55555555
	v_fma_f64 v[21:22], v[29:30], v[21:22], v[27:28]
	v_mul_f64 v[27:28], v[17:18], v[17:18]
	v_fma_f64 v[19:20], v[17:18], v[19:20], s[0:1]
	v_fma_f64 v[23:24], v[1:2], -v[13:14], v[23:24]
	s_mov_b32 s1, 0xbfc55555
	v_fma_f64 v[13:14], v[17:18], v[21:22], -v[13:14]
	v_fma_f64 v[17:18], v[27:28], v[19:20], v[23:24]
	v_fma_f64 v[13:14], v[29:30], s[0:1], v[13:14]
	s_movk_i32 s0, 0x1f8
	v_cmp_class_f64_e64 s[0:1], v[9:10], s0
	v_add_f64 v[17:18], v[25:26], v[17:18]
	v_add_f64 v[1:2], v[1:2], -v[13:14]
	v_and_b32_e32 v13, 1, v16
	v_cmp_eq_u32_e32 vcc, 0, v13
	v_lshlrev_b32_e32 v13, 30, v16
	v_xor_b32_e32 v13, v13, v10
	v_and_b32_e32 v13, 0x80000000, v13
	v_mov_b32_e32 v14, 0x7ff80000
	v_cndmask_b32_e32 v2, v18, v2, vcc
	v_cndmask_b32_e32 v1, v17, v1, vcc
	v_xor_b32_e32 v2, v2, v13
	v_cndmask_b32_e64 v1, 0, v1, s[0:1]
	v_cndmask_b32_e64 v2, v14, v2, s[0:1]
	v_div_scale_f64 v[13:14], s[0:1], v[9:10], v[9:10], v[1:2]
	v_div_scale_f64 v[20:21], vcc, v[1:2], v[9:10], v[1:2]
	v_rcp_f64_e32 v[16:17], v[13:14]
	v_fma_f64 v[18:19], -v[13:14], v[16:17], 1.0
	v_fma_f64 v[16:17], v[16:17], v[18:19], v[16:17]
	v_fma_f64 v[18:19], -v[13:14], v[16:17], 1.0
	v_fma_f64 v[16:17], v[16:17], v[18:19], v[16:17]
	v_mul_f64 v[18:19], v[20:21], v[16:17]
	v_fma_f64 v[13:14], -v[13:14], v[18:19], v[20:21]
	v_div_fmas_f64 v[13:14], v[13:14], v[16:17], v[18:19]
	v_div_fixup_f64 v[1:2], v[13:14], v[9:10], v[1:2]
.LBB2_8:
	s_andn2_saveexec_b64 s[0:1], s[14:15]
	s_cbranch_execz .LBB2_10
; %bb.9:
	v_mul_f64 v[1:2], v[9:10], v[9:10]
	s_mov_b32 s14, 0x13a86d09
	v_mov_b32_e32 v9, 0x67f544e4
	v_mov_b32_e32 v10, 0xbe5ae645
	s_mov_b32 s15, 0x3de61246
	v_fma_f64 v[9:10], v[1:2], s[14:15], v[9:10]
	s_mov_b32 s14, 0xa556c734
	s_mov_b32 s15, 0x3ec71de3
	v_fma_f64 v[9:10], v[1:2], v[9:10], s[14:15]
	s_mov_b32 s14, 0x1a01a01a
	s_mov_b32 s15, 0xbf2a01a0
	v_fma_f64 v[9:10], v[1:2], v[9:10], s[14:15]
	s_mov_b32 s14, 0x11111111
	s_mov_b32 s15, 0x3f811111
	v_fma_f64 v[9:10], v[1:2], v[9:10], s[14:15]
	s_mov_b32 s14, 0x55555555
	s_mov_b32 s15, 0xbfc55555
	v_fma_f64 v[9:10], v[1:2], v[9:10], s[14:15]
	v_fma_f64 v[1:2], v[1:2], v[9:10], 1.0
.LBB2_10:
	s_or_b64 exec, exec, s[0:1]
.LBB2_11:
	s_or_b64 exec, exec, s[12:13]
	v_cmp_neq_f64_e64 s[0:1], |v[11:12]|, s[6:7]
	s_and_saveexec_b64 s[6:7], s[0:1]
	s_cbranch_execz .LBB2_21
; %bb.12:
	v_cmp_nlt_f64_e64 s[0:1], |v[11:12]|, 0.5
	s_and_saveexec_b64 s[12:13], s[0:1]
	s_xor_b64 s[12:13], exec, s[12:13]
	s_cbranch_execz .LBB2_18
; %bb.13:
	s_mov_b32 s0, 0
	s_mov_b32 s1, 0x41d00000
	v_cmp_nlt_f64_e64 s[0:1], |v[11:12]|, s[0:1]
                                        ; implicit-def: $vgpr13
                                        ; implicit-def: $vgpr3_vgpr4
                                        ; implicit-def: $vgpr9_vgpr10
	s_and_saveexec_b64 s[14:15], s[0:1]
	s_xor_b64 s[14:15], exec, s[14:15]
	s_cbranch_execz .LBB2_15
; %bb.14:
	v_trig_preop_f64 v[3:4], |v[11:12]|, 0
	s_mov_b32 s0, 0
	s_mov_b32 s1, 0x7b000000
	s_movk_i32 s5, 0xff80
	v_ldexp_f64 v[13:14], |v[11:12]|, s5
	v_cmp_ge_f64_e64 vcc, |v[11:12]|, s[0:1]
	v_trig_preop_f64 v[9:10], |v[11:12]|, 1
	v_and_b32_e32 v16, 0x7fffffff, v12
	v_trig_preop_f64 v[22:23], |v[11:12]|, 2
	s_mov_b32 s0, 0
	s_mov_b32 s1, 0x7ff00000
	v_mov_b32_e32 v33, 0x40100000
	v_mov_b32_e32 v32, 0
	v_cndmask_b32_e32 v14, v16, v14, vcc
	v_cndmask_b32_e32 v13, v11, v13, vcc
	s_mov_b32 s16, 0x33145c07
	v_mul_f64 v[16:17], v[3:4], v[13:14]
	s_mov_b32 s17, 0x3c91a626
	v_mul_f64 v[18:19], v[9:10], v[13:14]
	v_mul_f64 v[28:29], v[22:23], v[13:14]
	v_fma_f64 v[3:4], v[3:4], v[13:14], -v[16:17]
	v_fma_f64 v[9:10], v[9:10], v[13:14], -v[18:19]
	;; [unrolled: 1-line block ×3, first 2 shown]
	v_add_f64 v[20:21], v[18:19], v[3:4]
	v_add_f64 v[24:25], v[20:21], -v[18:19]
	v_add_f64 v[30:31], v[16:17], v[20:21]
	v_add_f64 v[26:27], v[20:21], -v[24:25]
	v_add_f64 v[3:4], v[3:4], -v[24:25]
	v_add_f64 v[24:25], v[28:29], v[9:10]
	v_add_f64 v[16:17], v[30:31], -v[16:17]
	v_add_f64 v[18:19], v[18:19], -v[26:27]
	v_ldexp_f64 v[26:27], v[30:31], -2
	v_add_f64 v[34:35], v[24:25], -v[28:29]
	v_add_f64 v[16:17], v[20:21], -v[16:17]
	v_add_f64 v[3:4], v[3:4], v[18:19]
	v_fract_f64_e32 v[18:19], v[26:27]
	v_cmp_neq_f64_e64 vcc, |v[26:27]|, s[0:1]
	v_add_f64 v[9:10], v[9:10], -v[34:35]
	v_add_f64 v[20:21], v[24:25], v[3:4]
	v_ldexp_f64 v[18:19], v[18:19], 2
	v_add_f64 v[26:27], v[16:17], v[20:21]
	v_cndmask_b32_e32 v19, 0, v19, vcc
	v_cndmask_b32_e32 v18, 0, v18, vcc
	v_add_f64 v[36:37], v[20:21], -v[24:25]
	v_add_f64 v[30:31], v[26:27], v[18:19]
	v_add_f64 v[16:17], v[26:27], -v[16:17]
	v_add_f64 v[38:39], v[20:21], -v[36:37]
	;; [unrolled: 1-line block ×3, first 2 shown]
	v_cmp_gt_f64_e32 vcc, 0, v[30:31]
	v_add_f64 v[30:31], v[24:25], -v[34:35]
	v_add_f64 v[16:17], v[20:21], -v[16:17]
	;; [unrolled: 1-line block ×3, first 2 shown]
	v_cndmask_b32_e32 v33, 0, v33, vcc
	v_add_f64 v[18:19], v[18:19], v[32:33]
	v_add_f64 v[30:31], v[28:29], -v[30:31]
	v_add_f64 v[3:4], v[3:4], v[24:25]
	v_add_f64 v[40:41], v[26:27], v[18:19]
	;; [unrolled: 1-line block ×3, first 2 shown]
	v_cvt_i32_f64_e32 v35, v[40:41]
	v_add_f64 v[3:4], v[9:10], v[3:4]
	v_cvt_f64_i32_e32 v[33:34], v35
	v_add_f64 v[18:19], v[18:19], -v[33:34]
	v_add_f64 v[3:4], v[13:14], v[3:4]
	v_add_f64 v[9:10], v[26:27], v[18:19]
	;; [unrolled: 1-line block ×3, first 2 shown]
	v_add_f64 v[13:14], v[9:10], -v[18:19]
	v_cmp_le_f64_e32 vcc, 0.5, v[9:10]
	v_add_f64 v[16:17], v[26:27], -v[13:14]
	v_mov_b32_e32 v14, 0x3ff00000
	v_cndmask_b32_e32 v33, 0, v14, vcc
	v_add_f64 v[9:10], v[9:10], -v[32:33]
	v_addc_co_u32_e64 v13, s[0:1], 0, v35, vcc
	s_mov_b32 s0, 0x54442d18
	s_mov_b32 s1, 0x3ff921fb
	v_add_f64 v[3:4], v[3:4], v[16:17]
	v_add_f64 v[16:17], v[9:10], v[3:4]
	v_mul_f64 v[18:19], v[16:17], s[0:1]
	v_add_f64 v[9:10], v[16:17], -v[9:10]
	v_fma_f64 v[20:21], v[16:17], s[0:1], -v[18:19]
	v_add_f64 v[3:4], v[3:4], -v[9:10]
	v_fma_f64 v[9:10], v[16:17], s[16:17], v[20:21]
	v_fma_f64 v[9:10], v[3:4], s[0:1], v[9:10]
	v_add_f64 v[3:4], v[18:19], v[9:10]
	v_add_f64 v[16:17], v[3:4], -v[18:19]
	v_add_f64 v[9:10], v[9:10], -v[16:17]
.LBB2_15:
	s_andn2_saveexec_b64 s[0:1], s[14:15]
	s_cbranch_execz .LBB2_17
; %bb.16:
	s_mov_b32 s14, 0x6dc9c883
	s_mov_b32 s15, 0x3fe45f30
	v_mul_f64 v[3:4], |v[11:12]|, s[14:15]
	s_mov_b32 s14, 0x54442d18
	s_mov_b32 s15, 0xbff921fb
	s_mov_b32 s17, 0xbc91a626
	s_mov_b32 s16, 0x33145c00
	v_rndne_f64_e32 v[13:14], v[3:4]
	v_fma_f64 v[3:4], v[13:14], s[14:15], |v[11:12]|
	v_mul_f64 v[9:10], v[13:14], s[16:17]
	s_mov_b32 s14, 0x252049c0
	s_mov_b32 s15, 0xb97b839a
	v_fma_f64 v[20:21], v[13:14], s[16:17], v[3:4]
	v_add_f64 v[16:17], v[3:4], v[9:10]
	s_mov_b32 s17, 0x3c91a626
	v_add_f64 v[18:19], v[3:4], -v[16:17]
	v_add_f64 v[16:17], v[16:17], -v[20:21]
	v_add_f64 v[3:4], v[18:19], v[9:10]
	v_fma_f64 v[9:10], v[13:14], s[16:17], v[9:10]
	v_add_f64 v[3:4], v[16:17], v[3:4]
	v_add_f64 v[3:4], v[3:4], -v[9:10]
	v_fma_f64 v[9:10], v[13:14], s[14:15], v[3:4]
	v_cvt_i32_f64_e32 v13, v[13:14]
	v_add_f64 v[3:4], v[20:21], v[9:10]
	v_add_f64 v[16:17], v[3:4], -v[20:21]
	v_add_f64 v[9:10], v[9:10], -v[16:17]
.LBB2_17:
	s_or_b64 exec, exec, s[0:1]
	v_mul_f64 v[16:17], v[3:4], v[3:4]
	s_mov_b32 s0, 0xf9a43bb8
	v_mov_b32_e32 v19, 0xb42fdfa7
	v_mov_b32_e32 v20, 0xbe5ae600
	s_mov_b32 s1, 0x3de5e0b2
	s_mov_b32 s14, 0x796cde01
	v_mov_b32_e32 v18, 0x9037ab78
	s_mov_b32 s15, 0x3ec71de3
	v_fma_f64 v[20:21], v[16:17], s[0:1], v[19:20]
	s_mov_b32 s0, 0x46cc5e42
	v_mov_b32_e32 v19, 0x3e21eeb6
	s_mov_b32 s1, 0xbda907db
	v_fma_f64 v[18:19], v[16:17], s[0:1], v[18:19]
	v_mul_f64 v[22:23], v[16:17], 0.5
	s_mov_b32 s0, 0xa17f65f6
	s_mov_b32 s16, 0x19e83e5c
	v_fma_f64 v[20:21], v[16:17], v[20:21], s[14:15]
	s_mov_b32 s1, 0xbe927e4f
	s_mov_b32 s17, 0xbf2a01a0
	;; [unrolled: 1-line block ×3, first 2 shown]
	v_fma_f64 v[18:19], v[16:17], v[18:19], s[0:1]
	v_add_f64 v[24:25], -v[22:23], 1.0
	s_mov_b32 s0, 0x11110bb3
	s_mov_b32 s15, 0x3efa01a0
	v_fma_f64 v[20:21], v[16:17], v[20:21], s[16:17]
	s_mov_b32 s1, 0x3f811111
	v_mul_f64 v[26:27], v[9:10], 0.5
	v_mul_f64 v[28:29], v[3:4], -v[16:17]
	v_fma_f64 v[18:19], v[16:17], v[18:19], s[14:15]
	v_add_f64 v[30:31], -v[24:25], 1.0
	v_fma_f64 v[20:21], v[16:17], v[20:21], s[0:1]
	s_mov_b32 s0, 0x16c16967
	s_mov_b32 s1, 0xbf56c16c
	v_fma_f64 v[18:19], v[16:17], v[18:19], s[0:1]
	v_add_f64 v[22:23], v[30:31], -v[22:23]
	s_mov_b32 s1, 0x3fa55555
	s_mov_b32 s0, 0x55555555
	v_fma_f64 v[20:21], v[28:29], v[20:21], v[26:27]
	v_mul_f64 v[26:27], v[16:17], v[16:17]
	v_fma_f64 v[18:19], v[16:17], v[18:19], s[0:1]
	v_fma_f64 v[22:23], v[3:4], -v[9:10], v[22:23]
	s_mov_b32 s1, 0xbfc55555
	v_fma_f64 v[9:10], v[16:17], v[20:21], -v[9:10]
	v_fma_f64 v[16:17], v[26:27], v[18:19], v[22:23]
	v_fma_f64 v[9:10], v[28:29], s[0:1], v[9:10]
	s_movk_i32 s0, 0x1f8
	v_cmp_class_f64_e64 s[0:1], v[11:12], s0
	v_add_f64 v[16:17], v[24:25], v[16:17]
	v_add_f64 v[3:4], v[3:4], -v[9:10]
	v_and_b32_e32 v9, 1, v13
	v_cmp_eq_u32_e32 vcc, 0, v9
	v_lshlrev_b32_e32 v9, 30, v13
	v_xor_b32_e32 v9, v9, v12
	v_and_b32_e32 v9, 0x80000000, v9
	v_mov_b32_e32 v10, 0x7ff80000
	v_cndmask_b32_e32 v4, v17, v4, vcc
	v_cndmask_b32_e32 v3, v16, v3, vcc
	v_xor_b32_e32 v4, v4, v9
	v_cndmask_b32_e64 v3, 0, v3, s[0:1]
	v_cndmask_b32_e64 v4, v10, v4, s[0:1]
	v_div_scale_f64 v[9:10], s[0:1], v[11:12], v[11:12], v[3:4]
	v_div_scale_f64 v[18:19], vcc, v[3:4], v[11:12], v[3:4]
	v_rcp_f64_e32 v[13:14], v[9:10]
	v_fma_f64 v[16:17], -v[9:10], v[13:14], 1.0
	v_fma_f64 v[13:14], v[13:14], v[16:17], v[13:14]
	v_fma_f64 v[16:17], -v[9:10], v[13:14], 1.0
	v_fma_f64 v[13:14], v[13:14], v[16:17], v[13:14]
	v_mul_f64 v[16:17], v[18:19], v[13:14]
	v_fma_f64 v[9:10], -v[9:10], v[16:17], v[18:19]
	v_div_fmas_f64 v[9:10], v[9:10], v[13:14], v[16:17]
	v_div_fixup_f64 v[3:4], v[9:10], v[11:12], v[3:4]
                                        ; implicit-def: $vgpr11_vgpr12
.LBB2_18:
	s_andn2_saveexec_b64 s[0:1], s[12:13]
	s_cbranch_execz .LBB2_20
; %bb.19:
	v_mul_f64 v[3:4], v[11:12], v[11:12]
	s_mov_b32 s12, 0x13a86d09
	v_mov_b32_e32 v9, 0x67f544e4
	v_mov_b32_e32 v10, 0xbe5ae645
	s_mov_b32 s13, 0x3de61246
	v_fma_f64 v[9:10], v[3:4], s[12:13], v[9:10]
	s_mov_b32 s12, 0xa556c734
	s_mov_b32 s13, 0x3ec71de3
	v_fma_f64 v[9:10], v[3:4], v[9:10], s[12:13]
	s_mov_b32 s12, 0x1a01a01a
	;; [unrolled: 3-line block ×4, first 2 shown]
	s_mov_b32 s13, 0xbfc55555
	v_fma_f64 v[9:10], v[3:4], v[9:10], s[12:13]
	v_fma_f64 v[3:4], v[3:4], v[9:10], 1.0
.LBB2_20:
	s_or_b64 exec, exec, s[0:1]
.LBB2_21:
	s_or_b64 exec, exec, s[6:7]
	s_mov_b32 s6, 0
	s_mov_b32 s7, 0x7ff00000
	s_waitcnt vmcnt(0)
	v_cmp_neq_f64_e64 s[0:1], |v[5:6]|, s[6:7]
	v_mov_b32_e32 v11, 0
	v_mov_b32_e32 v9, 0
	;; [unrolled: 1-line block ×4, first 2 shown]
	s_and_saveexec_b64 s[12:13], s[0:1]
	s_cbranch_execz .LBB2_31
; %bb.22:
	v_cmp_nlt_f64_e64 s[0:1], |v[5:6]|, 0.5
	s_and_saveexec_b64 s[14:15], s[0:1]
	s_xor_b64 s[14:15], exec, s[14:15]
	s_cbranch_execz .LBB2_28
; %bb.23:
	s_mov_b32 s0, 0
	s_mov_b32 s1, 0x41d00000
	v_cmp_nlt_f64_e64 s[0:1], |v[5:6]|, s[0:1]
                                        ; implicit-def: $vgpr16
                                        ; implicit-def: $vgpr9_vgpr10
                                        ; implicit-def: $vgpr13_vgpr14
	s_and_saveexec_b64 s[16:17], s[0:1]
	s_xor_b64 s[16:17], exec, s[16:17]
	s_cbranch_execz .LBB2_25
; %bb.24:
	v_trig_preop_f64 v[9:10], |v[5:6]|, 0
	s_mov_b32 s0, 0
	s_mov_b32 s1, 0x7b000000
	s_movk_i32 s5, 0xff80
	v_ldexp_f64 v[16:17], |v[5:6]|, s5
	v_cmp_ge_f64_e64 vcc, |v[5:6]|, s[0:1]
	v_trig_preop_f64 v[13:14], |v[5:6]|, 1
	v_and_b32_e32 v18, 0x7fffffff, v6
	v_trig_preop_f64 v[24:25], |v[5:6]|, 2
	s_mov_b32 s0, 0
	s_mov_b32 s1, 0x7ff00000
	v_mov_b32_e32 v35, 0x40100000
	v_mov_b32_e32 v34, 0
	v_cndmask_b32_e32 v17, v18, v17, vcc
	v_cndmask_b32_e32 v16, v5, v16, vcc
	s_mov_b32 s20, 0x33145c07
	v_mul_f64 v[18:19], v[9:10], v[16:17]
	s_mov_b32 s21, 0x3c91a626
	v_mul_f64 v[20:21], v[13:14], v[16:17]
	v_mul_f64 v[30:31], v[24:25], v[16:17]
	v_fma_f64 v[9:10], v[9:10], v[16:17], -v[18:19]
	v_fma_f64 v[13:14], v[13:14], v[16:17], -v[20:21]
	;; [unrolled: 1-line block ×3, first 2 shown]
	v_add_f64 v[22:23], v[20:21], v[9:10]
	v_add_f64 v[26:27], v[22:23], -v[20:21]
	v_add_f64 v[32:33], v[18:19], v[22:23]
	v_add_f64 v[28:29], v[22:23], -v[26:27]
	v_add_f64 v[9:10], v[9:10], -v[26:27]
	v_add_f64 v[26:27], v[30:31], v[13:14]
	v_add_f64 v[18:19], v[32:33], -v[18:19]
	v_add_f64 v[20:21], v[20:21], -v[28:29]
	v_ldexp_f64 v[28:29], v[32:33], -2
	v_add_f64 v[36:37], v[26:27], -v[30:31]
	v_add_f64 v[18:19], v[22:23], -v[18:19]
	v_add_f64 v[9:10], v[9:10], v[20:21]
	v_fract_f64_e32 v[20:21], v[28:29]
	v_cmp_neq_f64_e64 vcc, |v[28:29]|, s[0:1]
	v_add_f64 v[13:14], v[13:14], -v[36:37]
	v_add_f64 v[22:23], v[26:27], v[9:10]
	v_ldexp_f64 v[20:21], v[20:21], 2
	v_add_f64 v[28:29], v[18:19], v[22:23]
	v_cndmask_b32_e32 v21, 0, v21, vcc
	v_cndmask_b32_e32 v20, 0, v20, vcc
	v_add_f64 v[38:39], v[22:23], -v[26:27]
	v_add_f64 v[32:33], v[28:29], v[20:21]
	v_add_f64 v[18:19], v[28:29], -v[18:19]
	v_add_f64 v[40:41], v[22:23], -v[38:39]
	;; [unrolled: 1-line block ×3, first 2 shown]
	v_cmp_gt_f64_e32 vcc, 0, v[32:33]
	v_add_f64 v[32:33], v[26:27], -v[36:37]
	v_add_f64 v[18:19], v[22:23], -v[18:19]
	;; [unrolled: 1-line block ×3, first 2 shown]
	v_cndmask_b32_e32 v35, 0, v35, vcc
	v_add_f64 v[20:21], v[20:21], v[34:35]
	v_add_f64 v[32:33], v[30:31], -v[32:33]
	v_add_f64 v[9:10], v[9:10], v[26:27]
	v_add_f64 v[42:43], v[28:29], v[20:21]
	;; [unrolled: 1-line block ×3, first 2 shown]
	v_cvt_i32_f64_e32 v37, v[42:43]
	v_add_f64 v[9:10], v[13:14], v[9:10]
	v_cvt_f64_i32_e32 v[35:36], v37
	v_add_f64 v[20:21], v[20:21], -v[35:36]
	v_add_f64 v[9:10], v[16:17], v[9:10]
	v_add_f64 v[13:14], v[28:29], v[20:21]
	;; [unrolled: 1-line block ×3, first 2 shown]
	v_mov_b32_e32 v19, 0x3ff00000
	v_add_f64 v[16:17], v[13:14], -v[20:21]
	v_cmp_le_f64_e32 vcc, 0.5, v[13:14]
	v_add_f64 v[17:18], v[28:29], -v[16:17]
	v_cndmask_b32_e32 v35, 0, v19, vcc
	v_add_f64 v[13:14], v[13:14], -v[34:35]
	v_addc_co_u32_e64 v16, s[0:1], 0, v37, vcc
	s_mov_b32 s0, 0x54442d18
	s_mov_b32 s1, 0x3ff921fb
	v_add_f64 v[9:10], v[9:10], v[17:18]
	v_add_f64 v[17:18], v[13:14], v[9:10]
	v_mul_f64 v[19:20], v[17:18], s[0:1]
	v_add_f64 v[13:14], v[17:18], -v[13:14]
	v_fma_f64 v[21:22], v[17:18], s[0:1], -v[19:20]
	v_add_f64 v[9:10], v[9:10], -v[13:14]
	v_fma_f64 v[13:14], v[17:18], s[20:21], v[21:22]
	v_fma_f64 v[13:14], v[9:10], s[0:1], v[13:14]
	v_add_f64 v[9:10], v[19:20], v[13:14]
	v_add_f64 v[17:18], v[9:10], -v[19:20]
	v_add_f64 v[13:14], v[13:14], -v[17:18]
.LBB2_25:
	s_andn2_saveexec_b64 s[0:1], s[16:17]
	s_cbranch_execz .LBB2_27
; %bb.26:
	s_mov_b32 s16, 0x6dc9c883
	s_mov_b32 s17, 0x3fe45f30
	v_mul_f64 v[9:10], |v[5:6]|, s[16:17]
	s_mov_b32 s16, 0x54442d18
	s_mov_b32 s17, 0xbff921fb
	;; [unrolled: 1-line block ×4, first 2 shown]
	v_rndne_f64_e32 v[16:17], v[9:10]
	v_fma_f64 v[9:10], v[16:17], s[16:17], |v[5:6]|
	v_mul_f64 v[13:14], v[16:17], s[20:21]
	s_mov_b32 s16, 0x252049c0
	s_mov_b32 s17, 0xb97b839a
	v_fma_f64 v[22:23], v[16:17], s[20:21], v[9:10]
	v_add_f64 v[18:19], v[9:10], v[13:14]
	s_mov_b32 s21, 0x3c91a626
	v_add_f64 v[20:21], v[9:10], -v[18:19]
	v_add_f64 v[18:19], v[18:19], -v[22:23]
	v_add_f64 v[9:10], v[20:21], v[13:14]
	v_fma_f64 v[13:14], v[16:17], s[20:21], v[13:14]
	v_add_f64 v[9:10], v[18:19], v[9:10]
	v_add_f64 v[9:10], v[9:10], -v[13:14]
	v_fma_f64 v[13:14], v[16:17], s[16:17], v[9:10]
	v_cvt_i32_f64_e32 v16, v[16:17]
	v_add_f64 v[9:10], v[22:23], v[13:14]
	v_add_f64 v[18:19], v[9:10], -v[22:23]
	v_add_f64 v[13:14], v[13:14], -v[18:19]
.LBB2_27:
	s_or_b64 exec, exec, s[0:1]
	v_mul_f64 v[17:18], v[9:10], v[9:10]
	s_mov_b32 s0, 0xf9a43bb8
	v_mov_b32_e32 v20, 0xb42fdfa7
	v_mov_b32_e32 v21, 0xbe5ae600
	s_mov_b32 s1, 0x3de5e0b2
	s_mov_b32 s16, 0x796cde01
	v_mov_b32_e32 v19, 0x9037ab78
	s_mov_b32 s17, 0x3ec71de3
	v_fma_f64 v[21:22], v[17:18], s[0:1], v[20:21]
	s_mov_b32 s0, 0x46cc5e42
	v_mov_b32_e32 v20, 0x3e21eeb6
	s_mov_b32 s1, 0xbda907db
	v_fma_f64 v[19:20], v[17:18], s[0:1], v[19:20]
	v_mul_f64 v[23:24], v[17:18], 0.5
	s_mov_b32 s0, 0xa17f65f6
	s_mov_b32 s20, 0x19e83e5c
	v_fma_f64 v[21:22], v[17:18], v[21:22], s[16:17]
	s_mov_b32 s1, 0xbe927e4f
	s_mov_b32 s21, 0xbf2a01a0
	;; [unrolled: 1-line block ×3, first 2 shown]
	v_fma_f64 v[19:20], v[17:18], v[19:20], s[0:1]
	v_add_f64 v[25:26], -v[23:24], 1.0
	s_mov_b32 s0, 0x11110bb3
	s_mov_b32 s17, 0x3efa01a0
	v_fma_f64 v[21:22], v[17:18], v[21:22], s[20:21]
	s_mov_b32 s1, 0x3f811111
	v_mul_f64 v[27:28], v[13:14], 0.5
	v_mul_f64 v[29:30], v[9:10], -v[17:18]
	v_fma_f64 v[19:20], v[17:18], v[19:20], s[16:17]
	v_add_f64 v[31:32], -v[25:26], 1.0
	v_fma_f64 v[21:22], v[17:18], v[21:22], s[0:1]
	s_mov_b32 s0, 0x16c16967
	s_mov_b32 s1, 0xbf56c16c
	v_fma_f64 v[19:20], v[17:18], v[19:20], s[0:1]
	v_add_f64 v[23:24], v[31:32], -v[23:24]
	s_mov_b32 s1, 0x3fa55555
	s_mov_b32 s0, 0x55555555
	v_fma_f64 v[21:22], v[29:30], v[21:22], v[27:28]
	v_mul_f64 v[27:28], v[17:18], v[17:18]
	v_fma_f64 v[19:20], v[17:18], v[19:20], s[0:1]
	v_fma_f64 v[23:24], v[9:10], -v[13:14], v[23:24]
	s_mov_b32 s1, 0xbfc55555
	v_fma_f64 v[13:14], v[17:18], v[21:22], -v[13:14]
	v_fma_f64 v[17:18], v[27:28], v[19:20], v[23:24]
	v_fma_f64 v[13:14], v[29:30], s[0:1], v[13:14]
	s_movk_i32 s0, 0x1f8
	v_cmp_class_f64_e64 s[0:1], v[5:6], s0
	v_add_f64 v[17:18], v[25:26], v[17:18]
	v_add_f64 v[9:10], v[9:10], -v[13:14]
	v_and_b32_e32 v13, 1, v16
	v_cmp_eq_u32_e32 vcc, 0, v13
	v_lshlrev_b32_e32 v13, 30, v16
	v_xor_b32_e32 v13, v13, v6
	v_and_b32_e32 v13, 0x80000000, v13
	v_mov_b32_e32 v14, 0x7ff80000
	v_cndmask_b32_e32 v10, v18, v10, vcc
	v_cndmask_b32_e32 v9, v17, v9, vcc
	v_xor_b32_e32 v10, v10, v13
	v_cndmask_b32_e64 v9, 0, v9, s[0:1]
	v_cndmask_b32_e64 v10, v14, v10, s[0:1]
	v_div_scale_f64 v[13:14], s[0:1], v[5:6], v[5:6], v[9:10]
	v_div_scale_f64 v[20:21], vcc, v[9:10], v[5:6], v[9:10]
	v_rcp_f64_e32 v[16:17], v[13:14]
	v_fma_f64 v[18:19], -v[13:14], v[16:17], 1.0
	v_fma_f64 v[16:17], v[16:17], v[18:19], v[16:17]
	v_fma_f64 v[18:19], -v[13:14], v[16:17], 1.0
	v_fma_f64 v[16:17], v[16:17], v[18:19], v[16:17]
	v_mul_f64 v[18:19], v[20:21], v[16:17]
	v_fma_f64 v[13:14], -v[13:14], v[18:19], v[20:21]
	v_div_fmas_f64 v[13:14], v[13:14], v[16:17], v[18:19]
	v_div_fixup_f64 v[9:10], v[13:14], v[5:6], v[9:10]
.LBB2_28:
	s_andn2_saveexec_b64 s[0:1], s[14:15]
	s_cbranch_execz .LBB2_30
; %bb.29:
	v_mul_f64 v[5:6], v[5:6], v[5:6]
	s_mov_b32 s14, 0x13a86d09
	v_mov_b32_e32 v9, 0x67f544e4
	v_mov_b32_e32 v10, 0xbe5ae645
	s_mov_b32 s15, 0x3de61246
	v_fma_f64 v[9:10], v[5:6], s[14:15], v[9:10]
	s_mov_b32 s14, 0xa556c734
	s_mov_b32 s15, 0x3ec71de3
	v_fma_f64 v[9:10], v[5:6], v[9:10], s[14:15]
	s_mov_b32 s14, 0x1a01a01a
	;; [unrolled: 3-line block ×4, first 2 shown]
	s_mov_b32 s15, 0xbfc55555
	v_fma_f64 v[9:10], v[5:6], v[9:10], s[14:15]
	v_fma_f64 v[9:10], v[5:6], v[9:10], 1.0
.LBB2_30:
	s_or_b64 exec, exec, s[0:1]
.LBB2_31:
	s_or_b64 exec, exec, s[12:13]
	v_cmp_neq_f64_e64 s[0:1], |v[7:8]|, s[6:7]
	s_and_saveexec_b64 s[6:7], s[0:1]
	s_cbranch_execz .LBB2_41
; %bb.32:
	v_cmp_nlt_f64_e64 s[0:1], |v[7:8]|, 0.5
	s_and_saveexec_b64 s[12:13], s[0:1]
	s_xor_b64 s[12:13], exec, s[12:13]
	s_cbranch_execz .LBB2_38
; %bb.33:
	s_mov_b32 s0, 0
	s_mov_b32 s1, 0x41d00000
	v_cmp_nlt_f64_e64 s[0:1], |v[7:8]|, s[0:1]
                                        ; implicit-def: $vgpr13
                                        ; implicit-def: $vgpr5_vgpr6
                                        ; implicit-def: $vgpr11_vgpr12
	s_and_saveexec_b64 s[14:15], s[0:1]
	s_xor_b64 s[14:15], exec, s[14:15]
	s_cbranch_execz .LBB2_35
; %bb.34:
	v_trig_preop_f64 v[5:6], |v[7:8]|, 0
	s_mov_b32 s0, 0
	s_mov_b32 s1, 0x7b000000
	s_movk_i32 s5, 0xff80
	v_ldexp_f64 v[13:14], |v[7:8]|, s5
	v_cmp_ge_f64_e64 vcc, |v[7:8]|, s[0:1]
	v_trig_preop_f64 v[11:12], |v[7:8]|, 1
	v_and_b32_e32 v16, 0x7fffffff, v8
	v_trig_preop_f64 v[22:23], |v[7:8]|, 2
	s_mov_b32 s0, 0
	s_mov_b32 s1, 0x7ff00000
	v_mov_b32_e32 v33, 0x40100000
	v_mov_b32_e32 v32, 0
	v_cndmask_b32_e32 v14, v16, v14, vcc
	v_cndmask_b32_e32 v13, v7, v13, vcc
	s_mov_b32 s16, 0x33145c07
	v_mul_f64 v[16:17], v[5:6], v[13:14]
	s_mov_b32 s17, 0x3c91a626
	v_mul_f64 v[18:19], v[11:12], v[13:14]
	v_mul_f64 v[28:29], v[22:23], v[13:14]
	v_fma_f64 v[5:6], v[5:6], v[13:14], -v[16:17]
	v_fma_f64 v[11:12], v[11:12], v[13:14], -v[18:19]
	;; [unrolled: 1-line block ×3, first 2 shown]
	v_add_f64 v[20:21], v[18:19], v[5:6]
	v_add_f64 v[24:25], v[20:21], -v[18:19]
	v_add_f64 v[30:31], v[16:17], v[20:21]
	v_add_f64 v[26:27], v[20:21], -v[24:25]
	v_add_f64 v[5:6], v[5:6], -v[24:25]
	v_add_f64 v[24:25], v[28:29], v[11:12]
	v_add_f64 v[16:17], v[30:31], -v[16:17]
	v_add_f64 v[18:19], v[18:19], -v[26:27]
	v_ldexp_f64 v[26:27], v[30:31], -2
	v_add_f64 v[34:35], v[24:25], -v[28:29]
	v_add_f64 v[16:17], v[20:21], -v[16:17]
	v_add_f64 v[5:6], v[5:6], v[18:19]
	v_fract_f64_e32 v[18:19], v[26:27]
	v_cmp_neq_f64_e64 vcc, |v[26:27]|, s[0:1]
	v_add_f64 v[11:12], v[11:12], -v[34:35]
	v_add_f64 v[20:21], v[24:25], v[5:6]
	v_ldexp_f64 v[18:19], v[18:19], 2
	v_add_f64 v[26:27], v[16:17], v[20:21]
	v_cndmask_b32_e32 v19, 0, v19, vcc
	v_cndmask_b32_e32 v18, 0, v18, vcc
	v_add_f64 v[36:37], v[20:21], -v[24:25]
	v_add_f64 v[30:31], v[26:27], v[18:19]
	v_add_f64 v[16:17], v[26:27], -v[16:17]
	v_add_f64 v[38:39], v[20:21], -v[36:37]
	;; [unrolled: 1-line block ×3, first 2 shown]
	v_cmp_gt_f64_e32 vcc, 0, v[30:31]
	v_add_f64 v[30:31], v[24:25], -v[34:35]
	v_add_f64 v[16:17], v[20:21], -v[16:17]
	;; [unrolled: 1-line block ×3, first 2 shown]
	v_cndmask_b32_e32 v33, 0, v33, vcc
	v_add_f64 v[18:19], v[18:19], v[32:33]
	v_add_f64 v[30:31], v[28:29], -v[30:31]
	v_add_f64 v[5:6], v[5:6], v[24:25]
	v_add_f64 v[40:41], v[26:27], v[18:19]
	;; [unrolled: 1-line block ×3, first 2 shown]
	v_cvt_i32_f64_e32 v35, v[40:41]
	v_add_f64 v[5:6], v[11:12], v[5:6]
	v_cvt_f64_i32_e32 v[33:34], v35
	v_add_f64 v[18:19], v[18:19], -v[33:34]
	v_add_f64 v[5:6], v[13:14], v[5:6]
	v_add_f64 v[11:12], v[26:27], v[18:19]
	;; [unrolled: 1-line block ×3, first 2 shown]
	v_add_f64 v[13:14], v[11:12], -v[18:19]
	v_cmp_le_f64_e32 vcc, 0.5, v[11:12]
	v_add_f64 v[16:17], v[26:27], -v[13:14]
	v_mov_b32_e32 v14, 0x3ff00000
	v_cndmask_b32_e32 v33, 0, v14, vcc
	v_add_f64 v[11:12], v[11:12], -v[32:33]
	v_addc_co_u32_e64 v13, s[0:1], 0, v35, vcc
	s_mov_b32 s0, 0x54442d18
	s_mov_b32 s1, 0x3ff921fb
	v_add_f64 v[5:6], v[5:6], v[16:17]
	v_add_f64 v[16:17], v[11:12], v[5:6]
	v_mul_f64 v[18:19], v[16:17], s[0:1]
	v_add_f64 v[11:12], v[16:17], -v[11:12]
	v_fma_f64 v[20:21], v[16:17], s[0:1], -v[18:19]
	v_add_f64 v[5:6], v[5:6], -v[11:12]
	v_fma_f64 v[11:12], v[16:17], s[16:17], v[20:21]
	v_fma_f64 v[11:12], v[5:6], s[0:1], v[11:12]
	v_add_f64 v[5:6], v[18:19], v[11:12]
	v_add_f64 v[16:17], v[5:6], -v[18:19]
	v_add_f64 v[11:12], v[11:12], -v[16:17]
.LBB2_35:
	s_andn2_saveexec_b64 s[0:1], s[14:15]
	s_cbranch_execz .LBB2_37
; %bb.36:
	s_mov_b32 s14, 0x6dc9c883
	s_mov_b32 s15, 0x3fe45f30
	v_mul_f64 v[5:6], |v[7:8]|, s[14:15]
	s_mov_b32 s14, 0x54442d18
	s_mov_b32 s15, 0xbff921fb
	;; [unrolled: 1-line block ×4, first 2 shown]
	v_rndne_f64_e32 v[13:14], v[5:6]
	v_fma_f64 v[5:6], v[13:14], s[14:15], |v[7:8]|
	v_mul_f64 v[11:12], v[13:14], s[16:17]
	s_mov_b32 s14, 0x252049c0
	s_mov_b32 s15, 0xb97b839a
	v_fma_f64 v[20:21], v[13:14], s[16:17], v[5:6]
	v_add_f64 v[16:17], v[5:6], v[11:12]
	s_mov_b32 s17, 0x3c91a626
	v_add_f64 v[18:19], v[5:6], -v[16:17]
	v_add_f64 v[16:17], v[16:17], -v[20:21]
	v_add_f64 v[5:6], v[18:19], v[11:12]
	v_fma_f64 v[11:12], v[13:14], s[16:17], v[11:12]
	v_add_f64 v[5:6], v[16:17], v[5:6]
	v_add_f64 v[5:6], v[5:6], -v[11:12]
	v_fma_f64 v[11:12], v[13:14], s[14:15], v[5:6]
	v_cvt_i32_f64_e32 v13, v[13:14]
	v_add_f64 v[5:6], v[20:21], v[11:12]
	v_add_f64 v[16:17], v[5:6], -v[20:21]
	v_add_f64 v[11:12], v[11:12], -v[16:17]
.LBB2_37:
	s_or_b64 exec, exec, s[0:1]
	v_mul_f64 v[16:17], v[5:6], v[5:6]
	s_mov_b32 s0, 0xf9a43bb8
	v_mov_b32_e32 v19, 0xb42fdfa7
	v_mov_b32_e32 v20, 0xbe5ae600
	s_mov_b32 s1, 0x3de5e0b2
	s_mov_b32 s14, 0x796cde01
	v_mov_b32_e32 v18, 0x9037ab78
	s_mov_b32 s15, 0x3ec71de3
	v_fma_f64 v[20:21], v[16:17], s[0:1], v[19:20]
	s_mov_b32 s0, 0x46cc5e42
	v_mov_b32_e32 v19, 0x3e21eeb6
	s_mov_b32 s1, 0xbda907db
	v_fma_f64 v[18:19], v[16:17], s[0:1], v[18:19]
	v_mul_f64 v[22:23], v[16:17], 0.5
	s_mov_b32 s0, 0xa17f65f6
	s_mov_b32 s16, 0x19e83e5c
	v_fma_f64 v[20:21], v[16:17], v[20:21], s[14:15]
	s_mov_b32 s1, 0xbe927e4f
	s_mov_b32 s17, 0xbf2a01a0
	;; [unrolled: 1-line block ×3, first 2 shown]
	v_fma_f64 v[18:19], v[16:17], v[18:19], s[0:1]
	v_add_f64 v[24:25], -v[22:23], 1.0
	s_mov_b32 s0, 0x11110bb3
	s_mov_b32 s15, 0x3efa01a0
	v_fma_f64 v[20:21], v[16:17], v[20:21], s[16:17]
	s_mov_b32 s1, 0x3f811111
	v_mul_f64 v[26:27], v[11:12], 0.5
	v_mul_f64 v[28:29], v[5:6], -v[16:17]
	v_fma_f64 v[18:19], v[16:17], v[18:19], s[14:15]
	v_add_f64 v[30:31], -v[24:25], 1.0
	v_fma_f64 v[20:21], v[16:17], v[20:21], s[0:1]
	s_mov_b32 s0, 0x16c16967
	s_mov_b32 s1, 0xbf56c16c
	v_fma_f64 v[18:19], v[16:17], v[18:19], s[0:1]
	v_add_f64 v[22:23], v[30:31], -v[22:23]
	s_mov_b32 s1, 0x3fa55555
	s_mov_b32 s0, 0x55555555
	v_fma_f64 v[20:21], v[28:29], v[20:21], v[26:27]
	v_mul_f64 v[26:27], v[16:17], v[16:17]
	v_fma_f64 v[18:19], v[16:17], v[18:19], s[0:1]
	v_fma_f64 v[22:23], v[5:6], -v[11:12], v[22:23]
	s_mov_b32 s1, 0xbfc55555
	v_fma_f64 v[11:12], v[16:17], v[20:21], -v[11:12]
	v_fma_f64 v[16:17], v[26:27], v[18:19], v[22:23]
	v_fma_f64 v[11:12], v[28:29], s[0:1], v[11:12]
	s_movk_i32 s0, 0x1f8
	v_cmp_class_f64_e64 s[0:1], v[7:8], s0
	v_add_f64 v[16:17], v[24:25], v[16:17]
	v_add_f64 v[5:6], v[5:6], -v[11:12]
	v_and_b32_e32 v11, 1, v13
	v_cmp_eq_u32_e32 vcc, 0, v11
	v_lshlrev_b32_e32 v11, 30, v13
	v_xor_b32_e32 v11, v11, v8
	v_and_b32_e32 v11, 0x80000000, v11
	v_mov_b32_e32 v12, 0x7ff80000
	v_cndmask_b32_e32 v6, v17, v6, vcc
	v_cndmask_b32_e32 v5, v16, v5, vcc
	v_xor_b32_e32 v6, v6, v11
	v_cndmask_b32_e64 v5, 0, v5, s[0:1]
	v_cndmask_b32_e64 v6, v12, v6, s[0:1]
	v_div_scale_f64 v[11:12], s[0:1], v[7:8], v[7:8], v[5:6]
	v_div_scale_f64 v[18:19], vcc, v[5:6], v[7:8], v[5:6]
	v_rcp_f64_e32 v[13:14], v[11:12]
	v_fma_f64 v[16:17], -v[11:12], v[13:14], 1.0
	v_fma_f64 v[13:14], v[13:14], v[16:17], v[13:14]
	v_fma_f64 v[16:17], -v[11:12], v[13:14], 1.0
	v_fma_f64 v[13:14], v[13:14], v[16:17], v[13:14]
	v_mul_f64 v[16:17], v[18:19], v[13:14]
	v_fma_f64 v[11:12], -v[11:12], v[16:17], v[18:19]
	v_div_fmas_f64 v[11:12], v[11:12], v[13:14], v[16:17]
	v_div_fixup_f64 v[11:12], v[11:12], v[7:8], v[5:6]
                                        ; implicit-def: $vgpr7_vgpr8
.LBB2_38:
	s_andn2_saveexec_b64 s[0:1], s[12:13]
	s_cbranch_execz .LBB2_40
; %bb.39:
	v_mul_f64 v[5:6], v[7:8], v[7:8]
	s_mov_b32 s12, 0x13a86d09
	v_mov_b32_e32 v7, 0x67f544e4
	v_mov_b32_e32 v8, 0xbe5ae645
	s_mov_b32 s13, 0x3de61246
	v_fma_f64 v[7:8], v[5:6], s[12:13], v[7:8]
	s_mov_b32 s12, 0xa556c734
	s_mov_b32 s13, 0x3ec71de3
	v_fma_f64 v[7:8], v[5:6], v[7:8], s[12:13]
	s_mov_b32 s12, 0x1a01a01a
	;; [unrolled: 3-line block ×4, first 2 shown]
	s_mov_b32 s13, 0xbfc55555
	v_fma_f64 v[7:8], v[5:6], v[7:8], s[12:13]
	v_fma_f64 v[11:12], v[5:6], v[7:8], 1.0
.LBB2_40:
	s_or_b64 exec, exec, s[0:1]
.LBB2_41:
	s_or_b64 exec, exec, s[6:7]
	s_add_u32 s0, s8, s2
	s_addc_u32 s1, s9, s3
	global_store_dwordx4 v15, v[1:4], s[0:1]
	global_store_dwordx4 v15, v[9:12], s[0:1] offset:16
	s_mov_b64 s[0:1], 0
.LBB2_42:
	s_and_b64 vcc, exec, s[0:1]
	s_cbranch_vccz .LBB2_93
; %bb.43:
	v_mov_b32_e32 v14, 0
	v_mov_b32_e32 v16, 0
	v_cmp_gt_i32_e64 s[0:1], s18, v0
	v_mov_b32_e32 v15, 0
	v_or_b32_e32 v1, s4, v0
	v_mov_b32_e32 v17, 0
	v_mov_b32_e32 v4, v0
	s_and_saveexec_b64 s[2:3], s[0:1]
	s_cbranch_execz .LBB2_45
; %bb.44:
	v_mov_b32_e32 v2, 0
	v_lshlrev_b64 v[2:3], 3, v[1:2]
	v_mov_b32_e32 v4, s11
	v_add_co_u32_e32 v2, vcc, s10, v2
	v_addc_co_u32_e32 v3, vcc, v4, v3, vcc
	global_load_dwordx2 v[16:17], v[2:3], off
	v_or_b32_e32 v4, 0x100, v0
.LBB2_45:
	s_or_b64 exec, exec, s[2:3]
	v_cmp_gt_i32_e32 vcc, s18, v4
	s_and_saveexec_b64 s[2:3], vcc
	s_cbranch_execz .LBB2_47
; %bb.46:
	v_add_u32_e32 v2, s4, v4
	v_mov_b32_e32 v3, 0
	v_lshlrev_b64 v[2:3], 3, v[2:3]
	v_mov_b32_e32 v5, s11
	v_add_co_u32_e32 v2, vcc, s10, v2
	v_addc_co_u32_e32 v3, vcc, v5, v3, vcc
	global_load_dwordx2 v[14:15], v[2:3], off
	v_add_u32_e32 v4, 0x100, v4
.LBB2_47:
	s_or_b64 exec, exec, s[2:3]
	v_mov_b32_e32 v2, 0
	v_mov_b32_e32 v6, 0
	;; [unrolled: 1-line block ×4, first 2 shown]
	v_cmp_gt_i32_e32 vcc, s18, v4
	s_and_saveexec_b64 s[2:3], vcc
	s_cbranch_execz .LBB2_49
; %bb.48:
	v_add_u32_e32 v5, s4, v4
	v_mov_b32_e32 v6, 0
	v_lshlrev_b64 v[5:6], 3, v[5:6]
	v_mov_b32_e32 v7, s11
	v_add_co_u32_e32 v5, vcc, s10, v5
	v_addc_co_u32_e32 v6, vcc, v7, v6, vcc
	global_load_dwordx2 v[6:7], v[5:6], off
	v_add_u32_e32 v4, 0x100, v4
.LBB2_49:
	s_or_b64 exec, exec, s[2:3]
	v_cmp_gt_i32_e32 vcc, s18, v4
	s_and_saveexec_b64 s[2:3], vcc
	s_cbranch_execz .LBB2_51
; %bb.50:
	v_add_u32_e32 v2, s4, v4
	v_mov_b32_e32 v3, 0
	v_lshlrev_b64 v[2:3], 3, v[2:3]
	v_mov_b32_e32 v4, s11
	v_add_co_u32_e32 v2, vcc, s10, v2
	v_addc_co_u32_e32 v3, vcc, v4, v3, vcc
	global_load_dwordx2 v[2:3], v[2:3], off
.LBB2_51:
	s_or_b64 exec, exec, s[2:3]
	v_mov_b32_e32 v4, 0
	v_mov_b32_e32 v5, v4
	v_mov_b32_e32 v12, v4
	v_mov_b32_e32 v13, v4
	v_mov_b32_e32 v10, v4
	v_mov_b32_e32 v11, v4
	v_mov_b32_e32 v8, v4
	v_mov_b32_e32 v9, v4
	s_and_saveexec_b64 s[6:7], s[0:1]
	s_cbranch_execz .LBB2_63
; %bb.52:
	s_mov_b32 s2, 0
	s_mov_b32 s3, 0x7ff00000
	s_waitcnt vmcnt(0)
	v_cmp_neq_f64_e64 s[2:3], |v[16:17]|, s[2:3]
	v_mov_b32_e32 v4, 0
	v_mov_b32_e32 v5, 0
	s_and_saveexec_b64 s[10:11], s[2:3]
	s_cbranch_execz .LBB2_62
; %bb.53:
	v_cmp_nlt_f64_e64 s[2:3], |v[16:17]|, 0.5
                                        ; implicit-def: $vgpr4_vgpr5
	s_and_saveexec_b64 s[12:13], s[2:3]
	s_xor_b64 s[12:13], exec, s[12:13]
	s_cbranch_execz .LBB2_59
; %bb.54:
	s_mov_b32 s2, 0
	s_mov_b32 s3, 0x41d00000
	v_cmp_nlt_f64_e64 s[2:3], |v[16:17]|, s[2:3]
                                        ; implicit-def: $vgpr10
                                        ; implicit-def: $vgpr4_vgpr5
                                        ; implicit-def: $vgpr8_vgpr9
	s_and_saveexec_b64 s[14:15], s[2:3]
	s_xor_b64 s[14:15], exec, s[14:15]
	s_cbranch_execz .LBB2_56
; %bb.55:
	v_trig_preop_f64 v[4:5], |v[16:17]|, 0
	s_mov_b32 s2, 0
	s_mov_b32 s3, 0x7b000000
	s_movk_i32 s5, 0xff80
	v_ldexp_f64 v[10:11], |v[16:17]|, s5
	v_cmp_ge_f64_e64 vcc, |v[16:17]|, s[2:3]
	v_trig_preop_f64 v[8:9], |v[16:17]|, 1
	v_and_b32_e32 v12, 0x7fffffff, v17
	v_trig_preop_f64 v[22:23], |v[16:17]|, 2
	s_mov_b32 s2, 0
	s_mov_b32 s3, 0x7ff00000
	v_mov_b32_e32 v33, 0x40100000
	v_mov_b32_e32 v32, 0
	v_cndmask_b32_e32 v11, v12, v11, vcc
	v_cndmask_b32_e32 v10, v16, v10, vcc
	s_mov_b32 s16, 0x33145c07
	v_mul_f64 v[12:13], v[4:5], v[10:11]
	s_mov_b32 s17, 0x3c91a626
	v_mul_f64 v[18:19], v[8:9], v[10:11]
	v_mul_f64 v[28:29], v[22:23], v[10:11]
	v_fma_f64 v[4:5], v[4:5], v[10:11], -v[12:13]
	v_fma_f64 v[8:9], v[8:9], v[10:11], -v[18:19]
	;; [unrolled: 1-line block ×3, first 2 shown]
	v_add_f64 v[20:21], v[18:19], v[4:5]
	v_add_f64 v[24:25], v[20:21], -v[18:19]
	v_add_f64 v[30:31], v[12:13], v[20:21]
	v_add_f64 v[26:27], v[20:21], -v[24:25]
	v_add_f64 v[4:5], v[4:5], -v[24:25]
	v_add_f64 v[24:25], v[28:29], v[8:9]
	v_add_f64 v[12:13], v[30:31], -v[12:13]
	v_add_f64 v[18:19], v[18:19], -v[26:27]
	v_ldexp_f64 v[26:27], v[30:31], -2
	v_add_f64 v[34:35], v[24:25], -v[28:29]
	v_add_f64 v[12:13], v[20:21], -v[12:13]
	v_add_f64 v[4:5], v[4:5], v[18:19]
	v_fract_f64_e32 v[18:19], v[26:27]
	v_cmp_neq_f64_e64 vcc, |v[26:27]|, s[2:3]
	v_add_f64 v[8:9], v[8:9], -v[34:35]
	v_add_f64 v[20:21], v[24:25], v[4:5]
	v_ldexp_f64 v[18:19], v[18:19], 2
	v_add_f64 v[26:27], v[12:13], v[20:21]
	v_cndmask_b32_e32 v19, 0, v19, vcc
	v_cndmask_b32_e32 v18, 0, v18, vcc
	v_add_f64 v[36:37], v[20:21], -v[24:25]
	v_add_f64 v[30:31], v[26:27], v[18:19]
	v_add_f64 v[12:13], v[26:27], -v[12:13]
	v_add_f64 v[38:39], v[20:21], -v[36:37]
	;; [unrolled: 1-line block ×3, first 2 shown]
	v_cmp_gt_f64_e32 vcc, 0, v[30:31]
	v_add_f64 v[30:31], v[24:25], -v[34:35]
	v_add_f64 v[12:13], v[20:21], -v[12:13]
	;; [unrolled: 1-line block ×3, first 2 shown]
	v_cndmask_b32_e32 v33, 0, v33, vcc
	v_add_f64 v[18:19], v[18:19], v[32:33]
	v_add_f64 v[30:31], v[28:29], -v[30:31]
	v_add_f64 v[4:5], v[4:5], v[24:25]
	v_add_f64 v[40:41], v[26:27], v[18:19]
	;; [unrolled: 1-line block ×3, first 2 shown]
	v_cvt_i32_f64_e32 v35, v[40:41]
	v_add_f64 v[4:5], v[8:9], v[4:5]
	v_cvt_f64_i32_e32 v[33:34], v35
	v_add_f64 v[18:19], v[18:19], -v[33:34]
	v_add_f64 v[4:5], v[10:11], v[4:5]
	v_add_f64 v[8:9], v[26:27], v[18:19]
	;; [unrolled: 1-line block ×3, first 2 shown]
	v_mov_b32_e32 v13, 0x3ff00000
	v_add_f64 v[10:11], v[8:9], -v[18:19]
	v_cmp_le_f64_e32 vcc, 0.5, v[8:9]
	v_add_f64 v[11:12], v[26:27], -v[10:11]
	v_cndmask_b32_e32 v33, 0, v13, vcc
	v_add_f64 v[8:9], v[8:9], -v[32:33]
	v_addc_co_u32_e64 v10, s[2:3], 0, v35, vcc
	s_mov_b32 s2, 0x54442d18
	s_mov_b32 s3, 0x3ff921fb
	v_add_f64 v[4:5], v[4:5], v[11:12]
	v_add_f64 v[11:12], v[8:9], v[4:5]
	v_mul_f64 v[18:19], v[11:12], s[2:3]
	v_add_f64 v[8:9], v[11:12], -v[8:9]
	v_fma_f64 v[20:21], v[11:12], s[2:3], -v[18:19]
	v_add_f64 v[4:5], v[4:5], -v[8:9]
	v_fma_f64 v[8:9], v[11:12], s[16:17], v[20:21]
	v_fma_f64 v[8:9], v[4:5], s[2:3], v[8:9]
	v_add_f64 v[4:5], v[18:19], v[8:9]
	v_add_f64 v[11:12], v[4:5], -v[18:19]
	v_add_f64 v[8:9], v[8:9], -v[11:12]
.LBB2_56:
	s_andn2_saveexec_b64 s[2:3], s[14:15]
	s_cbranch_execz .LBB2_58
; %bb.57:
	s_mov_b32 s14, 0x6dc9c883
	s_mov_b32 s15, 0x3fe45f30
	v_mul_f64 v[4:5], |v[16:17]|, s[14:15]
	s_mov_b32 s14, 0x54442d18
	s_mov_b32 s15, 0xbff921fb
	s_mov_b32 s17, 0xbc91a626
	s_mov_b32 s16, 0x33145c00
	v_rndne_f64_e32 v[10:11], v[4:5]
	v_fma_f64 v[4:5], v[10:11], s[14:15], |v[16:17]|
	v_mul_f64 v[8:9], v[10:11], s[16:17]
	s_mov_b32 s14, 0x252049c0
	s_mov_b32 s15, 0xb97b839a
	v_fma_f64 v[20:21], v[10:11], s[16:17], v[4:5]
	v_add_f64 v[12:13], v[4:5], v[8:9]
	s_mov_b32 s17, 0x3c91a626
	v_add_f64 v[18:19], v[4:5], -v[12:13]
	v_add_f64 v[12:13], v[12:13], -v[20:21]
	v_add_f64 v[4:5], v[18:19], v[8:9]
	v_fma_f64 v[8:9], v[10:11], s[16:17], v[8:9]
	v_add_f64 v[4:5], v[12:13], v[4:5]
	v_add_f64 v[4:5], v[4:5], -v[8:9]
	v_fma_f64 v[8:9], v[10:11], s[14:15], v[4:5]
	v_cvt_i32_f64_e32 v10, v[10:11]
	v_add_f64 v[4:5], v[20:21], v[8:9]
	v_add_f64 v[12:13], v[4:5], -v[20:21]
	v_add_f64 v[8:9], v[8:9], -v[12:13]
.LBB2_58:
	s_or_b64 exec, exec, s[2:3]
	v_mul_f64 v[11:12], v[4:5], v[4:5]
	s_mov_b32 s2, 0xf9a43bb8
	v_mov_b32_e32 v19, 0xb42fdfa7
	v_mov_b32_e32 v20, 0xbe5ae600
	s_mov_b32 s3, 0x3de5e0b2
	s_mov_b32 s14, 0x796cde01
	v_mov_b32_e32 v18, 0x9037ab78
	s_mov_b32 s15, 0x3ec71de3
	v_fma_f64 v[20:21], v[11:12], s[2:3], v[19:20]
	s_mov_b32 s2, 0x46cc5e42
	v_mov_b32_e32 v19, 0x3e21eeb6
	s_mov_b32 s3, 0xbda907db
	v_fma_f64 v[18:19], v[11:12], s[2:3], v[18:19]
	v_mul_f64 v[22:23], v[11:12], 0.5
	s_mov_b32 s2, 0xa17f65f6
	s_mov_b32 s16, 0x19e83e5c
	v_fma_f64 v[20:21], v[11:12], v[20:21], s[14:15]
	s_mov_b32 s3, 0xbe927e4f
	s_mov_b32 s17, 0xbf2a01a0
	;; [unrolled: 1-line block ×3, first 2 shown]
	v_fma_f64 v[18:19], v[11:12], v[18:19], s[2:3]
	v_add_f64 v[24:25], -v[22:23], 1.0
	s_mov_b32 s2, 0x11110bb3
	s_mov_b32 s15, 0x3efa01a0
	v_fma_f64 v[20:21], v[11:12], v[20:21], s[16:17]
	s_mov_b32 s3, 0x3f811111
	v_mul_f64 v[26:27], v[8:9], 0.5
	v_mul_f64 v[28:29], v[4:5], -v[11:12]
	v_fma_f64 v[18:19], v[11:12], v[18:19], s[14:15]
	v_add_f64 v[30:31], -v[24:25], 1.0
	v_fma_f64 v[20:21], v[11:12], v[20:21], s[2:3]
	s_mov_b32 s2, 0x16c16967
	s_mov_b32 s3, 0xbf56c16c
	v_fma_f64 v[18:19], v[11:12], v[18:19], s[2:3]
	v_add_f64 v[22:23], v[30:31], -v[22:23]
	s_mov_b32 s3, 0x3fa55555
	s_mov_b32 s2, 0x55555555
	v_fma_f64 v[20:21], v[28:29], v[20:21], v[26:27]
	v_mul_f64 v[26:27], v[11:12], v[11:12]
	v_fma_f64 v[18:19], v[11:12], v[18:19], s[2:3]
	v_fma_f64 v[22:23], v[4:5], -v[8:9], v[22:23]
	s_mov_b32 s3, 0xbfc55555
	v_fma_f64 v[8:9], v[11:12], v[20:21], -v[8:9]
	v_fma_f64 v[11:12], v[26:27], v[18:19], v[22:23]
	v_fma_f64 v[8:9], v[28:29], s[2:3], v[8:9]
	s_movk_i32 s2, 0x1f8
	v_cmp_class_f64_e64 s[2:3], v[16:17], s2
	v_add_f64 v[11:12], v[24:25], v[11:12]
	v_add_f64 v[4:5], v[4:5], -v[8:9]
	v_and_b32_e32 v8, 1, v10
	v_cmp_eq_u32_e32 vcc, 0, v8
	v_lshlrev_b32_e32 v8, 30, v10
	v_xor_b32_e32 v8, v8, v17
	v_and_b32_e32 v8, 0x80000000, v8
	v_mov_b32_e32 v9, 0x7ff80000
	v_cndmask_b32_e32 v5, v12, v5, vcc
	v_cndmask_b32_e32 v4, v11, v4, vcc
	v_xor_b32_e32 v5, v5, v8
	v_cndmask_b32_e64 v4, 0, v4, s[2:3]
	v_cndmask_b32_e64 v5, v9, v5, s[2:3]
	v_div_scale_f64 v[8:9], s[2:3], v[16:17], v[16:17], v[4:5]
	v_div_scale_f64 v[18:19], vcc, v[4:5], v[16:17], v[4:5]
	v_rcp_f64_e32 v[10:11], v[8:9]
	v_fma_f64 v[12:13], -v[8:9], v[10:11], 1.0
	v_fma_f64 v[10:11], v[10:11], v[12:13], v[10:11]
	v_fma_f64 v[12:13], -v[8:9], v[10:11], 1.0
	v_fma_f64 v[10:11], v[10:11], v[12:13], v[10:11]
	v_mul_f64 v[12:13], v[18:19], v[10:11]
	v_fma_f64 v[8:9], -v[8:9], v[12:13], v[18:19]
	v_div_fmas_f64 v[8:9], v[8:9], v[10:11], v[12:13]
	v_div_fixup_f64 v[4:5], v[8:9], v[16:17], v[4:5]
                                        ; implicit-def: $vgpr16_vgpr17
.LBB2_59:
	s_andn2_saveexec_b64 s[2:3], s[12:13]
	s_cbranch_execz .LBB2_61
; %bb.60:
	v_mul_f64 v[4:5], v[16:17], v[16:17]
	s_mov_b32 s12, 0x13a86d09
	v_mov_b32_e32 v8, 0x67f544e4
	v_mov_b32_e32 v9, 0xbe5ae645
	s_mov_b32 s13, 0x3de61246
	v_fma_f64 v[8:9], v[4:5], s[12:13], v[8:9]
	s_mov_b32 s12, 0xa556c734
	s_mov_b32 s13, 0x3ec71de3
	v_fma_f64 v[8:9], v[4:5], v[8:9], s[12:13]
	s_mov_b32 s12, 0x1a01a01a
	;; [unrolled: 3-line block ×4, first 2 shown]
	s_mov_b32 s13, 0xbfc55555
	v_fma_f64 v[8:9], v[4:5], v[8:9], s[12:13]
	v_fma_f64 v[4:5], v[4:5], v[8:9], 1.0
.LBB2_61:
	s_or_b64 exec, exec, s[2:3]
.LBB2_62:
	s_or_b64 exec, exec, s[10:11]
	v_mov_b32_e32 v12, 0
	v_mov_b32_e32 v13, v12
	;; [unrolled: 1-line block ×6, first 2 shown]
.LBB2_63:
	s_or_b64 exec, exec, s[6:7]
	v_or_b32_e32 v18, 0x100, v0
	v_cmp_gt_i32_e32 vcc, s18, v18
	s_and_saveexec_b64 s[6:7], vcc
	s_cbranch_execz .LBB2_75
; %bb.64:
	s_mov_b32 s2, 0
	s_mov_b32 s3, 0x7ff00000
	s_waitcnt vmcnt(0)
	v_cmp_neq_f64_e64 s[2:3], |v[14:15]|, s[2:3]
	v_mov_b32_e32 v12, 0
	v_mov_b32_e32 v13, 0
	s_and_saveexec_b64 s[10:11], s[2:3]
	s_cbranch_execz .LBB2_74
; %bb.65:
	v_cmp_nlt_f64_e64 s[2:3], |v[14:15]|, 0.5
	s_and_saveexec_b64 s[12:13], s[2:3]
	s_xor_b64 s[12:13], exec, s[12:13]
                                        ; implicit-def: $vgpr12_vgpr13
	s_cbranch_execz .LBB2_71
; %bb.66:
	s_mov_b32 s2, 0
	s_mov_b32 s3, 0x41d00000
	v_cmp_nlt_f64_e64 s[2:3], |v[14:15]|, s[2:3]
                                        ; implicit-def: $vgpr19
                                        ; implicit-def: $vgpr12_vgpr13
                                        ; implicit-def: $vgpr16_vgpr17
	s_and_saveexec_b64 s[14:15], s[2:3]
	s_xor_b64 s[2:3], exec, s[14:15]
	s_cbranch_execz .LBB2_68
; %bb.67:
	v_trig_preop_f64 v[12:13], |v[14:15]|, 0
	s_mov_b32 s14, 0
	s_mov_b32 s15, 0x7b000000
	s_movk_i32 s5, 0xff80
	v_ldexp_f64 v[19:20], |v[14:15]|, s5
	v_cmp_ge_f64_e64 vcc, |v[14:15]|, s[14:15]
	v_trig_preop_f64 v[16:17], |v[14:15]|, 1
	v_and_b32_e32 v21, 0x7fffffff, v15
	v_trig_preop_f64 v[27:28], |v[14:15]|, 2
	s_mov_b32 s14, 0
	s_mov_b32 s15, 0x7ff00000
	v_mov_b32_e32 v38, 0x40100000
	v_mov_b32_e32 v37, 0
	v_cndmask_b32_e32 v20, v21, v20, vcc
	v_cndmask_b32_e32 v19, v14, v19, vcc
	s_mov_b32 s16, 0x33145c07
	v_mul_f64 v[21:22], v[12:13], v[19:20]
	s_mov_b32 s17, 0x3c91a626
	v_mul_f64 v[23:24], v[16:17], v[19:20]
	v_mul_f64 v[33:34], v[27:28], v[19:20]
	v_fma_f64 v[12:13], v[12:13], v[19:20], -v[21:22]
	v_fma_f64 v[16:17], v[16:17], v[19:20], -v[23:24]
	;; [unrolled: 1-line block ×3, first 2 shown]
	v_add_f64 v[25:26], v[23:24], v[12:13]
	v_add_f64 v[29:30], v[25:26], -v[23:24]
	v_add_f64 v[35:36], v[21:22], v[25:26]
	v_add_f64 v[31:32], v[25:26], -v[29:30]
	v_add_f64 v[12:13], v[12:13], -v[29:30]
	v_add_f64 v[29:30], v[33:34], v[16:17]
	v_add_f64 v[21:22], v[35:36], -v[21:22]
	v_add_f64 v[23:24], v[23:24], -v[31:32]
	v_ldexp_f64 v[31:32], v[35:36], -2
	v_add_f64 v[39:40], v[29:30], -v[33:34]
	v_add_f64 v[21:22], v[25:26], -v[21:22]
	v_add_f64 v[12:13], v[12:13], v[23:24]
	v_fract_f64_e32 v[23:24], v[31:32]
	v_cmp_neq_f64_e64 vcc, |v[31:32]|, s[14:15]
	v_add_f64 v[16:17], v[16:17], -v[39:40]
	s_mov_b32 s14, 0x54442d18
	s_mov_b32 s15, 0x3ff921fb
	v_add_f64 v[25:26], v[29:30], v[12:13]
	v_ldexp_f64 v[23:24], v[23:24], 2
	v_add_f64 v[31:32], v[21:22], v[25:26]
	v_cndmask_b32_e32 v24, 0, v24, vcc
	v_cndmask_b32_e32 v23, 0, v23, vcc
	v_add_f64 v[41:42], v[25:26], -v[29:30]
	v_add_f64 v[35:36], v[31:32], v[23:24]
	v_add_f64 v[21:22], v[31:32], -v[21:22]
	v_add_f64 v[43:44], v[25:26], -v[41:42]
	;; [unrolled: 1-line block ×3, first 2 shown]
	v_cmp_gt_f64_e32 vcc, 0, v[35:36]
	v_add_f64 v[35:36], v[29:30], -v[39:40]
	v_add_f64 v[21:22], v[25:26], -v[21:22]
	v_add_f64 v[29:30], v[29:30], -v[43:44]
	v_cndmask_b32_e32 v38, 0, v38, vcc
	v_add_f64 v[23:24], v[23:24], v[37:38]
	v_add_f64 v[35:36], v[33:34], -v[35:36]
	v_add_f64 v[12:13], v[12:13], v[29:30]
	v_add_f64 v[45:46], v[31:32], v[23:24]
	;; [unrolled: 1-line block ×3, first 2 shown]
	v_cvt_i32_f64_e32 v40, v[45:46]
	v_add_f64 v[12:13], v[16:17], v[12:13]
	v_cvt_f64_i32_e32 v[38:39], v40
	v_add_f64 v[23:24], v[23:24], -v[38:39]
	v_add_f64 v[12:13], v[19:20], v[12:13]
	v_add_f64 v[16:17], v[31:32], v[23:24]
	;; [unrolled: 1-line block ×3, first 2 shown]
	v_mov_b32_e32 v21, 0x3ff00000
	v_add_f64 v[19:20], v[16:17], -v[23:24]
	v_cmp_le_f64_e32 vcc, 0.5, v[16:17]
	v_add_f64 v[19:20], v[31:32], -v[19:20]
	v_cndmask_b32_e32 v38, 0, v21, vcc
	v_add_f64 v[16:17], v[16:17], -v[37:38]
	v_add_f64 v[12:13], v[12:13], v[19:20]
	v_add_f64 v[19:20], v[16:17], v[12:13]
	v_mul_f64 v[21:22], v[19:20], s[14:15]
	v_add_f64 v[16:17], v[19:20], -v[16:17]
	v_fma_f64 v[23:24], v[19:20], s[14:15], -v[21:22]
	v_add_f64 v[12:13], v[12:13], -v[16:17]
	v_fma_f64 v[16:17], v[19:20], s[16:17], v[23:24]
	v_fma_f64 v[16:17], v[12:13], s[14:15], v[16:17]
	v_add_f64 v[12:13], v[21:22], v[16:17]
	v_add_f64 v[19:20], v[12:13], -v[21:22]
	v_add_f64 v[16:17], v[16:17], -v[19:20]
	v_addc_co_u32_e32 v19, vcc, 0, v40, vcc
.LBB2_68:
	s_andn2_saveexec_b64 s[2:3], s[2:3]
	s_cbranch_execz .LBB2_70
; %bb.69:
	s_mov_b32 s14, 0x6dc9c883
	s_mov_b32 s15, 0x3fe45f30
	v_mul_f64 v[12:13], |v[14:15]|, s[14:15]
	s_mov_b32 s14, 0x54442d18
	s_mov_b32 s15, 0xbff921fb
	s_mov_b32 s17, 0xbc91a626
	s_mov_b32 s16, 0x33145c00
	v_rndne_f64_e32 v[19:20], v[12:13]
	v_fma_f64 v[12:13], v[19:20], s[14:15], |v[14:15]|
	v_mul_f64 v[16:17], v[19:20], s[16:17]
	s_mov_b32 s14, 0x252049c0
	s_mov_b32 s15, 0xb97b839a
	v_fma_f64 v[25:26], v[19:20], s[16:17], v[12:13]
	v_add_f64 v[21:22], v[12:13], v[16:17]
	s_mov_b32 s17, 0x3c91a626
	v_add_f64 v[23:24], v[12:13], -v[21:22]
	v_add_f64 v[21:22], v[21:22], -v[25:26]
	v_add_f64 v[12:13], v[23:24], v[16:17]
	v_fma_f64 v[16:17], v[19:20], s[16:17], v[16:17]
	v_add_f64 v[12:13], v[21:22], v[12:13]
	v_add_f64 v[12:13], v[12:13], -v[16:17]
	v_fma_f64 v[16:17], v[19:20], s[14:15], v[12:13]
	v_cvt_i32_f64_e32 v19, v[19:20]
	v_add_f64 v[12:13], v[25:26], v[16:17]
	v_add_f64 v[21:22], v[12:13], -v[25:26]
	v_add_f64 v[16:17], v[16:17], -v[21:22]
.LBB2_70:
	s_or_b64 exec, exec, s[2:3]
	v_mul_f64 v[20:21], v[12:13], v[12:13]
	s_mov_b32 s2, 0xf9a43bb8
	v_mov_b32_e32 v23, 0xb42fdfa7
	v_mov_b32_e32 v24, 0xbe5ae600
	s_mov_b32 s3, 0x3de5e0b2
	s_mov_b32 s14, 0x796cde01
	v_mov_b32_e32 v22, 0x9037ab78
	s_mov_b32 s15, 0x3ec71de3
	v_fma_f64 v[24:25], v[20:21], s[2:3], v[23:24]
	s_mov_b32 s2, 0x46cc5e42
	v_mov_b32_e32 v23, 0x3e21eeb6
	s_mov_b32 s3, 0xbda907db
	v_fma_f64 v[22:23], v[20:21], s[2:3], v[22:23]
	v_mul_f64 v[26:27], v[20:21], 0.5
	s_mov_b32 s2, 0xa17f65f6
	s_mov_b32 s16, 0x19e83e5c
	v_fma_f64 v[24:25], v[20:21], v[24:25], s[14:15]
	s_mov_b32 s3, 0xbe927e4f
	s_mov_b32 s17, 0xbf2a01a0
	;; [unrolled: 1-line block ×3, first 2 shown]
	v_fma_f64 v[22:23], v[20:21], v[22:23], s[2:3]
	v_add_f64 v[28:29], -v[26:27], 1.0
	s_mov_b32 s2, 0x11110bb3
	s_mov_b32 s15, 0x3efa01a0
	v_fma_f64 v[24:25], v[20:21], v[24:25], s[16:17]
	s_mov_b32 s3, 0x3f811111
	v_mul_f64 v[30:31], v[16:17], 0.5
	v_mul_f64 v[32:33], v[12:13], -v[20:21]
	v_fma_f64 v[22:23], v[20:21], v[22:23], s[14:15]
	v_add_f64 v[34:35], -v[28:29], 1.0
	v_fma_f64 v[24:25], v[20:21], v[24:25], s[2:3]
	s_mov_b32 s2, 0x16c16967
	s_mov_b32 s3, 0xbf56c16c
	v_fma_f64 v[22:23], v[20:21], v[22:23], s[2:3]
	v_add_f64 v[26:27], v[34:35], -v[26:27]
	s_mov_b32 s3, 0x3fa55555
	s_mov_b32 s2, 0x55555555
	v_fma_f64 v[24:25], v[32:33], v[24:25], v[30:31]
	v_mul_f64 v[30:31], v[20:21], v[20:21]
	v_fma_f64 v[22:23], v[20:21], v[22:23], s[2:3]
	v_fma_f64 v[26:27], v[12:13], -v[16:17], v[26:27]
	s_mov_b32 s3, 0xbfc55555
	v_fma_f64 v[16:17], v[20:21], v[24:25], -v[16:17]
	v_fma_f64 v[20:21], v[30:31], v[22:23], v[26:27]
	v_fma_f64 v[16:17], v[32:33], s[2:3], v[16:17]
	s_movk_i32 s2, 0x1f8
	v_cmp_class_f64_e64 s[2:3], v[14:15], s2
	v_add_f64 v[20:21], v[28:29], v[20:21]
	v_add_f64 v[12:13], v[12:13], -v[16:17]
	v_and_b32_e32 v16, 1, v19
	v_cmp_eq_u32_e32 vcc, 0, v16
	v_lshlrev_b32_e32 v16, 30, v19
	v_xor_b32_e32 v16, v16, v15
	v_and_b32_e32 v16, 0x80000000, v16
	v_mov_b32_e32 v17, 0x7ff80000
	v_cndmask_b32_e32 v13, v21, v13, vcc
	v_cndmask_b32_e32 v12, v20, v12, vcc
	v_xor_b32_e32 v13, v13, v16
	v_cndmask_b32_e64 v12, 0, v12, s[2:3]
	v_cndmask_b32_e64 v13, v17, v13, s[2:3]
	v_div_scale_f64 v[16:17], s[2:3], v[14:15], v[14:15], v[12:13]
	v_div_scale_f64 v[23:24], vcc, v[12:13], v[14:15], v[12:13]
	v_rcp_f64_e32 v[19:20], v[16:17]
	v_fma_f64 v[21:22], -v[16:17], v[19:20], 1.0
	v_fma_f64 v[19:20], v[19:20], v[21:22], v[19:20]
	v_fma_f64 v[21:22], -v[16:17], v[19:20], 1.0
	v_fma_f64 v[19:20], v[19:20], v[21:22], v[19:20]
	v_mul_f64 v[21:22], v[23:24], v[19:20]
	v_fma_f64 v[16:17], -v[16:17], v[21:22], v[23:24]
	v_div_fmas_f64 v[16:17], v[16:17], v[19:20], v[21:22]
	v_div_fixup_f64 v[12:13], v[16:17], v[14:15], v[12:13]
                                        ; implicit-def: $vgpr14_vgpr15
.LBB2_71:
	s_andn2_saveexec_b64 s[2:3], s[12:13]
	s_cbranch_execz .LBB2_73
; %bb.72:
	v_mul_f64 v[12:13], v[14:15], v[14:15]
	s_mov_b32 s12, 0x13a86d09
	v_mov_b32_e32 v14, 0x67f544e4
	v_mov_b32_e32 v15, 0xbe5ae645
	s_mov_b32 s13, 0x3de61246
	v_fma_f64 v[14:15], v[12:13], s[12:13], v[14:15]
	s_mov_b32 s12, 0xa556c734
	s_mov_b32 s13, 0x3ec71de3
	v_fma_f64 v[14:15], v[12:13], v[14:15], s[12:13]
	s_mov_b32 s12, 0x1a01a01a
	;; [unrolled: 3-line block ×4, first 2 shown]
	s_mov_b32 s13, 0xbfc55555
	v_fma_f64 v[14:15], v[12:13], v[14:15], s[12:13]
	v_fma_f64 v[12:13], v[12:13], v[14:15], 1.0
.LBB2_73:
	s_or_b64 exec, exec, s[2:3]
.LBB2_74:
	s_or_b64 exec, exec, s[10:11]
.LBB2_75:
	s_or_b64 exec, exec, s[6:7]
	s_waitcnt vmcnt(0)
	v_or_b32_e32 v14, 0x200, v0
	v_cmp_gt_i32_e32 vcc, s18, v14
	s_and_saveexec_b64 s[6:7], vcc
	s_cbranch_execz .LBB2_87
; %bb.76:
	s_mov_b32 s2, 0
	s_mov_b32 s3, 0x7ff00000
	v_cmp_neq_f64_e64 s[2:3], |v[6:7]|, s[2:3]
	v_mov_b32_e32 v10, 0
	v_mov_b32_e32 v11, 0
	s_and_saveexec_b64 s[10:11], s[2:3]
	s_cbranch_execz .LBB2_86
; %bb.77:
	v_cmp_nlt_f64_e64 s[2:3], |v[6:7]|, 0.5
	s_and_saveexec_b64 s[12:13], s[2:3]
	s_xor_b64 s[12:13], exec, s[12:13]
                                        ; implicit-def: $vgpr10_vgpr11
	s_cbranch_execz .LBB2_83
; %bb.78:
	s_mov_b32 s2, 0
	s_mov_b32 s3, 0x41d00000
	v_cmp_nlt_f64_e64 s[2:3], |v[6:7]|, s[2:3]
                                        ; implicit-def: $vgpr16
                                        ; implicit-def: $vgpr10_vgpr11
                                        ; implicit-def: $vgpr14_vgpr15
	s_and_saveexec_b64 s[14:15], s[2:3]
	s_xor_b64 s[14:15], exec, s[14:15]
	s_cbranch_execz .LBB2_80
; %bb.79:
	v_trig_preop_f64 v[10:11], |v[6:7]|, 0
	s_mov_b32 s2, 0
	s_mov_b32 s3, 0x7b000000
	s_movk_i32 s5, 0xff80
	v_ldexp_f64 v[16:17], |v[6:7]|, s5
	v_cmp_ge_f64_e64 vcc, |v[6:7]|, s[2:3]
	v_trig_preop_f64 v[14:15], |v[6:7]|, 1
	v_and_b32_e32 v19, 0x7fffffff, v7
	v_trig_preop_f64 v[25:26], |v[6:7]|, 2
	s_mov_b32 s2, 0
	s_mov_b32 s3, 0x7ff00000
	v_mov_b32_e32 v36, 0x40100000
	v_mov_b32_e32 v35, 0
	v_cndmask_b32_e32 v17, v19, v17, vcc
	v_cndmask_b32_e32 v16, v6, v16, vcc
	s_mov_b32 s16, 0x33145c07
	v_mul_f64 v[19:20], v[10:11], v[16:17]
	s_mov_b32 s17, 0x3c91a626
	v_mul_f64 v[21:22], v[14:15], v[16:17]
	v_mul_f64 v[31:32], v[25:26], v[16:17]
	v_fma_f64 v[10:11], v[10:11], v[16:17], -v[19:20]
	v_fma_f64 v[14:15], v[14:15], v[16:17], -v[21:22]
	;; [unrolled: 1-line block ×3, first 2 shown]
	v_add_f64 v[23:24], v[21:22], v[10:11]
	v_add_f64 v[27:28], v[23:24], -v[21:22]
	v_add_f64 v[33:34], v[19:20], v[23:24]
	v_add_f64 v[29:30], v[23:24], -v[27:28]
	v_add_f64 v[10:11], v[10:11], -v[27:28]
	v_add_f64 v[27:28], v[31:32], v[14:15]
	v_add_f64 v[19:20], v[33:34], -v[19:20]
	v_add_f64 v[21:22], v[21:22], -v[29:30]
	v_ldexp_f64 v[29:30], v[33:34], -2
	v_add_f64 v[37:38], v[27:28], -v[31:32]
	v_add_f64 v[19:20], v[23:24], -v[19:20]
	v_add_f64 v[10:11], v[10:11], v[21:22]
	v_fract_f64_e32 v[21:22], v[29:30]
	v_cmp_neq_f64_e64 vcc, |v[29:30]|, s[2:3]
	v_add_f64 v[14:15], v[14:15], -v[37:38]
	v_add_f64 v[23:24], v[27:28], v[10:11]
	v_ldexp_f64 v[21:22], v[21:22], 2
	v_add_f64 v[29:30], v[19:20], v[23:24]
	v_cndmask_b32_e32 v22, 0, v22, vcc
	v_cndmask_b32_e32 v21, 0, v21, vcc
	v_add_f64 v[39:40], v[23:24], -v[27:28]
	v_add_f64 v[33:34], v[29:30], v[21:22]
	v_add_f64 v[19:20], v[29:30], -v[19:20]
	v_add_f64 v[41:42], v[23:24], -v[39:40]
	v_add_f64 v[10:11], v[10:11], -v[39:40]
	v_cmp_gt_f64_e32 vcc, 0, v[33:34]
	v_add_f64 v[33:34], v[27:28], -v[37:38]
	v_add_f64 v[19:20], v[23:24], -v[19:20]
	;; [unrolled: 1-line block ×3, first 2 shown]
	v_cndmask_b32_e32 v36, 0, v36, vcc
	v_add_f64 v[21:22], v[21:22], v[35:36]
	v_add_f64 v[33:34], v[31:32], -v[33:34]
	v_add_f64 v[10:11], v[10:11], v[27:28]
	v_add_f64 v[43:44], v[29:30], v[21:22]
	;; [unrolled: 1-line block ×3, first 2 shown]
	v_cvt_i32_f64_e32 v38, v[43:44]
	v_add_f64 v[10:11], v[14:15], v[10:11]
	v_cvt_f64_i32_e32 v[36:37], v38
	v_add_f64 v[21:22], v[21:22], -v[36:37]
	v_add_f64 v[10:11], v[16:17], v[10:11]
	v_add_f64 v[14:15], v[29:30], v[21:22]
	;; [unrolled: 1-line block ×3, first 2 shown]
	v_add_f64 v[16:17], v[14:15], -v[21:22]
	v_cmp_le_f64_e32 vcc, 0.5, v[14:15]
	v_add_f64 v[19:20], v[29:30], -v[16:17]
	v_mov_b32_e32 v17, 0x3ff00000
	v_cndmask_b32_e32 v36, 0, v17, vcc
	v_add_f64 v[14:15], v[14:15], -v[35:36]
	v_addc_co_u32_e64 v16, s[2:3], 0, v38, vcc
	s_mov_b32 s2, 0x54442d18
	s_mov_b32 s3, 0x3ff921fb
	v_add_f64 v[10:11], v[10:11], v[19:20]
	v_add_f64 v[19:20], v[14:15], v[10:11]
	v_mul_f64 v[21:22], v[19:20], s[2:3]
	v_add_f64 v[14:15], v[19:20], -v[14:15]
	v_fma_f64 v[23:24], v[19:20], s[2:3], -v[21:22]
	v_add_f64 v[10:11], v[10:11], -v[14:15]
	v_fma_f64 v[14:15], v[19:20], s[16:17], v[23:24]
	v_fma_f64 v[14:15], v[10:11], s[2:3], v[14:15]
	v_add_f64 v[10:11], v[21:22], v[14:15]
	v_add_f64 v[19:20], v[10:11], -v[21:22]
	v_add_f64 v[14:15], v[14:15], -v[19:20]
.LBB2_80:
	s_andn2_saveexec_b64 s[2:3], s[14:15]
	s_cbranch_execz .LBB2_82
; %bb.81:
	s_mov_b32 s14, 0x6dc9c883
	s_mov_b32 s15, 0x3fe45f30
	v_mul_f64 v[10:11], |v[6:7]|, s[14:15]
	s_mov_b32 s14, 0x54442d18
	s_mov_b32 s15, 0xbff921fb
	;; [unrolled: 1-line block ×4, first 2 shown]
	v_rndne_f64_e32 v[16:17], v[10:11]
	v_fma_f64 v[10:11], v[16:17], s[14:15], |v[6:7]|
	v_mul_f64 v[14:15], v[16:17], s[16:17]
	s_mov_b32 s14, 0x252049c0
	s_mov_b32 s15, 0xb97b839a
	v_fma_f64 v[23:24], v[16:17], s[16:17], v[10:11]
	v_add_f64 v[19:20], v[10:11], v[14:15]
	s_mov_b32 s17, 0x3c91a626
	v_add_f64 v[21:22], v[10:11], -v[19:20]
	v_add_f64 v[19:20], v[19:20], -v[23:24]
	v_add_f64 v[10:11], v[21:22], v[14:15]
	v_fma_f64 v[14:15], v[16:17], s[16:17], v[14:15]
	v_add_f64 v[10:11], v[19:20], v[10:11]
	v_add_f64 v[10:11], v[10:11], -v[14:15]
	v_fma_f64 v[14:15], v[16:17], s[14:15], v[10:11]
	v_cvt_i32_f64_e32 v16, v[16:17]
	v_add_f64 v[10:11], v[23:24], v[14:15]
	v_add_f64 v[19:20], v[10:11], -v[23:24]
	v_add_f64 v[14:15], v[14:15], -v[19:20]
.LBB2_82:
	s_or_b64 exec, exec, s[2:3]
	v_mul_f64 v[19:20], v[10:11], v[10:11]
	s_mov_b32 s2, 0xf9a43bb8
	v_mov_b32_e32 v22, 0xb42fdfa7
	v_mov_b32_e32 v23, 0xbe5ae600
	s_mov_b32 s3, 0x3de5e0b2
	s_mov_b32 s14, 0x796cde01
	v_mov_b32_e32 v21, 0x9037ab78
	s_mov_b32 s15, 0x3ec71de3
	v_fma_f64 v[23:24], v[19:20], s[2:3], v[22:23]
	s_mov_b32 s2, 0x46cc5e42
	v_mov_b32_e32 v22, 0x3e21eeb6
	s_mov_b32 s3, 0xbda907db
	v_fma_f64 v[21:22], v[19:20], s[2:3], v[21:22]
	v_mul_f64 v[25:26], v[19:20], 0.5
	s_mov_b32 s2, 0xa17f65f6
	s_mov_b32 s16, 0x19e83e5c
	v_fma_f64 v[23:24], v[19:20], v[23:24], s[14:15]
	s_mov_b32 s3, 0xbe927e4f
	s_mov_b32 s17, 0xbf2a01a0
	;; [unrolled: 1-line block ×3, first 2 shown]
	v_fma_f64 v[21:22], v[19:20], v[21:22], s[2:3]
	v_add_f64 v[27:28], -v[25:26], 1.0
	s_mov_b32 s2, 0x11110bb3
	s_mov_b32 s15, 0x3efa01a0
	v_fma_f64 v[23:24], v[19:20], v[23:24], s[16:17]
	s_mov_b32 s3, 0x3f811111
	v_mul_f64 v[29:30], v[14:15], 0.5
	v_mul_f64 v[31:32], v[10:11], -v[19:20]
	v_fma_f64 v[21:22], v[19:20], v[21:22], s[14:15]
	v_add_f64 v[33:34], -v[27:28], 1.0
	v_fma_f64 v[23:24], v[19:20], v[23:24], s[2:3]
	s_mov_b32 s2, 0x16c16967
	s_mov_b32 s3, 0xbf56c16c
	v_fma_f64 v[21:22], v[19:20], v[21:22], s[2:3]
	v_add_f64 v[25:26], v[33:34], -v[25:26]
	s_mov_b32 s3, 0x3fa55555
	s_mov_b32 s2, 0x55555555
	v_fma_f64 v[23:24], v[31:32], v[23:24], v[29:30]
	v_mul_f64 v[29:30], v[19:20], v[19:20]
	v_fma_f64 v[21:22], v[19:20], v[21:22], s[2:3]
	v_fma_f64 v[25:26], v[10:11], -v[14:15], v[25:26]
	s_mov_b32 s3, 0xbfc55555
	v_fma_f64 v[14:15], v[19:20], v[23:24], -v[14:15]
	v_fma_f64 v[19:20], v[29:30], v[21:22], v[25:26]
	v_fma_f64 v[14:15], v[31:32], s[2:3], v[14:15]
	s_movk_i32 s2, 0x1f8
	v_cmp_class_f64_e64 s[2:3], v[6:7], s2
	v_add_f64 v[19:20], v[27:28], v[19:20]
	v_add_f64 v[10:11], v[10:11], -v[14:15]
	v_and_b32_e32 v14, 1, v16
	v_cmp_eq_u32_e32 vcc, 0, v14
	v_lshlrev_b32_e32 v14, 30, v16
	v_xor_b32_e32 v14, v14, v7
	v_and_b32_e32 v14, 0x80000000, v14
	v_mov_b32_e32 v15, 0x7ff80000
	v_cndmask_b32_e32 v11, v20, v11, vcc
	v_cndmask_b32_e32 v10, v19, v10, vcc
	v_xor_b32_e32 v11, v11, v14
	v_cndmask_b32_e64 v10, 0, v10, s[2:3]
	v_cndmask_b32_e64 v11, v15, v11, s[2:3]
	v_div_scale_f64 v[14:15], s[2:3], v[6:7], v[6:7], v[10:11]
	v_div_scale_f64 v[21:22], vcc, v[10:11], v[6:7], v[10:11]
	v_rcp_f64_e32 v[16:17], v[14:15]
	v_fma_f64 v[19:20], -v[14:15], v[16:17], 1.0
	v_fma_f64 v[16:17], v[16:17], v[19:20], v[16:17]
	v_fma_f64 v[19:20], -v[14:15], v[16:17], 1.0
	v_fma_f64 v[16:17], v[16:17], v[19:20], v[16:17]
	v_mul_f64 v[19:20], v[21:22], v[16:17]
	v_fma_f64 v[14:15], -v[14:15], v[19:20], v[21:22]
	v_div_fmas_f64 v[14:15], v[14:15], v[16:17], v[19:20]
	v_div_fixup_f64 v[10:11], v[14:15], v[6:7], v[10:11]
                                        ; implicit-def: $vgpr6_vgpr7
.LBB2_83:
	s_andn2_saveexec_b64 s[2:3], s[12:13]
	s_cbranch_execz .LBB2_85
; %bb.84:
	v_mul_f64 v[6:7], v[6:7], v[6:7]
	s_mov_b32 s12, 0x13a86d09
	v_mov_b32_e32 v10, 0x67f544e4
	v_mov_b32_e32 v11, 0xbe5ae645
	s_mov_b32 s13, 0x3de61246
	v_fma_f64 v[10:11], v[6:7], s[12:13], v[10:11]
	s_mov_b32 s12, 0xa556c734
	s_mov_b32 s13, 0x3ec71de3
	v_fma_f64 v[10:11], v[6:7], v[10:11], s[12:13]
	s_mov_b32 s12, 0x1a01a01a
	s_mov_b32 s13, 0xbf2a01a0
	v_fma_f64 v[10:11], v[6:7], v[10:11], s[12:13]
	s_mov_b32 s12, 0x11111111
	s_mov_b32 s13, 0x3f811111
	v_fma_f64 v[10:11], v[6:7], v[10:11], s[12:13]
	s_mov_b32 s12, 0x55555555
	s_mov_b32 s13, 0xbfc55555
	v_fma_f64 v[10:11], v[6:7], v[10:11], s[12:13]
	v_fma_f64 v[10:11], v[6:7], v[10:11], 1.0
.LBB2_85:
	s_or_b64 exec, exec, s[2:3]
.LBB2_86:
	s_or_b64 exec, exec, s[10:11]
.LBB2_87:
	s_or_b64 exec, exec, s[6:7]
	v_or_b32_e32 v6, 0x300, v0
	v_cmp_gt_i32_e32 vcc, s18, v6
	s_and_saveexec_b64 s[6:7], vcc
	s_cbranch_execnz .LBB2_94
; %bb.88:
	s_or_b64 exec, exec, s[6:7]
	s_and_saveexec_b64 s[2:3], s[0:1]
	s_xor_b64 s[0:1], exec, s[2:3]
	s_cbranch_execnz .LBB2_105
.LBB2_89:
	s_or_b64 exec, exec, s[0:1]
	v_cmp_gt_i32_e32 vcc, s18, v0
	s_and_saveexec_b64 s[0:1], vcc
	s_cbranch_execnz .LBB2_106
.LBB2_90:
	s_or_b64 exec, exec, s[0:1]
	v_cmp_gt_i32_e32 vcc, s18, v0
	s_and_saveexec_b64 s[0:1], vcc
	s_cbranch_execnz .LBB2_107
.LBB2_91:
	s_or_b64 exec, exec, s[0:1]
	v_cmp_gt_i32_e32 vcc, s18, v0
	s_and_saveexec_b64 s[0:1], vcc
	s_cbranch_execz .LBB2_93
.LBB2_92:
	v_add_u32_e32 v0, s4, v0
	v_mov_b32_e32 v1, 0
	v_lshlrev_b64 v[0:1], 3, v[0:1]
	v_mov_b32_e32 v2, s9
	v_add_co_u32_e32 v0, vcc, s8, v0
	v_addc_co_u32_e32 v1, vcc, v2, v1, vcc
	global_store_dwordx2 v[0:1], v[8:9], off
.LBB2_93:
	s_endpgm
.LBB2_94:
	s_mov_b32 s2, 0
	s_mov_b32 s3, 0x7ff00000
	v_cmp_neq_f64_e64 s[2:3], |v[2:3]|, s[2:3]
	v_mov_b32_e32 v8, 0
	v_mov_b32_e32 v9, 0
	s_and_saveexec_b64 s[10:11], s[2:3]
	s_cbranch_execz .LBB2_104
; %bb.95:
	v_cmp_nlt_f64_e64 s[2:3], |v[2:3]|, 0.5
	s_and_saveexec_b64 s[12:13], s[2:3]
	s_xor_b64 s[12:13], exec, s[12:13]
                                        ; implicit-def: $vgpr8_vgpr9
	s_cbranch_execz .LBB2_101
; %bb.96:
	s_mov_b32 s2, 0
	s_mov_b32 s3, 0x41d00000
	v_cmp_nlt_f64_e64 s[2:3], |v[2:3]|, s[2:3]
                                        ; implicit-def: $vgpr14
                                        ; implicit-def: $vgpr6_vgpr7
                                        ; implicit-def: $vgpr8_vgpr9
	s_and_saveexec_b64 s[14:15], s[2:3]
	s_xor_b64 s[14:15], exec, s[14:15]
	s_cbranch_execz .LBB2_98
; %bb.97:
	v_trig_preop_f64 v[6:7], |v[2:3]|, 0
	s_mov_b32 s2, 0
	s_mov_b32 s3, 0x7b000000
	s_movk_i32 s5, 0xff80
	v_ldexp_f64 v[14:15], |v[2:3]|, s5
	v_cmp_ge_f64_e64 vcc, |v[2:3]|, s[2:3]
	v_trig_preop_f64 v[8:9], |v[2:3]|, 1
	v_and_b32_e32 v16, 0x7fffffff, v3
	v_trig_preop_f64 v[23:24], |v[2:3]|, 2
	s_mov_b32 s2, 0
	s_mov_b32 s3, 0x7ff00000
	v_mov_b32_e32 v34, 0x40100000
	v_mov_b32_e32 v33, 0
	v_cndmask_b32_e32 v15, v16, v15, vcc
	v_cndmask_b32_e32 v14, v2, v14, vcc
	s_mov_b32 s16, 0x33145c07
	v_mul_f64 v[16:17], v[6:7], v[14:15]
	s_mov_b32 s17, 0x3c91a626
	v_mul_f64 v[19:20], v[8:9], v[14:15]
	v_mul_f64 v[29:30], v[23:24], v[14:15]
	v_fma_f64 v[6:7], v[6:7], v[14:15], -v[16:17]
	v_fma_f64 v[8:9], v[8:9], v[14:15], -v[19:20]
	;; [unrolled: 1-line block ×3, first 2 shown]
	v_add_f64 v[21:22], v[19:20], v[6:7]
	v_add_f64 v[25:26], v[21:22], -v[19:20]
	v_add_f64 v[31:32], v[16:17], v[21:22]
	v_add_f64 v[27:28], v[21:22], -v[25:26]
	v_add_f64 v[6:7], v[6:7], -v[25:26]
	v_add_f64 v[25:26], v[29:30], v[8:9]
	v_add_f64 v[16:17], v[31:32], -v[16:17]
	v_add_f64 v[19:20], v[19:20], -v[27:28]
	v_ldexp_f64 v[27:28], v[31:32], -2
	v_add_f64 v[35:36], v[25:26], -v[29:30]
	v_add_f64 v[16:17], v[21:22], -v[16:17]
	v_add_f64 v[6:7], v[6:7], v[19:20]
	v_fract_f64_e32 v[19:20], v[27:28]
	v_cmp_neq_f64_e64 vcc, |v[27:28]|, s[2:3]
	v_add_f64 v[8:9], v[8:9], -v[35:36]
	v_add_f64 v[21:22], v[25:26], v[6:7]
	v_ldexp_f64 v[19:20], v[19:20], 2
	v_add_f64 v[27:28], v[16:17], v[21:22]
	v_cndmask_b32_e32 v20, 0, v20, vcc
	v_cndmask_b32_e32 v19, 0, v19, vcc
	v_add_f64 v[37:38], v[21:22], -v[25:26]
	v_add_f64 v[31:32], v[27:28], v[19:20]
	v_add_f64 v[16:17], v[27:28], -v[16:17]
	v_add_f64 v[39:40], v[21:22], -v[37:38]
	;; [unrolled: 1-line block ×3, first 2 shown]
	v_cmp_gt_f64_e32 vcc, 0, v[31:32]
	v_add_f64 v[31:32], v[25:26], -v[35:36]
	v_add_f64 v[16:17], v[21:22], -v[16:17]
	;; [unrolled: 1-line block ×3, first 2 shown]
	v_cndmask_b32_e32 v34, 0, v34, vcc
	v_add_f64 v[19:20], v[19:20], v[33:34]
	v_add_f64 v[31:32], v[29:30], -v[31:32]
	v_add_f64 v[6:7], v[6:7], v[25:26]
	v_add_f64 v[41:42], v[27:28], v[19:20]
	;; [unrolled: 1-line block ×3, first 2 shown]
	v_cvt_i32_f64_e32 v36, v[41:42]
	v_add_f64 v[6:7], v[8:9], v[6:7]
	v_cvt_f64_i32_e32 v[34:35], v36
	v_add_f64 v[19:20], v[19:20], -v[34:35]
	v_add_f64 v[6:7], v[14:15], v[6:7]
	v_add_f64 v[8:9], v[27:28], v[19:20]
	;; [unrolled: 1-line block ×3, first 2 shown]
	v_mov_b32_e32 v17, 0x3ff00000
	v_add_f64 v[14:15], v[8:9], -v[19:20]
	v_cmp_le_f64_e32 vcc, 0.5, v[8:9]
	v_add_f64 v[15:16], v[27:28], -v[14:15]
	v_cndmask_b32_e32 v34, 0, v17, vcc
	v_add_f64 v[8:9], v[8:9], -v[33:34]
	v_addc_co_u32_e64 v14, s[2:3], 0, v36, vcc
	s_mov_b32 s2, 0x54442d18
	s_mov_b32 s3, 0x3ff921fb
	v_add_f64 v[6:7], v[6:7], v[15:16]
	v_add_f64 v[15:16], v[8:9], v[6:7]
	v_mul_f64 v[19:20], v[15:16], s[2:3]
	v_add_f64 v[8:9], v[15:16], -v[8:9]
	v_fma_f64 v[21:22], v[15:16], s[2:3], -v[19:20]
	v_add_f64 v[6:7], v[6:7], -v[8:9]
	v_fma_f64 v[8:9], v[15:16], s[16:17], v[21:22]
	v_fma_f64 v[8:9], v[6:7], s[2:3], v[8:9]
	v_add_f64 v[6:7], v[19:20], v[8:9]
	v_add_f64 v[15:16], v[6:7], -v[19:20]
	v_add_f64 v[8:9], v[8:9], -v[15:16]
.LBB2_98:
	s_andn2_saveexec_b64 s[2:3], s[14:15]
	s_cbranch_execz .LBB2_100
; %bb.99:
	s_mov_b32 s14, 0x6dc9c883
	s_mov_b32 s15, 0x3fe45f30
	v_mul_f64 v[6:7], |v[2:3]|, s[14:15]
	s_mov_b32 s14, 0x54442d18
	s_mov_b32 s15, 0xbff921fb
	;; [unrolled: 1-line block ×4, first 2 shown]
	v_rndne_f64_e32 v[14:15], v[6:7]
	v_fma_f64 v[6:7], v[14:15], s[14:15], |v[2:3]|
	v_mul_f64 v[8:9], v[14:15], s[16:17]
	s_mov_b32 s14, 0x252049c0
	s_mov_b32 s15, 0xb97b839a
	v_fma_f64 v[21:22], v[14:15], s[16:17], v[6:7]
	v_add_f64 v[16:17], v[6:7], v[8:9]
	s_mov_b32 s17, 0x3c91a626
	v_add_f64 v[19:20], v[6:7], -v[16:17]
	v_add_f64 v[16:17], v[16:17], -v[21:22]
	v_add_f64 v[6:7], v[19:20], v[8:9]
	v_fma_f64 v[8:9], v[14:15], s[16:17], v[8:9]
	v_add_f64 v[6:7], v[16:17], v[6:7]
	v_add_f64 v[6:7], v[6:7], -v[8:9]
	v_fma_f64 v[8:9], v[14:15], s[14:15], v[6:7]
	v_cvt_i32_f64_e32 v14, v[14:15]
	v_add_f64 v[6:7], v[21:22], v[8:9]
	v_add_f64 v[16:17], v[6:7], -v[21:22]
	v_add_f64 v[8:9], v[8:9], -v[16:17]
.LBB2_100:
	s_or_b64 exec, exec, s[2:3]
	v_mul_f64 v[15:16], v[6:7], v[6:7]
	s_mov_b32 s2, 0xf9a43bb8
	v_mov_b32_e32 v20, 0xb42fdfa7
	v_mov_b32_e32 v21, 0xbe5ae600
	s_mov_b32 s3, 0x3de5e0b2
	s_mov_b32 s14, 0x796cde01
	v_mov_b32_e32 v19, 0x9037ab78
	s_mov_b32 s15, 0x3ec71de3
	v_fma_f64 v[21:22], v[15:16], s[2:3], v[20:21]
	s_mov_b32 s2, 0x46cc5e42
	v_mov_b32_e32 v20, 0x3e21eeb6
	s_mov_b32 s3, 0xbda907db
	v_fma_f64 v[19:20], v[15:16], s[2:3], v[19:20]
	v_mul_f64 v[23:24], v[15:16], 0.5
	s_mov_b32 s2, 0xa17f65f6
	s_mov_b32 s16, 0x19e83e5c
	v_fma_f64 v[21:22], v[15:16], v[21:22], s[14:15]
	s_mov_b32 s3, 0xbe927e4f
	s_mov_b32 s17, 0xbf2a01a0
	s_mov_b32 s14, 0x19f4ec90
	v_fma_f64 v[19:20], v[15:16], v[19:20], s[2:3]
	v_add_f64 v[25:26], -v[23:24], 1.0
	s_mov_b32 s2, 0x11110bb3
	s_mov_b32 s15, 0x3efa01a0
	v_fma_f64 v[21:22], v[15:16], v[21:22], s[16:17]
	s_mov_b32 s3, 0x3f811111
	v_mul_f64 v[27:28], v[8:9], 0.5
	v_mul_f64 v[29:30], v[6:7], -v[15:16]
	v_fma_f64 v[19:20], v[15:16], v[19:20], s[14:15]
	v_add_f64 v[31:32], -v[25:26], 1.0
	v_fma_f64 v[21:22], v[15:16], v[21:22], s[2:3]
	s_mov_b32 s2, 0x16c16967
	s_mov_b32 s3, 0xbf56c16c
	v_fma_f64 v[19:20], v[15:16], v[19:20], s[2:3]
	v_add_f64 v[23:24], v[31:32], -v[23:24]
	s_mov_b32 s3, 0x3fa55555
	s_mov_b32 s2, 0x55555555
	v_fma_f64 v[21:22], v[29:30], v[21:22], v[27:28]
	v_mul_f64 v[27:28], v[15:16], v[15:16]
	v_fma_f64 v[19:20], v[15:16], v[19:20], s[2:3]
	v_fma_f64 v[23:24], v[6:7], -v[8:9], v[23:24]
	s_mov_b32 s3, 0xbfc55555
	v_fma_f64 v[8:9], v[15:16], v[21:22], -v[8:9]
	v_fma_f64 v[15:16], v[27:28], v[19:20], v[23:24]
	v_fma_f64 v[8:9], v[29:30], s[2:3], v[8:9]
	s_movk_i32 s2, 0x1f8
	v_cmp_class_f64_e64 s[2:3], v[2:3], s2
	v_add_f64 v[15:16], v[25:26], v[15:16]
	v_add_f64 v[6:7], v[6:7], -v[8:9]
	v_and_b32_e32 v8, 1, v14
	v_cmp_eq_u32_e32 vcc, 0, v8
	v_lshlrev_b32_e32 v8, 30, v14
	v_xor_b32_e32 v8, v8, v3
	v_and_b32_e32 v8, 0x80000000, v8
	v_mov_b32_e32 v9, 0x7ff80000
	v_cndmask_b32_e32 v7, v16, v7, vcc
	v_cndmask_b32_e32 v6, v15, v6, vcc
	v_xor_b32_e32 v7, v7, v8
	v_cndmask_b32_e64 v6, 0, v6, s[2:3]
	v_cndmask_b32_e64 v7, v9, v7, s[2:3]
	v_div_scale_f64 v[8:9], s[2:3], v[2:3], v[2:3], v[6:7]
	v_div_scale_f64 v[19:20], vcc, v[6:7], v[2:3], v[6:7]
	v_rcp_f64_e32 v[14:15], v[8:9]
	v_fma_f64 v[16:17], -v[8:9], v[14:15], 1.0
	v_fma_f64 v[14:15], v[14:15], v[16:17], v[14:15]
	v_fma_f64 v[16:17], -v[8:9], v[14:15], 1.0
	v_fma_f64 v[14:15], v[14:15], v[16:17], v[14:15]
	v_mul_f64 v[16:17], v[19:20], v[14:15]
	v_fma_f64 v[8:9], -v[8:9], v[16:17], v[19:20]
	v_div_fmas_f64 v[8:9], v[8:9], v[14:15], v[16:17]
	v_div_fixup_f64 v[8:9], v[8:9], v[2:3], v[6:7]
                                        ; implicit-def: $vgpr2_vgpr3
.LBB2_101:
	s_andn2_saveexec_b64 s[2:3], s[12:13]
	s_cbranch_execz .LBB2_103
; %bb.102:
	v_mul_f64 v[2:3], v[2:3], v[2:3]
	s_mov_b32 s12, 0x13a86d09
	v_mov_b32_e32 v6, 0x67f544e4
	v_mov_b32_e32 v7, 0xbe5ae645
	s_mov_b32 s13, 0x3de61246
	v_fma_f64 v[6:7], v[2:3], s[12:13], v[6:7]
	s_mov_b32 s12, 0xa556c734
	s_mov_b32 s13, 0x3ec71de3
	v_fma_f64 v[6:7], v[2:3], v[6:7], s[12:13]
	s_mov_b32 s12, 0x1a01a01a
	s_mov_b32 s13, 0xbf2a01a0
	v_fma_f64 v[6:7], v[2:3], v[6:7], s[12:13]
	s_mov_b32 s12, 0x11111111
	s_mov_b32 s13, 0x3f811111
	v_fma_f64 v[6:7], v[2:3], v[6:7], s[12:13]
	s_mov_b32 s12, 0x55555555
	s_mov_b32 s13, 0xbfc55555
	v_fma_f64 v[6:7], v[2:3], v[6:7], s[12:13]
	v_fma_f64 v[8:9], v[2:3], v[6:7], 1.0
.LBB2_103:
	s_or_b64 exec, exec, s[2:3]
.LBB2_104:
	s_or_b64 exec, exec, s[10:11]
	s_or_b64 exec, exec, s[6:7]
	s_and_saveexec_b64 s[2:3], s[0:1]
	s_xor_b64 s[0:1], exec, s[2:3]
	s_cbranch_execz .LBB2_89
.LBB2_105:
	v_mov_b32_e32 v2, 0
	v_lshlrev_b64 v[0:1], 3, v[1:2]
	v_mov_b32_e32 v2, s9
	v_add_co_u32_e32 v0, vcc, s8, v0
	v_addc_co_u32_e32 v1, vcc, v2, v1, vcc
	global_store_dwordx2 v[0:1], v[4:5], off
	v_mov_b32_e32 v0, v18
	s_or_b64 exec, exec, s[0:1]
	v_cmp_gt_i32_e32 vcc, s18, v0
	s_and_saveexec_b64 s[0:1], vcc
	s_cbranch_execz .LBB2_90
.LBB2_106:
	v_add_u32_e32 v1, s4, v0
	v_mov_b32_e32 v2, 0
	v_lshlrev_b64 v[1:2], 3, v[1:2]
	v_mov_b32_e32 v3, s9
	v_add_co_u32_e32 v1, vcc, s8, v1
	v_addc_co_u32_e32 v2, vcc, v3, v2, vcc
	v_add_u32_e32 v0, 0x100, v0
	global_store_dwordx2 v[1:2], v[12:13], off
	s_or_b64 exec, exec, s[0:1]
	v_cmp_gt_i32_e32 vcc, s18, v0
	s_and_saveexec_b64 s[0:1], vcc
	s_cbranch_execz .LBB2_91
.LBB2_107:
	v_add_u32_e32 v1, s4, v0
	v_mov_b32_e32 v2, 0
	v_lshlrev_b64 v[1:2], 3, v[1:2]
	v_mov_b32_e32 v3, s9
	v_add_co_u32_e32 v1, vcc, s8, v1
	v_addc_co_u32_e32 v2, vcc, v3, v2, vcc
	v_add_u32_e32 v0, 0x100, v0
	global_store_dwordx2 v[1:2], v[10:11], off
	s_or_b64 exec, exec, s[0:1]
	v_cmp_gt_i32_e32 vcc, s18, v0
	s_and_saveexec_b64 s[0:1], vcc
	s_cbranch_execnz .LBB2_92
	s_branch .LBB2_93
	.section	.rodata,"a",@progbits
	.p2align	6, 0x0
	.amdhsa_kernel _ZN2at6native29vectorized_elementwise_kernelILi4EZZZNS0_12_GLOBAL__N_131spherical_bessel_j0_kernel_cudaERNS_18TensorIteratorBaseEENKUlvE_clEvENKUlvE_clEvEUldE_St5arrayIPcLm2EEEEviT0_T1_
		.amdhsa_group_segment_fixed_size 0
		.amdhsa_private_segment_fixed_size 0
		.amdhsa_kernarg_size 24
		.amdhsa_user_sgpr_count 6
		.amdhsa_user_sgpr_private_segment_buffer 1
		.amdhsa_user_sgpr_dispatch_ptr 0
		.amdhsa_user_sgpr_queue_ptr 0
		.amdhsa_user_sgpr_kernarg_segment_ptr 1
		.amdhsa_user_sgpr_dispatch_id 0
		.amdhsa_user_sgpr_flat_scratch_init 0
		.amdhsa_user_sgpr_private_segment_size 0
		.amdhsa_uses_dynamic_stack 0
		.amdhsa_system_sgpr_private_segment_wavefront_offset 0
		.amdhsa_system_sgpr_workgroup_id_x 1
		.amdhsa_system_sgpr_workgroup_id_y 0
		.amdhsa_system_sgpr_workgroup_id_z 0
		.amdhsa_system_sgpr_workgroup_info 0
		.amdhsa_system_vgpr_workitem_id 0
		.amdhsa_next_free_vgpr 47
		.amdhsa_next_free_sgpr 22
		.amdhsa_reserve_vcc 1
		.amdhsa_reserve_flat_scratch 0
		.amdhsa_float_round_mode_32 0
		.amdhsa_float_round_mode_16_64 0
		.amdhsa_float_denorm_mode_32 3
		.amdhsa_float_denorm_mode_16_64 3
		.amdhsa_dx10_clamp 1
		.amdhsa_ieee_mode 1
		.amdhsa_fp16_overflow 0
		.amdhsa_exception_fp_ieee_invalid_op 0
		.amdhsa_exception_fp_denorm_src 0
		.amdhsa_exception_fp_ieee_div_zero 0
		.amdhsa_exception_fp_ieee_overflow 0
		.amdhsa_exception_fp_ieee_underflow 0
		.amdhsa_exception_fp_ieee_inexact 0
		.amdhsa_exception_int_div_zero 0
	.end_amdhsa_kernel
	.section	.text._ZN2at6native29vectorized_elementwise_kernelILi4EZZZNS0_12_GLOBAL__N_131spherical_bessel_j0_kernel_cudaERNS_18TensorIteratorBaseEENKUlvE_clEvENKUlvE_clEvEUldE_St5arrayIPcLm2EEEEviT0_T1_,"axG",@progbits,_ZN2at6native29vectorized_elementwise_kernelILi4EZZZNS0_12_GLOBAL__N_131spherical_bessel_j0_kernel_cudaERNS_18TensorIteratorBaseEENKUlvE_clEvENKUlvE_clEvEUldE_St5arrayIPcLm2EEEEviT0_T1_,comdat
.Lfunc_end2:
	.size	_ZN2at6native29vectorized_elementwise_kernelILi4EZZZNS0_12_GLOBAL__N_131spherical_bessel_j0_kernel_cudaERNS_18TensorIteratorBaseEENKUlvE_clEvENKUlvE_clEvEUldE_St5arrayIPcLm2EEEEviT0_T1_, .Lfunc_end2-_ZN2at6native29vectorized_elementwise_kernelILi4EZZZNS0_12_GLOBAL__N_131spherical_bessel_j0_kernel_cudaERNS_18TensorIteratorBaseEENKUlvE_clEvENKUlvE_clEvEUldE_St5arrayIPcLm2EEEEviT0_T1_
                                        ; -- End function
	.set _ZN2at6native29vectorized_elementwise_kernelILi4EZZZNS0_12_GLOBAL__N_131spherical_bessel_j0_kernel_cudaERNS_18TensorIteratorBaseEENKUlvE_clEvENKUlvE_clEvEUldE_St5arrayIPcLm2EEEEviT0_T1_.num_vgpr, 47
	.set _ZN2at6native29vectorized_elementwise_kernelILi4EZZZNS0_12_GLOBAL__N_131spherical_bessel_j0_kernel_cudaERNS_18TensorIteratorBaseEENKUlvE_clEvENKUlvE_clEvEUldE_St5arrayIPcLm2EEEEviT0_T1_.num_agpr, 0
	.set _ZN2at6native29vectorized_elementwise_kernelILi4EZZZNS0_12_GLOBAL__N_131spherical_bessel_j0_kernel_cudaERNS_18TensorIteratorBaseEENKUlvE_clEvENKUlvE_clEvEUldE_St5arrayIPcLm2EEEEviT0_T1_.numbered_sgpr, 22
	.set _ZN2at6native29vectorized_elementwise_kernelILi4EZZZNS0_12_GLOBAL__N_131spherical_bessel_j0_kernel_cudaERNS_18TensorIteratorBaseEENKUlvE_clEvENKUlvE_clEvEUldE_St5arrayIPcLm2EEEEviT0_T1_.num_named_barrier, 0
	.set _ZN2at6native29vectorized_elementwise_kernelILi4EZZZNS0_12_GLOBAL__N_131spherical_bessel_j0_kernel_cudaERNS_18TensorIteratorBaseEENKUlvE_clEvENKUlvE_clEvEUldE_St5arrayIPcLm2EEEEviT0_T1_.private_seg_size, 0
	.set _ZN2at6native29vectorized_elementwise_kernelILi4EZZZNS0_12_GLOBAL__N_131spherical_bessel_j0_kernel_cudaERNS_18TensorIteratorBaseEENKUlvE_clEvENKUlvE_clEvEUldE_St5arrayIPcLm2EEEEviT0_T1_.uses_vcc, 1
	.set _ZN2at6native29vectorized_elementwise_kernelILi4EZZZNS0_12_GLOBAL__N_131spherical_bessel_j0_kernel_cudaERNS_18TensorIteratorBaseEENKUlvE_clEvENKUlvE_clEvEUldE_St5arrayIPcLm2EEEEviT0_T1_.uses_flat_scratch, 0
	.set _ZN2at6native29vectorized_elementwise_kernelILi4EZZZNS0_12_GLOBAL__N_131spherical_bessel_j0_kernel_cudaERNS_18TensorIteratorBaseEENKUlvE_clEvENKUlvE_clEvEUldE_St5arrayIPcLm2EEEEviT0_T1_.has_dyn_sized_stack, 0
	.set _ZN2at6native29vectorized_elementwise_kernelILi4EZZZNS0_12_GLOBAL__N_131spherical_bessel_j0_kernel_cudaERNS_18TensorIteratorBaseEENKUlvE_clEvENKUlvE_clEvEUldE_St5arrayIPcLm2EEEEviT0_T1_.has_recursion, 0
	.set _ZN2at6native29vectorized_elementwise_kernelILi4EZZZNS0_12_GLOBAL__N_131spherical_bessel_j0_kernel_cudaERNS_18TensorIteratorBaseEENKUlvE_clEvENKUlvE_clEvEUldE_St5arrayIPcLm2EEEEviT0_T1_.has_indirect_call, 0
	.section	.AMDGPU.csdata,"",@progbits
; Kernel info:
; codeLenInByte = 13768
; TotalNumSgprs: 26
; NumVgprs: 47
; ScratchSize: 0
; MemoryBound: 1
; FloatMode: 240
; IeeeMode: 1
; LDSByteSize: 0 bytes/workgroup (compile time only)
; SGPRBlocks: 3
; VGPRBlocks: 11
; NumSGPRsForWavesPerEU: 26
; NumVGPRsForWavesPerEU: 47
; Occupancy: 5
; WaveLimiterHint : 0
; COMPUTE_PGM_RSRC2:SCRATCH_EN: 0
; COMPUTE_PGM_RSRC2:USER_SGPR: 6
; COMPUTE_PGM_RSRC2:TRAP_HANDLER: 0
; COMPUTE_PGM_RSRC2:TGID_X_EN: 1
; COMPUTE_PGM_RSRC2:TGID_Y_EN: 0
; COMPUTE_PGM_RSRC2:TGID_Z_EN: 0
; COMPUTE_PGM_RSRC2:TIDIG_COMP_CNT: 0
	.section	.text._ZN2at6native29vectorized_elementwise_kernelILi2EZZZNS0_12_GLOBAL__N_131spherical_bessel_j0_kernel_cudaERNS_18TensorIteratorBaseEENKUlvE_clEvENKUlvE_clEvEUldE_St5arrayIPcLm2EEEEviT0_T1_,"axG",@progbits,_ZN2at6native29vectorized_elementwise_kernelILi2EZZZNS0_12_GLOBAL__N_131spherical_bessel_j0_kernel_cudaERNS_18TensorIteratorBaseEENKUlvE_clEvENKUlvE_clEvEUldE_St5arrayIPcLm2EEEEviT0_T1_,comdat
	.globl	_ZN2at6native29vectorized_elementwise_kernelILi2EZZZNS0_12_GLOBAL__N_131spherical_bessel_j0_kernel_cudaERNS_18TensorIteratorBaseEENKUlvE_clEvENKUlvE_clEvEUldE_St5arrayIPcLm2EEEEviT0_T1_ ; -- Begin function _ZN2at6native29vectorized_elementwise_kernelILi2EZZZNS0_12_GLOBAL__N_131spherical_bessel_j0_kernel_cudaERNS_18TensorIteratorBaseEENKUlvE_clEvENKUlvE_clEvEUldE_St5arrayIPcLm2EEEEviT0_T1_
	.p2align	8
	.type	_ZN2at6native29vectorized_elementwise_kernelILi2EZZZNS0_12_GLOBAL__N_131spherical_bessel_j0_kernel_cudaERNS_18TensorIteratorBaseEENKUlvE_clEvENKUlvE_clEvEUldE_St5arrayIPcLm2EEEEviT0_T1_,@function
_ZN2at6native29vectorized_elementwise_kernelILi2EZZZNS0_12_GLOBAL__N_131spherical_bessel_j0_kernel_cudaERNS_18TensorIteratorBaseEENKUlvE_clEvENKUlvE_clEvEUldE_St5arrayIPcLm2EEEEviT0_T1_: ; @_ZN2at6native29vectorized_elementwise_kernelILi2EZZZNS0_12_GLOBAL__N_131spherical_bessel_j0_kernel_cudaERNS_18TensorIteratorBaseEENKUlvE_clEvENKUlvE_clEvEUldE_St5arrayIPcLm2EEEEviT0_T1_
; %bb.0:
	s_load_dword s0, s[4:5], 0x0
	s_load_dwordx4 s[8:11], s[4:5], 0x8
	s_lshl_b32 s4, s6, 10
	s_waitcnt lgkmcnt(0)
	s_sub_i32 s18, s0, s4
	s_cmpk_gt_i32 s18, 0x3ff
	s_mov_b64 s[0:1], -1
	s_cbranch_scc0 .LBB3_42
; %bb.1:
	s_ashr_i32 s5, s4, 31
	s_lshl_b64 s[2:3], s[4:5], 3
	s_add_u32 s0, s10, s2
	s_addc_u32 s1, s11, s3
	v_lshlrev_b32_e32 v15, 4, v0
	global_load_dwordx4 v[9:12], v15, s[0:1]
	v_mov_b32_e32 v1, s1
	v_add_co_u32_e32 v2, vcc, s0, v15
	v_addc_co_u32_e32 v3, vcc, 0, v1, vcc
	v_add_co_u32_e32 v1, vcc, 0x1000, v2
	v_addc_co_u32_e32 v2, vcc, 0, v3, vcc
	global_load_dwordx4 v[5:8], v[1:2], off
	s_mov_b32 s6, 0
	s_mov_b32 s7, 0x7ff00000
	v_mov_b32_e32 v3, 0
	v_mov_b32_e32 v1, 0
	;; [unrolled: 1-line block ×4, first 2 shown]
	s_waitcnt vmcnt(1)
	v_cmp_neq_f64_e64 s[0:1], |v[9:10]|, s[6:7]
	s_and_saveexec_b64 s[12:13], s[0:1]
	s_cbranch_execz .LBB3_11
; %bb.2:
	v_cmp_nlt_f64_e64 s[0:1], |v[9:10]|, 0.5
	s_and_saveexec_b64 s[14:15], s[0:1]
	s_xor_b64 s[14:15], exec, s[14:15]
	s_cbranch_execz .LBB3_8
; %bb.3:
	s_mov_b32 s0, 0
	s_mov_b32 s1, 0x41d00000
	v_cmp_nlt_f64_e64 s[0:1], |v[9:10]|, s[0:1]
                                        ; implicit-def: $vgpr16
                                        ; implicit-def: $vgpr1_vgpr2
                                        ; implicit-def: $vgpr13_vgpr14
	s_and_saveexec_b64 s[16:17], s[0:1]
	s_xor_b64 s[16:17], exec, s[16:17]
	s_cbranch_execz .LBB3_5
; %bb.4:
	v_trig_preop_f64 v[1:2], |v[9:10]|, 0
	s_mov_b32 s0, 0
	s_mov_b32 s1, 0x7b000000
	s_movk_i32 s5, 0xff80
	v_ldexp_f64 v[16:17], |v[9:10]|, s5
	v_cmp_ge_f64_e64 vcc, |v[9:10]|, s[0:1]
	v_trig_preop_f64 v[13:14], |v[9:10]|, 1
	v_and_b32_e32 v18, 0x7fffffff, v10
	v_trig_preop_f64 v[24:25], |v[9:10]|, 2
	s_mov_b32 s0, 0
	s_mov_b32 s1, 0x7ff00000
	v_mov_b32_e32 v35, 0x40100000
	v_mov_b32_e32 v34, 0
	v_cndmask_b32_e32 v17, v18, v17, vcc
	v_cndmask_b32_e32 v16, v9, v16, vcc
	s_mov_b32 s20, 0x33145c07
	v_mul_f64 v[18:19], v[1:2], v[16:17]
	s_mov_b32 s21, 0x3c91a626
	v_mul_f64 v[20:21], v[13:14], v[16:17]
	v_mul_f64 v[30:31], v[24:25], v[16:17]
	v_fma_f64 v[1:2], v[1:2], v[16:17], -v[18:19]
	v_fma_f64 v[13:14], v[13:14], v[16:17], -v[20:21]
	;; [unrolled: 1-line block ×3, first 2 shown]
	v_add_f64 v[22:23], v[20:21], v[1:2]
	v_add_f64 v[26:27], v[22:23], -v[20:21]
	v_add_f64 v[32:33], v[18:19], v[22:23]
	v_add_f64 v[28:29], v[22:23], -v[26:27]
	v_add_f64 v[1:2], v[1:2], -v[26:27]
	v_add_f64 v[26:27], v[30:31], v[13:14]
	v_add_f64 v[18:19], v[32:33], -v[18:19]
	v_add_f64 v[20:21], v[20:21], -v[28:29]
	v_ldexp_f64 v[28:29], v[32:33], -2
	v_add_f64 v[36:37], v[26:27], -v[30:31]
	v_add_f64 v[18:19], v[22:23], -v[18:19]
	v_add_f64 v[1:2], v[1:2], v[20:21]
	v_fract_f64_e32 v[20:21], v[28:29]
	v_cmp_neq_f64_e64 vcc, |v[28:29]|, s[0:1]
	v_add_f64 v[13:14], v[13:14], -v[36:37]
	v_add_f64 v[22:23], v[26:27], v[1:2]
	v_ldexp_f64 v[20:21], v[20:21], 2
	v_add_f64 v[28:29], v[18:19], v[22:23]
	v_cndmask_b32_e32 v21, 0, v21, vcc
	v_cndmask_b32_e32 v20, 0, v20, vcc
	v_add_f64 v[38:39], v[22:23], -v[26:27]
	v_add_f64 v[32:33], v[28:29], v[20:21]
	v_add_f64 v[18:19], v[28:29], -v[18:19]
	v_add_f64 v[40:41], v[22:23], -v[38:39]
	;; [unrolled: 1-line block ×3, first 2 shown]
	v_cmp_gt_f64_e32 vcc, 0, v[32:33]
	v_add_f64 v[32:33], v[26:27], -v[36:37]
	v_add_f64 v[18:19], v[22:23], -v[18:19]
	;; [unrolled: 1-line block ×3, first 2 shown]
	v_cndmask_b32_e32 v35, 0, v35, vcc
	v_add_f64 v[20:21], v[20:21], v[34:35]
	v_add_f64 v[32:33], v[30:31], -v[32:33]
	v_add_f64 v[1:2], v[1:2], v[26:27]
	v_add_f64 v[42:43], v[28:29], v[20:21]
	;; [unrolled: 1-line block ×3, first 2 shown]
	v_cvt_i32_f64_e32 v37, v[42:43]
	v_add_f64 v[1:2], v[13:14], v[1:2]
	v_cvt_f64_i32_e32 v[35:36], v37
	v_add_f64 v[20:21], v[20:21], -v[35:36]
	v_add_f64 v[1:2], v[16:17], v[1:2]
	v_add_f64 v[13:14], v[28:29], v[20:21]
	;; [unrolled: 1-line block ×3, first 2 shown]
	v_mov_b32_e32 v19, 0x3ff00000
	v_add_f64 v[16:17], v[13:14], -v[20:21]
	v_cmp_le_f64_e32 vcc, 0.5, v[13:14]
	v_add_f64 v[17:18], v[28:29], -v[16:17]
	v_cndmask_b32_e32 v35, 0, v19, vcc
	v_add_f64 v[13:14], v[13:14], -v[34:35]
	v_addc_co_u32_e64 v16, s[0:1], 0, v37, vcc
	s_mov_b32 s0, 0x54442d18
	s_mov_b32 s1, 0x3ff921fb
	v_add_f64 v[1:2], v[1:2], v[17:18]
	v_add_f64 v[17:18], v[13:14], v[1:2]
	v_mul_f64 v[19:20], v[17:18], s[0:1]
	v_add_f64 v[13:14], v[17:18], -v[13:14]
	v_fma_f64 v[21:22], v[17:18], s[0:1], -v[19:20]
	v_add_f64 v[1:2], v[1:2], -v[13:14]
	v_fma_f64 v[13:14], v[17:18], s[20:21], v[21:22]
	v_fma_f64 v[13:14], v[1:2], s[0:1], v[13:14]
	v_add_f64 v[1:2], v[19:20], v[13:14]
	v_add_f64 v[17:18], v[1:2], -v[19:20]
	v_add_f64 v[13:14], v[13:14], -v[17:18]
.LBB3_5:
	s_andn2_saveexec_b64 s[0:1], s[16:17]
	s_cbranch_execz .LBB3_7
; %bb.6:
	s_mov_b32 s16, 0x6dc9c883
	s_mov_b32 s17, 0x3fe45f30
	v_mul_f64 v[1:2], |v[9:10]|, s[16:17]
	s_mov_b32 s16, 0x54442d18
	s_mov_b32 s17, 0xbff921fb
	s_mov_b32 s21, 0xbc91a626
	s_mov_b32 s20, 0x33145c00
	v_rndne_f64_e32 v[16:17], v[1:2]
	v_fma_f64 v[1:2], v[16:17], s[16:17], |v[9:10]|
	v_mul_f64 v[13:14], v[16:17], s[20:21]
	s_mov_b32 s16, 0x252049c0
	s_mov_b32 s17, 0xb97b839a
	v_fma_f64 v[22:23], v[16:17], s[20:21], v[1:2]
	v_add_f64 v[18:19], v[1:2], v[13:14]
	s_mov_b32 s21, 0x3c91a626
	v_add_f64 v[20:21], v[1:2], -v[18:19]
	v_add_f64 v[18:19], v[18:19], -v[22:23]
	v_add_f64 v[1:2], v[20:21], v[13:14]
	v_fma_f64 v[13:14], v[16:17], s[20:21], v[13:14]
	v_add_f64 v[1:2], v[18:19], v[1:2]
	v_add_f64 v[1:2], v[1:2], -v[13:14]
	v_fma_f64 v[13:14], v[16:17], s[16:17], v[1:2]
	v_cvt_i32_f64_e32 v16, v[16:17]
	v_add_f64 v[1:2], v[22:23], v[13:14]
	v_add_f64 v[18:19], v[1:2], -v[22:23]
	v_add_f64 v[13:14], v[13:14], -v[18:19]
.LBB3_7:
	s_or_b64 exec, exec, s[0:1]
	v_mul_f64 v[17:18], v[1:2], v[1:2]
	s_mov_b32 s0, 0xf9a43bb8
	v_mov_b32_e32 v20, 0xb42fdfa7
	v_mov_b32_e32 v21, 0xbe5ae600
	s_mov_b32 s1, 0x3de5e0b2
	s_mov_b32 s16, 0x796cde01
	v_mov_b32_e32 v19, 0x9037ab78
	s_mov_b32 s17, 0x3ec71de3
	v_fma_f64 v[21:22], v[17:18], s[0:1], v[20:21]
	s_mov_b32 s0, 0x46cc5e42
	v_mov_b32_e32 v20, 0x3e21eeb6
	s_mov_b32 s1, 0xbda907db
	v_fma_f64 v[19:20], v[17:18], s[0:1], v[19:20]
	v_mul_f64 v[23:24], v[17:18], 0.5
	s_mov_b32 s0, 0xa17f65f6
	s_mov_b32 s20, 0x19e83e5c
	v_fma_f64 v[21:22], v[17:18], v[21:22], s[16:17]
	s_mov_b32 s1, 0xbe927e4f
	s_mov_b32 s21, 0xbf2a01a0
	;; [unrolled: 1-line block ×3, first 2 shown]
	v_fma_f64 v[19:20], v[17:18], v[19:20], s[0:1]
	v_add_f64 v[25:26], -v[23:24], 1.0
	s_mov_b32 s0, 0x11110bb3
	s_mov_b32 s17, 0x3efa01a0
	v_fma_f64 v[21:22], v[17:18], v[21:22], s[20:21]
	s_mov_b32 s1, 0x3f811111
	v_mul_f64 v[27:28], v[13:14], 0.5
	v_mul_f64 v[29:30], v[1:2], -v[17:18]
	v_fma_f64 v[19:20], v[17:18], v[19:20], s[16:17]
	v_add_f64 v[31:32], -v[25:26], 1.0
	v_fma_f64 v[21:22], v[17:18], v[21:22], s[0:1]
	s_mov_b32 s0, 0x16c16967
	s_mov_b32 s1, 0xbf56c16c
	v_fma_f64 v[19:20], v[17:18], v[19:20], s[0:1]
	v_add_f64 v[23:24], v[31:32], -v[23:24]
	s_mov_b32 s1, 0x3fa55555
	s_mov_b32 s0, 0x55555555
	v_fma_f64 v[21:22], v[29:30], v[21:22], v[27:28]
	v_mul_f64 v[27:28], v[17:18], v[17:18]
	v_fma_f64 v[19:20], v[17:18], v[19:20], s[0:1]
	v_fma_f64 v[23:24], v[1:2], -v[13:14], v[23:24]
	s_mov_b32 s1, 0xbfc55555
	v_fma_f64 v[13:14], v[17:18], v[21:22], -v[13:14]
	v_fma_f64 v[17:18], v[27:28], v[19:20], v[23:24]
	v_fma_f64 v[13:14], v[29:30], s[0:1], v[13:14]
	s_movk_i32 s0, 0x1f8
	v_cmp_class_f64_e64 s[0:1], v[9:10], s0
	v_add_f64 v[17:18], v[25:26], v[17:18]
	v_add_f64 v[1:2], v[1:2], -v[13:14]
	v_and_b32_e32 v13, 1, v16
	v_cmp_eq_u32_e32 vcc, 0, v13
	v_lshlrev_b32_e32 v13, 30, v16
	v_xor_b32_e32 v13, v13, v10
	v_and_b32_e32 v13, 0x80000000, v13
	v_mov_b32_e32 v14, 0x7ff80000
	v_cndmask_b32_e32 v2, v18, v2, vcc
	v_cndmask_b32_e32 v1, v17, v1, vcc
	v_xor_b32_e32 v2, v2, v13
	v_cndmask_b32_e64 v1, 0, v1, s[0:1]
	v_cndmask_b32_e64 v2, v14, v2, s[0:1]
	v_div_scale_f64 v[13:14], s[0:1], v[9:10], v[9:10], v[1:2]
	v_div_scale_f64 v[20:21], vcc, v[1:2], v[9:10], v[1:2]
	v_rcp_f64_e32 v[16:17], v[13:14]
	v_fma_f64 v[18:19], -v[13:14], v[16:17], 1.0
	v_fma_f64 v[16:17], v[16:17], v[18:19], v[16:17]
	v_fma_f64 v[18:19], -v[13:14], v[16:17], 1.0
	v_fma_f64 v[16:17], v[16:17], v[18:19], v[16:17]
	v_mul_f64 v[18:19], v[20:21], v[16:17]
	v_fma_f64 v[13:14], -v[13:14], v[18:19], v[20:21]
	v_div_fmas_f64 v[13:14], v[13:14], v[16:17], v[18:19]
	v_div_fixup_f64 v[1:2], v[13:14], v[9:10], v[1:2]
.LBB3_8:
	s_andn2_saveexec_b64 s[0:1], s[14:15]
	s_cbranch_execz .LBB3_10
; %bb.9:
	v_mul_f64 v[1:2], v[9:10], v[9:10]
	s_mov_b32 s14, 0x13a86d09
	v_mov_b32_e32 v9, 0x67f544e4
	v_mov_b32_e32 v10, 0xbe5ae645
	s_mov_b32 s15, 0x3de61246
	v_fma_f64 v[9:10], v[1:2], s[14:15], v[9:10]
	s_mov_b32 s14, 0xa556c734
	s_mov_b32 s15, 0x3ec71de3
	v_fma_f64 v[9:10], v[1:2], v[9:10], s[14:15]
	s_mov_b32 s14, 0x1a01a01a
	;; [unrolled: 3-line block ×4, first 2 shown]
	s_mov_b32 s15, 0xbfc55555
	v_fma_f64 v[9:10], v[1:2], v[9:10], s[14:15]
	v_fma_f64 v[1:2], v[1:2], v[9:10], 1.0
.LBB3_10:
	s_or_b64 exec, exec, s[0:1]
.LBB3_11:
	s_or_b64 exec, exec, s[12:13]
	v_cmp_neq_f64_e64 s[0:1], |v[11:12]|, s[6:7]
	s_and_saveexec_b64 s[6:7], s[0:1]
	s_cbranch_execz .LBB3_21
; %bb.12:
	v_cmp_nlt_f64_e64 s[0:1], |v[11:12]|, 0.5
	s_and_saveexec_b64 s[12:13], s[0:1]
	s_xor_b64 s[12:13], exec, s[12:13]
	s_cbranch_execz .LBB3_18
; %bb.13:
	s_mov_b32 s0, 0
	s_mov_b32 s1, 0x41d00000
	v_cmp_nlt_f64_e64 s[0:1], |v[11:12]|, s[0:1]
                                        ; implicit-def: $vgpr13
                                        ; implicit-def: $vgpr3_vgpr4
                                        ; implicit-def: $vgpr9_vgpr10
	s_and_saveexec_b64 s[14:15], s[0:1]
	s_xor_b64 s[14:15], exec, s[14:15]
	s_cbranch_execz .LBB3_15
; %bb.14:
	v_trig_preop_f64 v[3:4], |v[11:12]|, 0
	s_mov_b32 s0, 0
	s_mov_b32 s1, 0x7b000000
	s_movk_i32 s5, 0xff80
	v_ldexp_f64 v[13:14], |v[11:12]|, s5
	v_cmp_ge_f64_e64 vcc, |v[11:12]|, s[0:1]
	v_trig_preop_f64 v[9:10], |v[11:12]|, 1
	v_and_b32_e32 v16, 0x7fffffff, v12
	v_trig_preop_f64 v[22:23], |v[11:12]|, 2
	s_mov_b32 s0, 0
	s_mov_b32 s1, 0x7ff00000
	v_mov_b32_e32 v33, 0x40100000
	v_mov_b32_e32 v32, 0
	v_cndmask_b32_e32 v14, v16, v14, vcc
	v_cndmask_b32_e32 v13, v11, v13, vcc
	s_mov_b32 s16, 0x33145c07
	v_mul_f64 v[16:17], v[3:4], v[13:14]
	s_mov_b32 s17, 0x3c91a626
	v_mul_f64 v[18:19], v[9:10], v[13:14]
	v_mul_f64 v[28:29], v[22:23], v[13:14]
	v_fma_f64 v[3:4], v[3:4], v[13:14], -v[16:17]
	v_fma_f64 v[9:10], v[9:10], v[13:14], -v[18:19]
	;; [unrolled: 1-line block ×3, first 2 shown]
	v_add_f64 v[20:21], v[18:19], v[3:4]
	v_add_f64 v[24:25], v[20:21], -v[18:19]
	v_add_f64 v[30:31], v[16:17], v[20:21]
	v_add_f64 v[26:27], v[20:21], -v[24:25]
	v_add_f64 v[3:4], v[3:4], -v[24:25]
	v_add_f64 v[24:25], v[28:29], v[9:10]
	v_add_f64 v[16:17], v[30:31], -v[16:17]
	v_add_f64 v[18:19], v[18:19], -v[26:27]
	v_ldexp_f64 v[26:27], v[30:31], -2
	v_add_f64 v[34:35], v[24:25], -v[28:29]
	v_add_f64 v[16:17], v[20:21], -v[16:17]
	v_add_f64 v[3:4], v[3:4], v[18:19]
	v_fract_f64_e32 v[18:19], v[26:27]
	v_cmp_neq_f64_e64 vcc, |v[26:27]|, s[0:1]
	v_add_f64 v[9:10], v[9:10], -v[34:35]
	v_add_f64 v[20:21], v[24:25], v[3:4]
	v_ldexp_f64 v[18:19], v[18:19], 2
	v_add_f64 v[26:27], v[16:17], v[20:21]
	v_cndmask_b32_e32 v19, 0, v19, vcc
	v_cndmask_b32_e32 v18, 0, v18, vcc
	v_add_f64 v[36:37], v[20:21], -v[24:25]
	v_add_f64 v[30:31], v[26:27], v[18:19]
	v_add_f64 v[16:17], v[26:27], -v[16:17]
	v_add_f64 v[38:39], v[20:21], -v[36:37]
	;; [unrolled: 1-line block ×3, first 2 shown]
	v_cmp_gt_f64_e32 vcc, 0, v[30:31]
	v_add_f64 v[30:31], v[24:25], -v[34:35]
	v_add_f64 v[16:17], v[20:21], -v[16:17]
	;; [unrolled: 1-line block ×3, first 2 shown]
	v_cndmask_b32_e32 v33, 0, v33, vcc
	v_add_f64 v[18:19], v[18:19], v[32:33]
	v_add_f64 v[30:31], v[28:29], -v[30:31]
	v_add_f64 v[3:4], v[3:4], v[24:25]
	v_add_f64 v[40:41], v[26:27], v[18:19]
	;; [unrolled: 1-line block ×3, first 2 shown]
	v_cvt_i32_f64_e32 v35, v[40:41]
	v_add_f64 v[3:4], v[9:10], v[3:4]
	v_cvt_f64_i32_e32 v[33:34], v35
	v_add_f64 v[18:19], v[18:19], -v[33:34]
	v_add_f64 v[3:4], v[13:14], v[3:4]
	v_add_f64 v[9:10], v[26:27], v[18:19]
	;; [unrolled: 1-line block ×3, first 2 shown]
	v_add_f64 v[13:14], v[9:10], -v[18:19]
	v_cmp_le_f64_e32 vcc, 0.5, v[9:10]
	v_add_f64 v[16:17], v[26:27], -v[13:14]
	v_mov_b32_e32 v14, 0x3ff00000
	v_cndmask_b32_e32 v33, 0, v14, vcc
	v_add_f64 v[9:10], v[9:10], -v[32:33]
	v_addc_co_u32_e64 v13, s[0:1], 0, v35, vcc
	s_mov_b32 s0, 0x54442d18
	s_mov_b32 s1, 0x3ff921fb
	v_add_f64 v[3:4], v[3:4], v[16:17]
	v_add_f64 v[16:17], v[9:10], v[3:4]
	v_mul_f64 v[18:19], v[16:17], s[0:1]
	v_add_f64 v[9:10], v[16:17], -v[9:10]
	v_fma_f64 v[20:21], v[16:17], s[0:1], -v[18:19]
	v_add_f64 v[3:4], v[3:4], -v[9:10]
	v_fma_f64 v[9:10], v[16:17], s[16:17], v[20:21]
	v_fma_f64 v[9:10], v[3:4], s[0:1], v[9:10]
	v_add_f64 v[3:4], v[18:19], v[9:10]
	v_add_f64 v[16:17], v[3:4], -v[18:19]
	v_add_f64 v[9:10], v[9:10], -v[16:17]
.LBB3_15:
	s_andn2_saveexec_b64 s[0:1], s[14:15]
	s_cbranch_execz .LBB3_17
; %bb.16:
	s_mov_b32 s14, 0x6dc9c883
	s_mov_b32 s15, 0x3fe45f30
	v_mul_f64 v[3:4], |v[11:12]|, s[14:15]
	s_mov_b32 s14, 0x54442d18
	s_mov_b32 s15, 0xbff921fb
	;; [unrolled: 1-line block ×4, first 2 shown]
	v_rndne_f64_e32 v[13:14], v[3:4]
	v_fma_f64 v[3:4], v[13:14], s[14:15], |v[11:12]|
	v_mul_f64 v[9:10], v[13:14], s[16:17]
	s_mov_b32 s14, 0x252049c0
	s_mov_b32 s15, 0xb97b839a
	v_fma_f64 v[20:21], v[13:14], s[16:17], v[3:4]
	v_add_f64 v[16:17], v[3:4], v[9:10]
	s_mov_b32 s17, 0x3c91a626
	v_add_f64 v[18:19], v[3:4], -v[16:17]
	v_add_f64 v[16:17], v[16:17], -v[20:21]
	v_add_f64 v[3:4], v[18:19], v[9:10]
	v_fma_f64 v[9:10], v[13:14], s[16:17], v[9:10]
	v_add_f64 v[3:4], v[16:17], v[3:4]
	v_add_f64 v[3:4], v[3:4], -v[9:10]
	v_fma_f64 v[9:10], v[13:14], s[14:15], v[3:4]
	v_cvt_i32_f64_e32 v13, v[13:14]
	v_add_f64 v[3:4], v[20:21], v[9:10]
	v_add_f64 v[16:17], v[3:4], -v[20:21]
	v_add_f64 v[9:10], v[9:10], -v[16:17]
.LBB3_17:
	s_or_b64 exec, exec, s[0:1]
	v_mul_f64 v[16:17], v[3:4], v[3:4]
	s_mov_b32 s0, 0xf9a43bb8
	v_mov_b32_e32 v19, 0xb42fdfa7
	v_mov_b32_e32 v20, 0xbe5ae600
	s_mov_b32 s1, 0x3de5e0b2
	s_mov_b32 s14, 0x796cde01
	v_mov_b32_e32 v18, 0x9037ab78
	s_mov_b32 s15, 0x3ec71de3
	v_fma_f64 v[20:21], v[16:17], s[0:1], v[19:20]
	s_mov_b32 s0, 0x46cc5e42
	v_mov_b32_e32 v19, 0x3e21eeb6
	s_mov_b32 s1, 0xbda907db
	v_fma_f64 v[18:19], v[16:17], s[0:1], v[18:19]
	v_mul_f64 v[22:23], v[16:17], 0.5
	s_mov_b32 s0, 0xa17f65f6
	s_mov_b32 s16, 0x19e83e5c
	v_fma_f64 v[20:21], v[16:17], v[20:21], s[14:15]
	s_mov_b32 s1, 0xbe927e4f
	s_mov_b32 s17, 0xbf2a01a0
	;; [unrolled: 1-line block ×3, first 2 shown]
	v_fma_f64 v[18:19], v[16:17], v[18:19], s[0:1]
	v_add_f64 v[24:25], -v[22:23], 1.0
	s_mov_b32 s0, 0x11110bb3
	s_mov_b32 s15, 0x3efa01a0
	v_fma_f64 v[20:21], v[16:17], v[20:21], s[16:17]
	s_mov_b32 s1, 0x3f811111
	v_mul_f64 v[26:27], v[9:10], 0.5
	v_mul_f64 v[28:29], v[3:4], -v[16:17]
	v_fma_f64 v[18:19], v[16:17], v[18:19], s[14:15]
	v_add_f64 v[30:31], -v[24:25], 1.0
	v_fma_f64 v[20:21], v[16:17], v[20:21], s[0:1]
	s_mov_b32 s0, 0x16c16967
	s_mov_b32 s1, 0xbf56c16c
	v_fma_f64 v[18:19], v[16:17], v[18:19], s[0:1]
	v_add_f64 v[22:23], v[30:31], -v[22:23]
	s_mov_b32 s1, 0x3fa55555
	s_mov_b32 s0, 0x55555555
	v_fma_f64 v[20:21], v[28:29], v[20:21], v[26:27]
	v_mul_f64 v[26:27], v[16:17], v[16:17]
	v_fma_f64 v[18:19], v[16:17], v[18:19], s[0:1]
	v_fma_f64 v[22:23], v[3:4], -v[9:10], v[22:23]
	s_mov_b32 s1, 0xbfc55555
	v_fma_f64 v[9:10], v[16:17], v[20:21], -v[9:10]
	v_fma_f64 v[16:17], v[26:27], v[18:19], v[22:23]
	v_fma_f64 v[9:10], v[28:29], s[0:1], v[9:10]
	s_movk_i32 s0, 0x1f8
	v_cmp_class_f64_e64 s[0:1], v[11:12], s0
	v_add_f64 v[16:17], v[24:25], v[16:17]
	v_add_f64 v[3:4], v[3:4], -v[9:10]
	v_and_b32_e32 v9, 1, v13
	v_cmp_eq_u32_e32 vcc, 0, v9
	v_lshlrev_b32_e32 v9, 30, v13
	v_xor_b32_e32 v9, v9, v12
	v_and_b32_e32 v9, 0x80000000, v9
	v_mov_b32_e32 v10, 0x7ff80000
	v_cndmask_b32_e32 v4, v17, v4, vcc
	v_cndmask_b32_e32 v3, v16, v3, vcc
	v_xor_b32_e32 v4, v4, v9
	v_cndmask_b32_e64 v3, 0, v3, s[0:1]
	v_cndmask_b32_e64 v4, v10, v4, s[0:1]
	v_div_scale_f64 v[9:10], s[0:1], v[11:12], v[11:12], v[3:4]
	v_div_scale_f64 v[18:19], vcc, v[3:4], v[11:12], v[3:4]
	v_rcp_f64_e32 v[13:14], v[9:10]
	v_fma_f64 v[16:17], -v[9:10], v[13:14], 1.0
	v_fma_f64 v[13:14], v[13:14], v[16:17], v[13:14]
	v_fma_f64 v[16:17], -v[9:10], v[13:14], 1.0
	v_fma_f64 v[13:14], v[13:14], v[16:17], v[13:14]
	v_mul_f64 v[16:17], v[18:19], v[13:14]
	v_fma_f64 v[9:10], -v[9:10], v[16:17], v[18:19]
	v_div_fmas_f64 v[9:10], v[9:10], v[13:14], v[16:17]
	v_div_fixup_f64 v[3:4], v[9:10], v[11:12], v[3:4]
                                        ; implicit-def: $vgpr11_vgpr12
.LBB3_18:
	s_andn2_saveexec_b64 s[0:1], s[12:13]
	s_cbranch_execz .LBB3_20
; %bb.19:
	v_mul_f64 v[3:4], v[11:12], v[11:12]
	s_mov_b32 s12, 0x13a86d09
	v_mov_b32_e32 v9, 0x67f544e4
	v_mov_b32_e32 v10, 0xbe5ae645
	s_mov_b32 s13, 0x3de61246
	v_fma_f64 v[9:10], v[3:4], s[12:13], v[9:10]
	s_mov_b32 s12, 0xa556c734
	s_mov_b32 s13, 0x3ec71de3
	v_fma_f64 v[9:10], v[3:4], v[9:10], s[12:13]
	s_mov_b32 s12, 0x1a01a01a
	;; [unrolled: 3-line block ×4, first 2 shown]
	s_mov_b32 s13, 0xbfc55555
	v_fma_f64 v[9:10], v[3:4], v[9:10], s[12:13]
	v_fma_f64 v[3:4], v[3:4], v[9:10], 1.0
.LBB3_20:
	s_or_b64 exec, exec, s[0:1]
.LBB3_21:
	s_or_b64 exec, exec, s[6:7]
	s_mov_b32 s6, 0
	s_mov_b32 s7, 0x7ff00000
	s_waitcnt vmcnt(0)
	v_cmp_neq_f64_e64 s[0:1], |v[5:6]|, s[6:7]
	v_mov_b32_e32 v11, 0
	v_mov_b32_e32 v9, 0
	;; [unrolled: 1-line block ×4, first 2 shown]
	s_and_saveexec_b64 s[12:13], s[0:1]
	s_cbranch_execz .LBB3_31
; %bb.22:
	v_cmp_nlt_f64_e64 s[0:1], |v[5:6]|, 0.5
	s_and_saveexec_b64 s[14:15], s[0:1]
	s_xor_b64 s[14:15], exec, s[14:15]
	s_cbranch_execz .LBB3_28
; %bb.23:
	s_mov_b32 s0, 0
	s_mov_b32 s1, 0x41d00000
	v_cmp_nlt_f64_e64 s[0:1], |v[5:6]|, s[0:1]
                                        ; implicit-def: $vgpr16
                                        ; implicit-def: $vgpr9_vgpr10
                                        ; implicit-def: $vgpr13_vgpr14
	s_and_saveexec_b64 s[16:17], s[0:1]
	s_xor_b64 s[16:17], exec, s[16:17]
	s_cbranch_execz .LBB3_25
; %bb.24:
	v_trig_preop_f64 v[9:10], |v[5:6]|, 0
	s_mov_b32 s0, 0
	s_mov_b32 s1, 0x7b000000
	s_movk_i32 s5, 0xff80
	v_ldexp_f64 v[16:17], |v[5:6]|, s5
	v_cmp_ge_f64_e64 vcc, |v[5:6]|, s[0:1]
	v_trig_preop_f64 v[13:14], |v[5:6]|, 1
	v_and_b32_e32 v18, 0x7fffffff, v6
	v_trig_preop_f64 v[24:25], |v[5:6]|, 2
	s_mov_b32 s0, 0
	s_mov_b32 s1, 0x7ff00000
	v_mov_b32_e32 v35, 0x40100000
	v_mov_b32_e32 v34, 0
	v_cndmask_b32_e32 v17, v18, v17, vcc
	v_cndmask_b32_e32 v16, v5, v16, vcc
	s_mov_b32 s20, 0x33145c07
	v_mul_f64 v[18:19], v[9:10], v[16:17]
	s_mov_b32 s21, 0x3c91a626
	v_mul_f64 v[20:21], v[13:14], v[16:17]
	v_mul_f64 v[30:31], v[24:25], v[16:17]
	v_fma_f64 v[9:10], v[9:10], v[16:17], -v[18:19]
	v_fma_f64 v[13:14], v[13:14], v[16:17], -v[20:21]
	;; [unrolled: 1-line block ×3, first 2 shown]
	v_add_f64 v[22:23], v[20:21], v[9:10]
	v_add_f64 v[26:27], v[22:23], -v[20:21]
	v_add_f64 v[32:33], v[18:19], v[22:23]
	v_add_f64 v[28:29], v[22:23], -v[26:27]
	v_add_f64 v[9:10], v[9:10], -v[26:27]
	v_add_f64 v[26:27], v[30:31], v[13:14]
	v_add_f64 v[18:19], v[32:33], -v[18:19]
	v_add_f64 v[20:21], v[20:21], -v[28:29]
	v_ldexp_f64 v[28:29], v[32:33], -2
	v_add_f64 v[36:37], v[26:27], -v[30:31]
	v_add_f64 v[18:19], v[22:23], -v[18:19]
	v_add_f64 v[9:10], v[9:10], v[20:21]
	v_fract_f64_e32 v[20:21], v[28:29]
	v_cmp_neq_f64_e64 vcc, |v[28:29]|, s[0:1]
	v_add_f64 v[13:14], v[13:14], -v[36:37]
	v_add_f64 v[22:23], v[26:27], v[9:10]
	v_ldexp_f64 v[20:21], v[20:21], 2
	v_add_f64 v[28:29], v[18:19], v[22:23]
	v_cndmask_b32_e32 v21, 0, v21, vcc
	v_cndmask_b32_e32 v20, 0, v20, vcc
	v_add_f64 v[38:39], v[22:23], -v[26:27]
	v_add_f64 v[32:33], v[28:29], v[20:21]
	v_add_f64 v[18:19], v[28:29], -v[18:19]
	v_add_f64 v[40:41], v[22:23], -v[38:39]
	;; [unrolled: 1-line block ×3, first 2 shown]
	v_cmp_gt_f64_e32 vcc, 0, v[32:33]
	v_add_f64 v[32:33], v[26:27], -v[36:37]
	v_add_f64 v[18:19], v[22:23], -v[18:19]
	;; [unrolled: 1-line block ×3, first 2 shown]
	v_cndmask_b32_e32 v35, 0, v35, vcc
	v_add_f64 v[20:21], v[20:21], v[34:35]
	v_add_f64 v[32:33], v[30:31], -v[32:33]
	v_add_f64 v[9:10], v[9:10], v[26:27]
	v_add_f64 v[42:43], v[28:29], v[20:21]
	;; [unrolled: 1-line block ×3, first 2 shown]
	v_cvt_i32_f64_e32 v37, v[42:43]
	v_add_f64 v[9:10], v[13:14], v[9:10]
	v_cvt_f64_i32_e32 v[35:36], v37
	v_add_f64 v[20:21], v[20:21], -v[35:36]
	v_add_f64 v[9:10], v[16:17], v[9:10]
	v_add_f64 v[13:14], v[28:29], v[20:21]
	;; [unrolled: 1-line block ×3, first 2 shown]
	v_mov_b32_e32 v19, 0x3ff00000
	v_add_f64 v[16:17], v[13:14], -v[20:21]
	v_cmp_le_f64_e32 vcc, 0.5, v[13:14]
	v_add_f64 v[17:18], v[28:29], -v[16:17]
	v_cndmask_b32_e32 v35, 0, v19, vcc
	v_add_f64 v[13:14], v[13:14], -v[34:35]
	v_addc_co_u32_e64 v16, s[0:1], 0, v37, vcc
	s_mov_b32 s0, 0x54442d18
	s_mov_b32 s1, 0x3ff921fb
	v_add_f64 v[9:10], v[9:10], v[17:18]
	v_add_f64 v[17:18], v[13:14], v[9:10]
	v_mul_f64 v[19:20], v[17:18], s[0:1]
	v_add_f64 v[13:14], v[17:18], -v[13:14]
	v_fma_f64 v[21:22], v[17:18], s[0:1], -v[19:20]
	v_add_f64 v[9:10], v[9:10], -v[13:14]
	v_fma_f64 v[13:14], v[17:18], s[20:21], v[21:22]
	v_fma_f64 v[13:14], v[9:10], s[0:1], v[13:14]
	v_add_f64 v[9:10], v[19:20], v[13:14]
	v_add_f64 v[17:18], v[9:10], -v[19:20]
	v_add_f64 v[13:14], v[13:14], -v[17:18]
.LBB3_25:
	s_andn2_saveexec_b64 s[0:1], s[16:17]
	s_cbranch_execz .LBB3_27
; %bb.26:
	s_mov_b32 s16, 0x6dc9c883
	s_mov_b32 s17, 0x3fe45f30
	v_mul_f64 v[9:10], |v[5:6]|, s[16:17]
	s_mov_b32 s16, 0x54442d18
	s_mov_b32 s17, 0xbff921fb
	;; [unrolled: 1-line block ×4, first 2 shown]
	v_rndne_f64_e32 v[16:17], v[9:10]
	v_fma_f64 v[9:10], v[16:17], s[16:17], |v[5:6]|
	v_mul_f64 v[13:14], v[16:17], s[20:21]
	s_mov_b32 s16, 0x252049c0
	s_mov_b32 s17, 0xb97b839a
	v_fma_f64 v[22:23], v[16:17], s[20:21], v[9:10]
	v_add_f64 v[18:19], v[9:10], v[13:14]
	s_mov_b32 s21, 0x3c91a626
	v_add_f64 v[20:21], v[9:10], -v[18:19]
	v_add_f64 v[18:19], v[18:19], -v[22:23]
	v_add_f64 v[9:10], v[20:21], v[13:14]
	v_fma_f64 v[13:14], v[16:17], s[20:21], v[13:14]
	v_add_f64 v[9:10], v[18:19], v[9:10]
	v_add_f64 v[9:10], v[9:10], -v[13:14]
	v_fma_f64 v[13:14], v[16:17], s[16:17], v[9:10]
	v_cvt_i32_f64_e32 v16, v[16:17]
	v_add_f64 v[9:10], v[22:23], v[13:14]
	v_add_f64 v[18:19], v[9:10], -v[22:23]
	v_add_f64 v[13:14], v[13:14], -v[18:19]
.LBB3_27:
	s_or_b64 exec, exec, s[0:1]
	v_mul_f64 v[17:18], v[9:10], v[9:10]
	s_mov_b32 s0, 0xf9a43bb8
	v_mov_b32_e32 v20, 0xb42fdfa7
	v_mov_b32_e32 v21, 0xbe5ae600
	s_mov_b32 s1, 0x3de5e0b2
	s_mov_b32 s16, 0x796cde01
	v_mov_b32_e32 v19, 0x9037ab78
	s_mov_b32 s17, 0x3ec71de3
	v_fma_f64 v[21:22], v[17:18], s[0:1], v[20:21]
	s_mov_b32 s0, 0x46cc5e42
	v_mov_b32_e32 v20, 0x3e21eeb6
	s_mov_b32 s1, 0xbda907db
	v_fma_f64 v[19:20], v[17:18], s[0:1], v[19:20]
	v_mul_f64 v[23:24], v[17:18], 0.5
	s_mov_b32 s0, 0xa17f65f6
	s_mov_b32 s20, 0x19e83e5c
	v_fma_f64 v[21:22], v[17:18], v[21:22], s[16:17]
	s_mov_b32 s1, 0xbe927e4f
	s_mov_b32 s21, 0xbf2a01a0
	;; [unrolled: 1-line block ×3, first 2 shown]
	v_fma_f64 v[19:20], v[17:18], v[19:20], s[0:1]
	v_add_f64 v[25:26], -v[23:24], 1.0
	s_mov_b32 s0, 0x11110bb3
	s_mov_b32 s17, 0x3efa01a0
	v_fma_f64 v[21:22], v[17:18], v[21:22], s[20:21]
	s_mov_b32 s1, 0x3f811111
	v_mul_f64 v[27:28], v[13:14], 0.5
	v_mul_f64 v[29:30], v[9:10], -v[17:18]
	v_fma_f64 v[19:20], v[17:18], v[19:20], s[16:17]
	v_add_f64 v[31:32], -v[25:26], 1.0
	v_fma_f64 v[21:22], v[17:18], v[21:22], s[0:1]
	s_mov_b32 s0, 0x16c16967
	s_mov_b32 s1, 0xbf56c16c
	v_fma_f64 v[19:20], v[17:18], v[19:20], s[0:1]
	v_add_f64 v[23:24], v[31:32], -v[23:24]
	s_mov_b32 s1, 0x3fa55555
	s_mov_b32 s0, 0x55555555
	v_fma_f64 v[21:22], v[29:30], v[21:22], v[27:28]
	v_mul_f64 v[27:28], v[17:18], v[17:18]
	v_fma_f64 v[19:20], v[17:18], v[19:20], s[0:1]
	v_fma_f64 v[23:24], v[9:10], -v[13:14], v[23:24]
	s_mov_b32 s1, 0xbfc55555
	v_fma_f64 v[13:14], v[17:18], v[21:22], -v[13:14]
	v_fma_f64 v[17:18], v[27:28], v[19:20], v[23:24]
	v_fma_f64 v[13:14], v[29:30], s[0:1], v[13:14]
	s_movk_i32 s0, 0x1f8
	v_cmp_class_f64_e64 s[0:1], v[5:6], s0
	v_add_f64 v[17:18], v[25:26], v[17:18]
	v_add_f64 v[9:10], v[9:10], -v[13:14]
	v_and_b32_e32 v13, 1, v16
	v_cmp_eq_u32_e32 vcc, 0, v13
	v_lshlrev_b32_e32 v13, 30, v16
	v_xor_b32_e32 v13, v13, v6
	v_and_b32_e32 v13, 0x80000000, v13
	v_mov_b32_e32 v14, 0x7ff80000
	v_cndmask_b32_e32 v10, v18, v10, vcc
	v_cndmask_b32_e32 v9, v17, v9, vcc
	v_xor_b32_e32 v10, v10, v13
	v_cndmask_b32_e64 v9, 0, v9, s[0:1]
	v_cndmask_b32_e64 v10, v14, v10, s[0:1]
	v_div_scale_f64 v[13:14], s[0:1], v[5:6], v[5:6], v[9:10]
	v_div_scale_f64 v[20:21], vcc, v[9:10], v[5:6], v[9:10]
	v_rcp_f64_e32 v[16:17], v[13:14]
	v_fma_f64 v[18:19], -v[13:14], v[16:17], 1.0
	v_fma_f64 v[16:17], v[16:17], v[18:19], v[16:17]
	v_fma_f64 v[18:19], -v[13:14], v[16:17], 1.0
	v_fma_f64 v[16:17], v[16:17], v[18:19], v[16:17]
	v_mul_f64 v[18:19], v[20:21], v[16:17]
	v_fma_f64 v[13:14], -v[13:14], v[18:19], v[20:21]
	v_div_fmas_f64 v[13:14], v[13:14], v[16:17], v[18:19]
	v_div_fixup_f64 v[9:10], v[13:14], v[5:6], v[9:10]
.LBB3_28:
	s_andn2_saveexec_b64 s[0:1], s[14:15]
	s_cbranch_execz .LBB3_30
; %bb.29:
	v_mul_f64 v[5:6], v[5:6], v[5:6]
	s_mov_b32 s14, 0x13a86d09
	v_mov_b32_e32 v9, 0x67f544e4
	v_mov_b32_e32 v10, 0xbe5ae645
	s_mov_b32 s15, 0x3de61246
	v_fma_f64 v[9:10], v[5:6], s[14:15], v[9:10]
	s_mov_b32 s14, 0xa556c734
	s_mov_b32 s15, 0x3ec71de3
	v_fma_f64 v[9:10], v[5:6], v[9:10], s[14:15]
	s_mov_b32 s14, 0x1a01a01a
	s_mov_b32 s15, 0xbf2a01a0
	v_fma_f64 v[9:10], v[5:6], v[9:10], s[14:15]
	s_mov_b32 s14, 0x11111111
	s_mov_b32 s15, 0x3f811111
	v_fma_f64 v[9:10], v[5:6], v[9:10], s[14:15]
	s_mov_b32 s14, 0x55555555
	s_mov_b32 s15, 0xbfc55555
	v_fma_f64 v[9:10], v[5:6], v[9:10], s[14:15]
	v_fma_f64 v[9:10], v[5:6], v[9:10], 1.0
.LBB3_30:
	s_or_b64 exec, exec, s[0:1]
.LBB3_31:
	s_or_b64 exec, exec, s[12:13]
	v_cmp_neq_f64_e64 s[0:1], |v[7:8]|, s[6:7]
	s_and_saveexec_b64 s[6:7], s[0:1]
	s_cbranch_execz .LBB3_41
; %bb.32:
	v_cmp_nlt_f64_e64 s[0:1], |v[7:8]|, 0.5
	s_and_saveexec_b64 s[12:13], s[0:1]
	s_xor_b64 s[12:13], exec, s[12:13]
	s_cbranch_execz .LBB3_38
; %bb.33:
	s_mov_b32 s0, 0
	s_mov_b32 s1, 0x41d00000
	v_cmp_nlt_f64_e64 s[0:1], |v[7:8]|, s[0:1]
                                        ; implicit-def: $vgpr13
                                        ; implicit-def: $vgpr5_vgpr6
                                        ; implicit-def: $vgpr11_vgpr12
	s_and_saveexec_b64 s[14:15], s[0:1]
	s_xor_b64 s[14:15], exec, s[14:15]
	s_cbranch_execz .LBB3_35
; %bb.34:
	v_trig_preop_f64 v[5:6], |v[7:8]|, 0
	s_mov_b32 s0, 0
	s_mov_b32 s1, 0x7b000000
	s_movk_i32 s5, 0xff80
	v_ldexp_f64 v[13:14], |v[7:8]|, s5
	v_cmp_ge_f64_e64 vcc, |v[7:8]|, s[0:1]
	v_trig_preop_f64 v[11:12], |v[7:8]|, 1
	v_and_b32_e32 v16, 0x7fffffff, v8
	v_trig_preop_f64 v[22:23], |v[7:8]|, 2
	s_mov_b32 s0, 0
	s_mov_b32 s1, 0x7ff00000
	v_mov_b32_e32 v33, 0x40100000
	v_mov_b32_e32 v32, 0
	v_cndmask_b32_e32 v14, v16, v14, vcc
	v_cndmask_b32_e32 v13, v7, v13, vcc
	s_mov_b32 s16, 0x33145c07
	v_mul_f64 v[16:17], v[5:6], v[13:14]
	s_mov_b32 s17, 0x3c91a626
	v_mul_f64 v[18:19], v[11:12], v[13:14]
	v_mul_f64 v[28:29], v[22:23], v[13:14]
	v_fma_f64 v[5:6], v[5:6], v[13:14], -v[16:17]
	v_fma_f64 v[11:12], v[11:12], v[13:14], -v[18:19]
	;; [unrolled: 1-line block ×3, first 2 shown]
	v_add_f64 v[20:21], v[18:19], v[5:6]
	v_add_f64 v[24:25], v[20:21], -v[18:19]
	v_add_f64 v[30:31], v[16:17], v[20:21]
	v_add_f64 v[26:27], v[20:21], -v[24:25]
	v_add_f64 v[5:6], v[5:6], -v[24:25]
	v_add_f64 v[24:25], v[28:29], v[11:12]
	v_add_f64 v[16:17], v[30:31], -v[16:17]
	v_add_f64 v[18:19], v[18:19], -v[26:27]
	v_ldexp_f64 v[26:27], v[30:31], -2
	v_add_f64 v[34:35], v[24:25], -v[28:29]
	v_add_f64 v[16:17], v[20:21], -v[16:17]
	v_add_f64 v[5:6], v[5:6], v[18:19]
	v_fract_f64_e32 v[18:19], v[26:27]
	v_cmp_neq_f64_e64 vcc, |v[26:27]|, s[0:1]
	v_add_f64 v[11:12], v[11:12], -v[34:35]
	v_add_f64 v[20:21], v[24:25], v[5:6]
	v_ldexp_f64 v[18:19], v[18:19], 2
	v_add_f64 v[26:27], v[16:17], v[20:21]
	v_cndmask_b32_e32 v19, 0, v19, vcc
	v_cndmask_b32_e32 v18, 0, v18, vcc
	v_add_f64 v[36:37], v[20:21], -v[24:25]
	v_add_f64 v[30:31], v[26:27], v[18:19]
	v_add_f64 v[16:17], v[26:27], -v[16:17]
	v_add_f64 v[38:39], v[20:21], -v[36:37]
	;; [unrolled: 1-line block ×3, first 2 shown]
	v_cmp_gt_f64_e32 vcc, 0, v[30:31]
	v_add_f64 v[30:31], v[24:25], -v[34:35]
	v_add_f64 v[16:17], v[20:21], -v[16:17]
	v_add_f64 v[24:25], v[24:25], -v[38:39]
	v_cndmask_b32_e32 v33, 0, v33, vcc
	v_add_f64 v[18:19], v[18:19], v[32:33]
	v_add_f64 v[30:31], v[28:29], -v[30:31]
	v_add_f64 v[5:6], v[5:6], v[24:25]
	v_add_f64 v[40:41], v[26:27], v[18:19]
	;; [unrolled: 1-line block ×3, first 2 shown]
	v_cvt_i32_f64_e32 v35, v[40:41]
	v_add_f64 v[5:6], v[11:12], v[5:6]
	v_cvt_f64_i32_e32 v[33:34], v35
	v_add_f64 v[18:19], v[18:19], -v[33:34]
	v_add_f64 v[5:6], v[13:14], v[5:6]
	v_add_f64 v[11:12], v[26:27], v[18:19]
	;; [unrolled: 1-line block ×3, first 2 shown]
	v_add_f64 v[13:14], v[11:12], -v[18:19]
	v_cmp_le_f64_e32 vcc, 0.5, v[11:12]
	v_add_f64 v[16:17], v[26:27], -v[13:14]
	v_mov_b32_e32 v14, 0x3ff00000
	v_cndmask_b32_e32 v33, 0, v14, vcc
	v_add_f64 v[11:12], v[11:12], -v[32:33]
	v_addc_co_u32_e64 v13, s[0:1], 0, v35, vcc
	s_mov_b32 s0, 0x54442d18
	s_mov_b32 s1, 0x3ff921fb
	v_add_f64 v[5:6], v[5:6], v[16:17]
	v_add_f64 v[16:17], v[11:12], v[5:6]
	v_mul_f64 v[18:19], v[16:17], s[0:1]
	v_add_f64 v[11:12], v[16:17], -v[11:12]
	v_fma_f64 v[20:21], v[16:17], s[0:1], -v[18:19]
	v_add_f64 v[5:6], v[5:6], -v[11:12]
	v_fma_f64 v[11:12], v[16:17], s[16:17], v[20:21]
	v_fma_f64 v[11:12], v[5:6], s[0:1], v[11:12]
	v_add_f64 v[5:6], v[18:19], v[11:12]
	v_add_f64 v[16:17], v[5:6], -v[18:19]
	v_add_f64 v[11:12], v[11:12], -v[16:17]
.LBB3_35:
	s_andn2_saveexec_b64 s[0:1], s[14:15]
	s_cbranch_execz .LBB3_37
; %bb.36:
	s_mov_b32 s14, 0x6dc9c883
	s_mov_b32 s15, 0x3fe45f30
	v_mul_f64 v[5:6], |v[7:8]|, s[14:15]
	s_mov_b32 s14, 0x54442d18
	s_mov_b32 s15, 0xbff921fb
	;; [unrolled: 1-line block ×4, first 2 shown]
	v_rndne_f64_e32 v[13:14], v[5:6]
	v_fma_f64 v[5:6], v[13:14], s[14:15], |v[7:8]|
	v_mul_f64 v[11:12], v[13:14], s[16:17]
	s_mov_b32 s14, 0x252049c0
	s_mov_b32 s15, 0xb97b839a
	v_fma_f64 v[20:21], v[13:14], s[16:17], v[5:6]
	v_add_f64 v[16:17], v[5:6], v[11:12]
	s_mov_b32 s17, 0x3c91a626
	v_add_f64 v[18:19], v[5:6], -v[16:17]
	v_add_f64 v[16:17], v[16:17], -v[20:21]
	v_add_f64 v[5:6], v[18:19], v[11:12]
	v_fma_f64 v[11:12], v[13:14], s[16:17], v[11:12]
	v_add_f64 v[5:6], v[16:17], v[5:6]
	v_add_f64 v[5:6], v[5:6], -v[11:12]
	v_fma_f64 v[11:12], v[13:14], s[14:15], v[5:6]
	v_cvt_i32_f64_e32 v13, v[13:14]
	v_add_f64 v[5:6], v[20:21], v[11:12]
	v_add_f64 v[16:17], v[5:6], -v[20:21]
	v_add_f64 v[11:12], v[11:12], -v[16:17]
.LBB3_37:
	s_or_b64 exec, exec, s[0:1]
	v_mul_f64 v[16:17], v[5:6], v[5:6]
	s_mov_b32 s0, 0xf9a43bb8
	v_mov_b32_e32 v19, 0xb42fdfa7
	v_mov_b32_e32 v20, 0xbe5ae600
	s_mov_b32 s1, 0x3de5e0b2
	s_mov_b32 s14, 0x796cde01
	v_mov_b32_e32 v18, 0x9037ab78
	s_mov_b32 s15, 0x3ec71de3
	v_fma_f64 v[20:21], v[16:17], s[0:1], v[19:20]
	s_mov_b32 s0, 0x46cc5e42
	v_mov_b32_e32 v19, 0x3e21eeb6
	s_mov_b32 s1, 0xbda907db
	v_fma_f64 v[18:19], v[16:17], s[0:1], v[18:19]
	v_mul_f64 v[22:23], v[16:17], 0.5
	s_mov_b32 s0, 0xa17f65f6
	s_mov_b32 s16, 0x19e83e5c
	v_fma_f64 v[20:21], v[16:17], v[20:21], s[14:15]
	s_mov_b32 s1, 0xbe927e4f
	s_mov_b32 s17, 0xbf2a01a0
	;; [unrolled: 1-line block ×3, first 2 shown]
	v_fma_f64 v[18:19], v[16:17], v[18:19], s[0:1]
	v_add_f64 v[24:25], -v[22:23], 1.0
	s_mov_b32 s0, 0x11110bb3
	s_mov_b32 s15, 0x3efa01a0
	v_fma_f64 v[20:21], v[16:17], v[20:21], s[16:17]
	s_mov_b32 s1, 0x3f811111
	v_mul_f64 v[26:27], v[11:12], 0.5
	v_mul_f64 v[28:29], v[5:6], -v[16:17]
	v_fma_f64 v[18:19], v[16:17], v[18:19], s[14:15]
	v_add_f64 v[30:31], -v[24:25], 1.0
	v_fma_f64 v[20:21], v[16:17], v[20:21], s[0:1]
	s_mov_b32 s0, 0x16c16967
	s_mov_b32 s1, 0xbf56c16c
	v_fma_f64 v[18:19], v[16:17], v[18:19], s[0:1]
	v_add_f64 v[22:23], v[30:31], -v[22:23]
	s_mov_b32 s1, 0x3fa55555
	s_mov_b32 s0, 0x55555555
	v_fma_f64 v[20:21], v[28:29], v[20:21], v[26:27]
	v_mul_f64 v[26:27], v[16:17], v[16:17]
	v_fma_f64 v[18:19], v[16:17], v[18:19], s[0:1]
	v_fma_f64 v[22:23], v[5:6], -v[11:12], v[22:23]
	s_mov_b32 s1, 0xbfc55555
	v_fma_f64 v[11:12], v[16:17], v[20:21], -v[11:12]
	v_fma_f64 v[16:17], v[26:27], v[18:19], v[22:23]
	v_fma_f64 v[11:12], v[28:29], s[0:1], v[11:12]
	s_movk_i32 s0, 0x1f8
	v_cmp_class_f64_e64 s[0:1], v[7:8], s0
	v_add_f64 v[16:17], v[24:25], v[16:17]
	v_add_f64 v[5:6], v[5:6], -v[11:12]
	v_and_b32_e32 v11, 1, v13
	v_cmp_eq_u32_e32 vcc, 0, v11
	v_lshlrev_b32_e32 v11, 30, v13
	v_xor_b32_e32 v11, v11, v8
	v_and_b32_e32 v11, 0x80000000, v11
	v_mov_b32_e32 v12, 0x7ff80000
	v_cndmask_b32_e32 v6, v17, v6, vcc
	v_cndmask_b32_e32 v5, v16, v5, vcc
	v_xor_b32_e32 v6, v6, v11
	v_cndmask_b32_e64 v5, 0, v5, s[0:1]
	v_cndmask_b32_e64 v6, v12, v6, s[0:1]
	v_div_scale_f64 v[11:12], s[0:1], v[7:8], v[7:8], v[5:6]
	v_div_scale_f64 v[18:19], vcc, v[5:6], v[7:8], v[5:6]
	v_rcp_f64_e32 v[13:14], v[11:12]
	v_fma_f64 v[16:17], -v[11:12], v[13:14], 1.0
	v_fma_f64 v[13:14], v[13:14], v[16:17], v[13:14]
	v_fma_f64 v[16:17], -v[11:12], v[13:14], 1.0
	v_fma_f64 v[13:14], v[13:14], v[16:17], v[13:14]
	v_mul_f64 v[16:17], v[18:19], v[13:14]
	v_fma_f64 v[11:12], -v[11:12], v[16:17], v[18:19]
	v_div_fmas_f64 v[11:12], v[11:12], v[13:14], v[16:17]
	v_div_fixup_f64 v[11:12], v[11:12], v[7:8], v[5:6]
                                        ; implicit-def: $vgpr7_vgpr8
.LBB3_38:
	s_andn2_saveexec_b64 s[0:1], s[12:13]
	s_cbranch_execz .LBB3_40
; %bb.39:
	v_mul_f64 v[5:6], v[7:8], v[7:8]
	s_mov_b32 s12, 0x13a86d09
	v_mov_b32_e32 v7, 0x67f544e4
	v_mov_b32_e32 v8, 0xbe5ae645
	s_mov_b32 s13, 0x3de61246
	v_fma_f64 v[7:8], v[5:6], s[12:13], v[7:8]
	s_mov_b32 s12, 0xa556c734
	s_mov_b32 s13, 0x3ec71de3
	v_fma_f64 v[7:8], v[5:6], v[7:8], s[12:13]
	s_mov_b32 s12, 0x1a01a01a
	;; [unrolled: 3-line block ×4, first 2 shown]
	s_mov_b32 s13, 0xbfc55555
	v_fma_f64 v[7:8], v[5:6], v[7:8], s[12:13]
	v_fma_f64 v[11:12], v[5:6], v[7:8], 1.0
.LBB3_40:
	s_or_b64 exec, exec, s[0:1]
.LBB3_41:
	s_or_b64 exec, exec, s[6:7]
	s_add_u32 s0, s8, s2
	s_addc_u32 s1, s9, s3
	v_mov_b32_e32 v5, s1
	v_add_co_u32_e32 v6, vcc, s0, v15
	v_addc_co_u32_e32 v5, vcc, 0, v5, vcc
	global_store_dwordx4 v15, v[1:4], s[0:1]
	s_mov_b64 s[0:1], 0
	v_add_co_u32_e32 v1, vcc, 0x1000, v6
	v_addc_co_u32_e32 v2, vcc, 0, v5, vcc
	global_store_dwordx4 v[1:2], v[9:12], off
.LBB3_42:
	s_and_b64 vcc, exec, s[0:1]
	s_cbranch_vccz .LBB3_93
; %bb.43:
	v_mov_b32_e32 v14, 0
	v_mov_b32_e32 v16, 0
	v_cmp_gt_i32_e64 s[0:1], s18, v0
	v_mov_b32_e32 v15, 0
	v_or_b32_e32 v1, s4, v0
	v_mov_b32_e32 v17, 0
	v_mov_b32_e32 v4, v0
	s_and_saveexec_b64 s[2:3], s[0:1]
	s_cbranch_execz .LBB3_45
; %bb.44:
	v_mov_b32_e32 v2, 0
	v_lshlrev_b64 v[2:3], 3, v[1:2]
	v_mov_b32_e32 v4, s11
	v_add_co_u32_e32 v2, vcc, s10, v2
	v_addc_co_u32_e32 v3, vcc, v4, v3, vcc
	global_load_dwordx2 v[16:17], v[2:3], off
	v_or_b32_e32 v4, 0x100, v0
.LBB3_45:
	s_or_b64 exec, exec, s[2:3]
	v_cmp_gt_i32_e32 vcc, s18, v4
	s_and_saveexec_b64 s[2:3], vcc
	s_cbranch_execz .LBB3_47
; %bb.46:
	v_add_u32_e32 v2, s4, v4
	v_mov_b32_e32 v3, 0
	v_lshlrev_b64 v[2:3], 3, v[2:3]
	v_mov_b32_e32 v5, s11
	v_add_co_u32_e32 v2, vcc, s10, v2
	v_addc_co_u32_e32 v3, vcc, v5, v3, vcc
	global_load_dwordx2 v[14:15], v[2:3], off
	v_add_u32_e32 v4, 0x100, v4
.LBB3_47:
	s_or_b64 exec, exec, s[2:3]
	v_mov_b32_e32 v2, 0
	v_mov_b32_e32 v6, 0
	;; [unrolled: 1-line block ×4, first 2 shown]
	v_cmp_gt_i32_e32 vcc, s18, v4
	s_and_saveexec_b64 s[2:3], vcc
	s_cbranch_execz .LBB3_49
; %bb.48:
	v_add_u32_e32 v5, s4, v4
	v_mov_b32_e32 v6, 0
	v_lshlrev_b64 v[5:6], 3, v[5:6]
	v_mov_b32_e32 v7, s11
	v_add_co_u32_e32 v5, vcc, s10, v5
	v_addc_co_u32_e32 v6, vcc, v7, v6, vcc
	global_load_dwordx2 v[6:7], v[5:6], off
	v_add_u32_e32 v4, 0x100, v4
.LBB3_49:
	s_or_b64 exec, exec, s[2:3]
	v_cmp_gt_i32_e32 vcc, s18, v4
	s_and_saveexec_b64 s[2:3], vcc
	s_cbranch_execz .LBB3_51
; %bb.50:
	v_add_u32_e32 v2, s4, v4
	v_mov_b32_e32 v3, 0
	v_lshlrev_b64 v[2:3], 3, v[2:3]
	v_mov_b32_e32 v4, s11
	v_add_co_u32_e32 v2, vcc, s10, v2
	v_addc_co_u32_e32 v3, vcc, v4, v3, vcc
	global_load_dwordx2 v[2:3], v[2:3], off
.LBB3_51:
	s_or_b64 exec, exec, s[2:3]
	v_mov_b32_e32 v4, 0
	v_mov_b32_e32 v5, v4
	;; [unrolled: 1-line block ×8, first 2 shown]
	s_and_saveexec_b64 s[6:7], s[0:1]
	s_cbranch_execz .LBB3_63
; %bb.52:
	s_mov_b32 s2, 0
	s_mov_b32 s3, 0x7ff00000
	s_waitcnt vmcnt(0)
	v_cmp_neq_f64_e64 s[2:3], |v[16:17]|, s[2:3]
	v_mov_b32_e32 v4, 0
	v_mov_b32_e32 v5, 0
	s_and_saveexec_b64 s[10:11], s[2:3]
	s_cbranch_execz .LBB3_62
; %bb.53:
	v_cmp_nlt_f64_e64 s[2:3], |v[16:17]|, 0.5
                                        ; implicit-def: $vgpr4_vgpr5
	s_and_saveexec_b64 s[12:13], s[2:3]
	s_xor_b64 s[12:13], exec, s[12:13]
	s_cbranch_execz .LBB3_59
; %bb.54:
	s_mov_b32 s2, 0
	s_mov_b32 s3, 0x41d00000
	v_cmp_nlt_f64_e64 s[2:3], |v[16:17]|, s[2:3]
                                        ; implicit-def: $vgpr10
                                        ; implicit-def: $vgpr4_vgpr5
                                        ; implicit-def: $vgpr8_vgpr9
	s_and_saveexec_b64 s[14:15], s[2:3]
	s_xor_b64 s[14:15], exec, s[14:15]
	s_cbranch_execz .LBB3_56
; %bb.55:
	v_trig_preop_f64 v[4:5], |v[16:17]|, 0
	s_mov_b32 s2, 0
	s_mov_b32 s3, 0x7b000000
	s_movk_i32 s5, 0xff80
	v_ldexp_f64 v[10:11], |v[16:17]|, s5
	v_cmp_ge_f64_e64 vcc, |v[16:17]|, s[2:3]
	v_trig_preop_f64 v[8:9], |v[16:17]|, 1
	v_and_b32_e32 v12, 0x7fffffff, v17
	v_trig_preop_f64 v[22:23], |v[16:17]|, 2
	s_mov_b32 s2, 0
	s_mov_b32 s3, 0x7ff00000
	v_mov_b32_e32 v33, 0x40100000
	v_mov_b32_e32 v32, 0
	v_cndmask_b32_e32 v11, v12, v11, vcc
	v_cndmask_b32_e32 v10, v16, v10, vcc
	s_mov_b32 s16, 0x33145c07
	v_mul_f64 v[12:13], v[4:5], v[10:11]
	s_mov_b32 s17, 0x3c91a626
	v_mul_f64 v[18:19], v[8:9], v[10:11]
	v_mul_f64 v[28:29], v[22:23], v[10:11]
	v_fma_f64 v[4:5], v[4:5], v[10:11], -v[12:13]
	v_fma_f64 v[8:9], v[8:9], v[10:11], -v[18:19]
	;; [unrolled: 1-line block ×3, first 2 shown]
	v_add_f64 v[20:21], v[18:19], v[4:5]
	v_add_f64 v[24:25], v[20:21], -v[18:19]
	v_add_f64 v[30:31], v[12:13], v[20:21]
	v_add_f64 v[26:27], v[20:21], -v[24:25]
	v_add_f64 v[4:5], v[4:5], -v[24:25]
	v_add_f64 v[24:25], v[28:29], v[8:9]
	v_add_f64 v[12:13], v[30:31], -v[12:13]
	v_add_f64 v[18:19], v[18:19], -v[26:27]
	v_ldexp_f64 v[26:27], v[30:31], -2
	v_add_f64 v[34:35], v[24:25], -v[28:29]
	v_add_f64 v[12:13], v[20:21], -v[12:13]
	v_add_f64 v[4:5], v[4:5], v[18:19]
	v_fract_f64_e32 v[18:19], v[26:27]
	v_cmp_neq_f64_e64 vcc, |v[26:27]|, s[2:3]
	v_add_f64 v[8:9], v[8:9], -v[34:35]
	v_add_f64 v[20:21], v[24:25], v[4:5]
	v_ldexp_f64 v[18:19], v[18:19], 2
	v_add_f64 v[26:27], v[12:13], v[20:21]
	v_cndmask_b32_e32 v19, 0, v19, vcc
	v_cndmask_b32_e32 v18, 0, v18, vcc
	v_add_f64 v[36:37], v[20:21], -v[24:25]
	v_add_f64 v[30:31], v[26:27], v[18:19]
	v_add_f64 v[12:13], v[26:27], -v[12:13]
	v_add_f64 v[38:39], v[20:21], -v[36:37]
	;; [unrolled: 1-line block ×3, first 2 shown]
	v_cmp_gt_f64_e32 vcc, 0, v[30:31]
	v_add_f64 v[30:31], v[24:25], -v[34:35]
	v_add_f64 v[12:13], v[20:21], -v[12:13]
	;; [unrolled: 1-line block ×3, first 2 shown]
	v_cndmask_b32_e32 v33, 0, v33, vcc
	v_add_f64 v[18:19], v[18:19], v[32:33]
	v_add_f64 v[30:31], v[28:29], -v[30:31]
	v_add_f64 v[4:5], v[4:5], v[24:25]
	v_add_f64 v[40:41], v[26:27], v[18:19]
	;; [unrolled: 1-line block ×3, first 2 shown]
	v_cvt_i32_f64_e32 v35, v[40:41]
	v_add_f64 v[4:5], v[8:9], v[4:5]
	v_cvt_f64_i32_e32 v[33:34], v35
	v_add_f64 v[18:19], v[18:19], -v[33:34]
	v_add_f64 v[4:5], v[10:11], v[4:5]
	v_add_f64 v[8:9], v[26:27], v[18:19]
	v_add_f64 v[4:5], v[12:13], v[4:5]
	v_mov_b32_e32 v13, 0x3ff00000
	v_add_f64 v[10:11], v[8:9], -v[18:19]
	v_cmp_le_f64_e32 vcc, 0.5, v[8:9]
	v_add_f64 v[11:12], v[26:27], -v[10:11]
	v_cndmask_b32_e32 v33, 0, v13, vcc
	v_add_f64 v[8:9], v[8:9], -v[32:33]
	v_addc_co_u32_e64 v10, s[2:3], 0, v35, vcc
	s_mov_b32 s2, 0x54442d18
	s_mov_b32 s3, 0x3ff921fb
	v_add_f64 v[4:5], v[4:5], v[11:12]
	v_add_f64 v[11:12], v[8:9], v[4:5]
	v_mul_f64 v[18:19], v[11:12], s[2:3]
	v_add_f64 v[8:9], v[11:12], -v[8:9]
	v_fma_f64 v[20:21], v[11:12], s[2:3], -v[18:19]
	v_add_f64 v[4:5], v[4:5], -v[8:9]
	v_fma_f64 v[8:9], v[11:12], s[16:17], v[20:21]
	v_fma_f64 v[8:9], v[4:5], s[2:3], v[8:9]
	v_add_f64 v[4:5], v[18:19], v[8:9]
	v_add_f64 v[11:12], v[4:5], -v[18:19]
	v_add_f64 v[8:9], v[8:9], -v[11:12]
.LBB3_56:
	s_andn2_saveexec_b64 s[2:3], s[14:15]
	s_cbranch_execz .LBB3_58
; %bb.57:
	s_mov_b32 s14, 0x6dc9c883
	s_mov_b32 s15, 0x3fe45f30
	v_mul_f64 v[4:5], |v[16:17]|, s[14:15]
	s_mov_b32 s14, 0x54442d18
	s_mov_b32 s15, 0xbff921fb
	;; [unrolled: 1-line block ×4, first 2 shown]
	v_rndne_f64_e32 v[10:11], v[4:5]
	v_fma_f64 v[4:5], v[10:11], s[14:15], |v[16:17]|
	v_mul_f64 v[8:9], v[10:11], s[16:17]
	s_mov_b32 s14, 0x252049c0
	s_mov_b32 s15, 0xb97b839a
	v_fma_f64 v[20:21], v[10:11], s[16:17], v[4:5]
	v_add_f64 v[12:13], v[4:5], v[8:9]
	s_mov_b32 s17, 0x3c91a626
	v_add_f64 v[18:19], v[4:5], -v[12:13]
	v_add_f64 v[12:13], v[12:13], -v[20:21]
	v_add_f64 v[4:5], v[18:19], v[8:9]
	v_fma_f64 v[8:9], v[10:11], s[16:17], v[8:9]
	v_add_f64 v[4:5], v[12:13], v[4:5]
	v_add_f64 v[4:5], v[4:5], -v[8:9]
	v_fma_f64 v[8:9], v[10:11], s[14:15], v[4:5]
	v_cvt_i32_f64_e32 v10, v[10:11]
	v_add_f64 v[4:5], v[20:21], v[8:9]
	v_add_f64 v[12:13], v[4:5], -v[20:21]
	v_add_f64 v[8:9], v[8:9], -v[12:13]
.LBB3_58:
	s_or_b64 exec, exec, s[2:3]
	v_mul_f64 v[11:12], v[4:5], v[4:5]
	s_mov_b32 s2, 0xf9a43bb8
	v_mov_b32_e32 v19, 0xb42fdfa7
	v_mov_b32_e32 v20, 0xbe5ae600
	s_mov_b32 s3, 0x3de5e0b2
	s_mov_b32 s14, 0x796cde01
	v_mov_b32_e32 v18, 0x9037ab78
	s_mov_b32 s15, 0x3ec71de3
	v_fma_f64 v[20:21], v[11:12], s[2:3], v[19:20]
	s_mov_b32 s2, 0x46cc5e42
	v_mov_b32_e32 v19, 0x3e21eeb6
	s_mov_b32 s3, 0xbda907db
	v_fma_f64 v[18:19], v[11:12], s[2:3], v[18:19]
	v_mul_f64 v[22:23], v[11:12], 0.5
	s_mov_b32 s2, 0xa17f65f6
	s_mov_b32 s16, 0x19e83e5c
	v_fma_f64 v[20:21], v[11:12], v[20:21], s[14:15]
	s_mov_b32 s3, 0xbe927e4f
	s_mov_b32 s17, 0xbf2a01a0
	;; [unrolled: 1-line block ×3, first 2 shown]
	v_fma_f64 v[18:19], v[11:12], v[18:19], s[2:3]
	v_add_f64 v[24:25], -v[22:23], 1.0
	s_mov_b32 s2, 0x11110bb3
	s_mov_b32 s15, 0x3efa01a0
	v_fma_f64 v[20:21], v[11:12], v[20:21], s[16:17]
	s_mov_b32 s3, 0x3f811111
	v_mul_f64 v[26:27], v[8:9], 0.5
	v_mul_f64 v[28:29], v[4:5], -v[11:12]
	v_fma_f64 v[18:19], v[11:12], v[18:19], s[14:15]
	v_add_f64 v[30:31], -v[24:25], 1.0
	v_fma_f64 v[20:21], v[11:12], v[20:21], s[2:3]
	s_mov_b32 s2, 0x16c16967
	s_mov_b32 s3, 0xbf56c16c
	v_fma_f64 v[18:19], v[11:12], v[18:19], s[2:3]
	v_add_f64 v[22:23], v[30:31], -v[22:23]
	s_mov_b32 s3, 0x3fa55555
	s_mov_b32 s2, 0x55555555
	v_fma_f64 v[20:21], v[28:29], v[20:21], v[26:27]
	v_mul_f64 v[26:27], v[11:12], v[11:12]
	v_fma_f64 v[18:19], v[11:12], v[18:19], s[2:3]
	v_fma_f64 v[22:23], v[4:5], -v[8:9], v[22:23]
	s_mov_b32 s3, 0xbfc55555
	v_fma_f64 v[8:9], v[11:12], v[20:21], -v[8:9]
	v_fma_f64 v[11:12], v[26:27], v[18:19], v[22:23]
	v_fma_f64 v[8:9], v[28:29], s[2:3], v[8:9]
	s_movk_i32 s2, 0x1f8
	v_cmp_class_f64_e64 s[2:3], v[16:17], s2
	v_add_f64 v[11:12], v[24:25], v[11:12]
	v_add_f64 v[4:5], v[4:5], -v[8:9]
	v_and_b32_e32 v8, 1, v10
	v_cmp_eq_u32_e32 vcc, 0, v8
	v_lshlrev_b32_e32 v8, 30, v10
	v_xor_b32_e32 v8, v8, v17
	v_and_b32_e32 v8, 0x80000000, v8
	v_mov_b32_e32 v9, 0x7ff80000
	v_cndmask_b32_e32 v5, v12, v5, vcc
	v_cndmask_b32_e32 v4, v11, v4, vcc
	v_xor_b32_e32 v5, v5, v8
	v_cndmask_b32_e64 v4, 0, v4, s[2:3]
	v_cndmask_b32_e64 v5, v9, v5, s[2:3]
	v_div_scale_f64 v[8:9], s[2:3], v[16:17], v[16:17], v[4:5]
	v_div_scale_f64 v[18:19], vcc, v[4:5], v[16:17], v[4:5]
	v_rcp_f64_e32 v[10:11], v[8:9]
	v_fma_f64 v[12:13], -v[8:9], v[10:11], 1.0
	v_fma_f64 v[10:11], v[10:11], v[12:13], v[10:11]
	v_fma_f64 v[12:13], -v[8:9], v[10:11], 1.0
	v_fma_f64 v[10:11], v[10:11], v[12:13], v[10:11]
	v_mul_f64 v[12:13], v[18:19], v[10:11]
	v_fma_f64 v[8:9], -v[8:9], v[12:13], v[18:19]
	v_div_fmas_f64 v[8:9], v[8:9], v[10:11], v[12:13]
	v_div_fixup_f64 v[4:5], v[8:9], v[16:17], v[4:5]
                                        ; implicit-def: $vgpr16_vgpr17
.LBB3_59:
	s_andn2_saveexec_b64 s[2:3], s[12:13]
	s_cbranch_execz .LBB3_61
; %bb.60:
	v_mul_f64 v[4:5], v[16:17], v[16:17]
	s_mov_b32 s12, 0x13a86d09
	v_mov_b32_e32 v8, 0x67f544e4
	v_mov_b32_e32 v9, 0xbe5ae645
	s_mov_b32 s13, 0x3de61246
	v_fma_f64 v[8:9], v[4:5], s[12:13], v[8:9]
	s_mov_b32 s12, 0xa556c734
	s_mov_b32 s13, 0x3ec71de3
	v_fma_f64 v[8:9], v[4:5], v[8:9], s[12:13]
	s_mov_b32 s12, 0x1a01a01a
	;; [unrolled: 3-line block ×4, first 2 shown]
	s_mov_b32 s13, 0xbfc55555
	v_fma_f64 v[8:9], v[4:5], v[8:9], s[12:13]
	v_fma_f64 v[4:5], v[4:5], v[8:9], 1.0
.LBB3_61:
	s_or_b64 exec, exec, s[2:3]
.LBB3_62:
	s_or_b64 exec, exec, s[10:11]
	v_mov_b32_e32 v12, 0
	v_mov_b32_e32 v13, v12
	;; [unrolled: 1-line block ×6, first 2 shown]
.LBB3_63:
	s_or_b64 exec, exec, s[6:7]
	v_or_b32_e32 v18, 0x100, v0
	v_cmp_gt_i32_e32 vcc, s18, v18
	s_and_saveexec_b64 s[6:7], vcc
	s_cbranch_execz .LBB3_75
; %bb.64:
	s_mov_b32 s2, 0
	s_mov_b32 s3, 0x7ff00000
	s_waitcnt vmcnt(0)
	v_cmp_neq_f64_e64 s[2:3], |v[14:15]|, s[2:3]
	v_mov_b32_e32 v12, 0
	v_mov_b32_e32 v13, 0
	s_and_saveexec_b64 s[10:11], s[2:3]
	s_cbranch_execz .LBB3_74
; %bb.65:
	v_cmp_nlt_f64_e64 s[2:3], |v[14:15]|, 0.5
	s_and_saveexec_b64 s[12:13], s[2:3]
	s_xor_b64 s[12:13], exec, s[12:13]
                                        ; implicit-def: $vgpr12_vgpr13
	s_cbranch_execz .LBB3_71
; %bb.66:
	s_mov_b32 s2, 0
	s_mov_b32 s3, 0x41d00000
	v_cmp_nlt_f64_e64 s[2:3], |v[14:15]|, s[2:3]
                                        ; implicit-def: $vgpr19
                                        ; implicit-def: $vgpr12_vgpr13
                                        ; implicit-def: $vgpr16_vgpr17
	s_and_saveexec_b64 s[14:15], s[2:3]
	s_xor_b64 s[2:3], exec, s[14:15]
	s_cbranch_execz .LBB3_68
; %bb.67:
	v_trig_preop_f64 v[12:13], |v[14:15]|, 0
	s_mov_b32 s14, 0
	s_mov_b32 s15, 0x7b000000
	s_movk_i32 s5, 0xff80
	v_ldexp_f64 v[19:20], |v[14:15]|, s5
	v_cmp_ge_f64_e64 vcc, |v[14:15]|, s[14:15]
	v_trig_preop_f64 v[16:17], |v[14:15]|, 1
	v_and_b32_e32 v21, 0x7fffffff, v15
	v_trig_preop_f64 v[27:28], |v[14:15]|, 2
	s_mov_b32 s14, 0
	s_mov_b32 s15, 0x7ff00000
	v_mov_b32_e32 v38, 0x40100000
	v_mov_b32_e32 v37, 0
	v_cndmask_b32_e32 v20, v21, v20, vcc
	v_cndmask_b32_e32 v19, v14, v19, vcc
	s_mov_b32 s16, 0x33145c07
	v_mul_f64 v[21:22], v[12:13], v[19:20]
	s_mov_b32 s17, 0x3c91a626
	v_mul_f64 v[23:24], v[16:17], v[19:20]
	v_mul_f64 v[33:34], v[27:28], v[19:20]
	v_fma_f64 v[12:13], v[12:13], v[19:20], -v[21:22]
	v_fma_f64 v[16:17], v[16:17], v[19:20], -v[23:24]
	;; [unrolled: 1-line block ×3, first 2 shown]
	v_add_f64 v[25:26], v[23:24], v[12:13]
	v_add_f64 v[29:30], v[25:26], -v[23:24]
	v_add_f64 v[35:36], v[21:22], v[25:26]
	v_add_f64 v[31:32], v[25:26], -v[29:30]
	v_add_f64 v[12:13], v[12:13], -v[29:30]
	v_add_f64 v[29:30], v[33:34], v[16:17]
	v_add_f64 v[21:22], v[35:36], -v[21:22]
	v_add_f64 v[23:24], v[23:24], -v[31:32]
	v_ldexp_f64 v[31:32], v[35:36], -2
	v_add_f64 v[39:40], v[29:30], -v[33:34]
	v_add_f64 v[21:22], v[25:26], -v[21:22]
	v_add_f64 v[12:13], v[12:13], v[23:24]
	v_fract_f64_e32 v[23:24], v[31:32]
	v_cmp_neq_f64_e64 vcc, |v[31:32]|, s[14:15]
	v_add_f64 v[16:17], v[16:17], -v[39:40]
	s_mov_b32 s14, 0x54442d18
	s_mov_b32 s15, 0x3ff921fb
	v_add_f64 v[25:26], v[29:30], v[12:13]
	v_ldexp_f64 v[23:24], v[23:24], 2
	v_add_f64 v[31:32], v[21:22], v[25:26]
	v_cndmask_b32_e32 v24, 0, v24, vcc
	v_cndmask_b32_e32 v23, 0, v23, vcc
	v_add_f64 v[41:42], v[25:26], -v[29:30]
	v_add_f64 v[35:36], v[31:32], v[23:24]
	v_add_f64 v[21:22], v[31:32], -v[21:22]
	v_add_f64 v[43:44], v[25:26], -v[41:42]
	;; [unrolled: 1-line block ×3, first 2 shown]
	v_cmp_gt_f64_e32 vcc, 0, v[35:36]
	v_add_f64 v[35:36], v[29:30], -v[39:40]
	v_add_f64 v[21:22], v[25:26], -v[21:22]
	v_add_f64 v[29:30], v[29:30], -v[43:44]
	v_cndmask_b32_e32 v38, 0, v38, vcc
	v_add_f64 v[23:24], v[23:24], v[37:38]
	v_add_f64 v[35:36], v[33:34], -v[35:36]
	v_add_f64 v[12:13], v[12:13], v[29:30]
	v_add_f64 v[45:46], v[31:32], v[23:24]
	;; [unrolled: 1-line block ×3, first 2 shown]
	v_cvt_i32_f64_e32 v40, v[45:46]
	v_add_f64 v[12:13], v[16:17], v[12:13]
	v_cvt_f64_i32_e32 v[38:39], v40
	v_add_f64 v[23:24], v[23:24], -v[38:39]
	v_add_f64 v[12:13], v[19:20], v[12:13]
	v_add_f64 v[16:17], v[31:32], v[23:24]
	;; [unrolled: 1-line block ×3, first 2 shown]
	v_mov_b32_e32 v21, 0x3ff00000
	v_add_f64 v[19:20], v[16:17], -v[23:24]
	v_cmp_le_f64_e32 vcc, 0.5, v[16:17]
	v_add_f64 v[19:20], v[31:32], -v[19:20]
	v_cndmask_b32_e32 v38, 0, v21, vcc
	v_add_f64 v[16:17], v[16:17], -v[37:38]
	v_add_f64 v[12:13], v[12:13], v[19:20]
	v_add_f64 v[19:20], v[16:17], v[12:13]
	v_mul_f64 v[21:22], v[19:20], s[14:15]
	v_add_f64 v[16:17], v[19:20], -v[16:17]
	v_fma_f64 v[23:24], v[19:20], s[14:15], -v[21:22]
	v_add_f64 v[12:13], v[12:13], -v[16:17]
	v_fma_f64 v[16:17], v[19:20], s[16:17], v[23:24]
	v_fma_f64 v[16:17], v[12:13], s[14:15], v[16:17]
	v_add_f64 v[12:13], v[21:22], v[16:17]
	v_add_f64 v[19:20], v[12:13], -v[21:22]
	v_add_f64 v[16:17], v[16:17], -v[19:20]
	v_addc_co_u32_e32 v19, vcc, 0, v40, vcc
.LBB3_68:
	s_andn2_saveexec_b64 s[2:3], s[2:3]
	s_cbranch_execz .LBB3_70
; %bb.69:
	s_mov_b32 s14, 0x6dc9c883
	s_mov_b32 s15, 0x3fe45f30
	v_mul_f64 v[12:13], |v[14:15]|, s[14:15]
	s_mov_b32 s14, 0x54442d18
	s_mov_b32 s15, 0xbff921fb
	;; [unrolled: 1-line block ×4, first 2 shown]
	v_rndne_f64_e32 v[19:20], v[12:13]
	v_fma_f64 v[12:13], v[19:20], s[14:15], |v[14:15]|
	v_mul_f64 v[16:17], v[19:20], s[16:17]
	s_mov_b32 s14, 0x252049c0
	s_mov_b32 s15, 0xb97b839a
	v_fma_f64 v[25:26], v[19:20], s[16:17], v[12:13]
	v_add_f64 v[21:22], v[12:13], v[16:17]
	s_mov_b32 s17, 0x3c91a626
	v_add_f64 v[23:24], v[12:13], -v[21:22]
	v_add_f64 v[21:22], v[21:22], -v[25:26]
	v_add_f64 v[12:13], v[23:24], v[16:17]
	v_fma_f64 v[16:17], v[19:20], s[16:17], v[16:17]
	v_add_f64 v[12:13], v[21:22], v[12:13]
	v_add_f64 v[12:13], v[12:13], -v[16:17]
	v_fma_f64 v[16:17], v[19:20], s[14:15], v[12:13]
	v_cvt_i32_f64_e32 v19, v[19:20]
	v_add_f64 v[12:13], v[25:26], v[16:17]
	v_add_f64 v[21:22], v[12:13], -v[25:26]
	v_add_f64 v[16:17], v[16:17], -v[21:22]
.LBB3_70:
	s_or_b64 exec, exec, s[2:3]
	v_mul_f64 v[20:21], v[12:13], v[12:13]
	s_mov_b32 s2, 0xf9a43bb8
	v_mov_b32_e32 v23, 0xb42fdfa7
	v_mov_b32_e32 v24, 0xbe5ae600
	s_mov_b32 s3, 0x3de5e0b2
	s_mov_b32 s14, 0x796cde01
	v_mov_b32_e32 v22, 0x9037ab78
	s_mov_b32 s15, 0x3ec71de3
	v_fma_f64 v[24:25], v[20:21], s[2:3], v[23:24]
	s_mov_b32 s2, 0x46cc5e42
	v_mov_b32_e32 v23, 0x3e21eeb6
	s_mov_b32 s3, 0xbda907db
	v_fma_f64 v[22:23], v[20:21], s[2:3], v[22:23]
	v_mul_f64 v[26:27], v[20:21], 0.5
	s_mov_b32 s2, 0xa17f65f6
	s_mov_b32 s16, 0x19e83e5c
	v_fma_f64 v[24:25], v[20:21], v[24:25], s[14:15]
	s_mov_b32 s3, 0xbe927e4f
	s_mov_b32 s17, 0xbf2a01a0
	;; [unrolled: 1-line block ×3, first 2 shown]
	v_fma_f64 v[22:23], v[20:21], v[22:23], s[2:3]
	v_add_f64 v[28:29], -v[26:27], 1.0
	s_mov_b32 s2, 0x11110bb3
	s_mov_b32 s15, 0x3efa01a0
	v_fma_f64 v[24:25], v[20:21], v[24:25], s[16:17]
	s_mov_b32 s3, 0x3f811111
	v_mul_f64 v[30:31], v[16:17], 0.5
	v_mul_f64 v[32:33], v[12:13], -v[20:21]
	v_fma_f64 v[22:23], v[20:21], v[22:23], s[14:15]
	v_add_f64 v[34:35], -v[28:29], 1.0
	v_fma_f64 v[24:25], v[20:21], v[24:25], s[2:3]
	s_mov_b32 s2, 0x16c16967
	s_mov_b32 s3, 0xbf56c16c
	v_fma_f64 v[22:23], v[20:21], v[22:23], s[2:3]
	v_add_f64 v[26:27], v[34:35], -v[26:27]
	s_mov_b32 s3, 0x3fa55555
	s_mov_b32 s2, 0x55555555
	v_fma_f64 v[24:25], v[32:33], v[24:25], v[30:31]
	v_mul_f64 v[30:31], v[20:21], v[20:21]
	v_fma_f64 v[22:23], v[20:21], v[22:23], s[2:3]
	v_fma_f64 v[26:27], v[12:13], -v[16:17], v[26:27]
	s_mov_b32 s3, 0xbfc55555
	v_fma_f64 v[16:17], v[20:21], v[24:25], -v[16:17]
	v_fma_f64 v[20:21], v[30:31], v[22:23], v[26:27]
	v_fma_f64 v[16:17], v[32:33], s[2:3], v[16:17]
	s_movk_i32 s2, 0x1f8
	v_cmp_class_f64_e64 s[2:3], v[14:15], s2
	v_add_f64 v[20:21], v[28:29], v[20:21]
	v_add_f64 v[12:13], v[12:13], -v[16:17]
	v_and_b32_e32 v16, 1, v19
	v_cmp_eq_u32_e32 vcc, 0, v16
	v_lshlrev_b32_e32 v16, 30, v19
	v_xor_b32_e32 v16, v16, v15
	v_and_b32_e32 v16, 0x80000000, v16
	v_mov_b32_e32 v17, 0x7ff80000
	v_cndmask_b32_e32 v13, v21, v13, vcc
	v_cndmask_b32_e32 v12, v20, v12, vcc
	v_xor_b32_e32 v13, v13, v16
	v_cndmask_b32_e64 v12, 0, v12, s[2:3]
	v_cndmask_b32_e64 v13, v17, v13, s[2:3]
	v_div_scale_f64 v[16:17], s[2:3], v[14:15], v[14:15], v[12:13]
	v_div_scale_f64 v[23:24], vcc, v[12:13], v[14:15], v[12:13]
	v_rcp_f64_e32 v[19:20], v[16:17]
	v_fma_f64 v[21:22], -v[16:17], v[19:20], 1.0
	v_fma_f64 v[19:20], v[19:20], v[21:22], v[19:20]
	v_fma_f64 v[21:22], -v[16:17], v[19:20], 1.0
	v_fma_f64 v[19:20], v[19:20], v[21:22], v[19:20]
	v_mul_f64 v[21:22], v[23:24], v[19:20]
	v_fma_f64 v[16:17], -v[16:17], v[21:22], v[23:24]
	v_div_fmas_f64 v[16:17], v[16:17], v[19:20], v[21:22]
	v_div_fixup_f64 v[12:13], v[16:17], v[14:15], v[12:13]
                                        ; implicit-def: $vgpr14_vgpr15
.LBB3_71:
	s_andn2_saveexec_b64 s[2:3], s[12:13]
	s_cbranch_execz .LBB3_73
; %bb.72:
	v_mul_f64 v[12:13], v[14:15], v[14:15]
	s_mov_b32 s12, 0x13a86d09
	v_mov_b32_e32 v14, 0x67f544e4
	v_mov_b32_e32 v15, 0xbe5ae645
	s_mov_b32 s13, 0x3de61246
	v_fma_f64 v[14:15], v[12:13], s[12:13], v[14:15]
	s_mov_b32 s12, 0xa556c734
	s_mov_b32 s13, 0x3ec71de3
	v_fma_f64 v[14:15], v[12:13], v[14:15], s[12:13]
	s_mov_b32 s12, 0x1a01a01a
	;; [unrolled: 3-line block ×4, first 2 shown]
	s_mov_b32 s13, 0xbfc55555
	v_fma_f64 v[14:15], v[12:13], v[14:15], s[12:13]
	v_fma_f64 v[12:13], v[12:13], v[14:15], 1.0
.LBB3_73:
	s_or_b64 exec, exec, s[2:3]
.LBB3_74:
	s_or_b64 exec, exec, s[10:11]
.LBB3_75:
	s_or_b64 exec, exec, s[6:7]
	s_waitcnt vmcnt(0)
	v_or_b32_e32 v14, 0x200, v0
	v_cmp_gt_i32_e32 vcc, s18, v14
	s_and_saveexec_b64 s[6:7], vcc
	s_cbranch_execz .LBB3_87
; %bb.76:
	s_mov_b32 s2, 0
	s_mov_b32 s3, 0x7ff00000
	v_cmp_neq_f64_e64 s[2:3], |v[6:7]|, s[2:3]
	v_mov_b32_e32 v10, 0
	v_mov_b32_e32 v11, 0
	s_and_saveexec_b64 s[10:11], s[2:3]
	s_cbranch_execz .LBB3_86
; %bb.77:
	v_cmp_nlt_f64_e64 s[2:3], |v[6:7]|, 0.5
	s_and_saveexec_b64 s[12:13], s[2:3]
	s_xor_b64 s[12:13], exec, s[12:13]
                                        ; implicit-def: $vgpr10_vgpr11
	s_cbranch_execz .LBB3_83
; %bb.78:
	s_mov_b32 s2, 0
	s_mov_b32 s3, 0x41d00000
	v_cmp_nlt_f64_e64 s[2:3], |v[6:7]|, s[2:3]
                                        ; implicit-def: $vgpr16
                                        ; implicit-def: $vgpr10_vgpr11
                                        ; implicit-def: $vgpr14_vgpr15
	s_and_saveexec_b64 s[14:15], s[2:3]
	s_xor_b64 s[14:15], exec, s[14:15]
	s_cbranch_execz .LBB3_80
; %bb.79:
	v_trig_preop_f64 v[10:11], |v[6:7]|, 0
	s_mov_b32 s2, 0
	s_mov_b32 s3, 0x7b000000
	s_movk_i32 s5, 0xff80
	v_ldexp_f64 v[16:17], |v[6:7]|, s5
	v_cmp_ge_f64_e64 vcc, |v[6:7]|, s[2:3]
	v_trig_preop_f64 v[14:15], |v[6:7]|, 1
	v_and_b32_e32 v19, 0x7fffffff, v7
	v_trig_preop_f64 v[25:26], |v[6:7]|, 2
	s_mov_b32 s2, 0
	s_mov_b32 s3, 0x7ff00000
	v_mov_b32_e32 v36, 0x40100000
	v_mov_b32_e32 v35, 0
	v_cndmask_b32_e32 v17, v19, v17, vcc
	v_cndmask_b32_e32 v16, v6, v16, vcc
	s_mov_b32 s16, 0x33145c07
	v_mul_f64 v[19:20], v[10:11], v[16:17]
	s_mov_b32 s17, 0x3c91a626
	v_mul_f64 v[21:22], v[14:15], v[16:17]
	v_mul_f64 v[31:32], v[25:26], v[16:17]
	v_fma_f64 v[10:11], v[10:11], v[16:17], -v[19:20]
	v_fma_f64 v[14:15], v[14:15], v[16:17], -v[21:22]
	;; [unrolled: 1-line block ×3, first 2 shown]
	v_add_f64 v[23:24], v[21:22], v[10:11]
	v_add_f64 v[27:28], v[23:24], -v[21:22]
	v_add_f64 v[33:34], v[19:20], v[23:24]
	v_add_f64 v[29:30], v[23:24], -v[27:28]
	v_add_f64 v[10:11], v[10:11], -v[27:28]
	v_add_f64 v[27:28], v[31:32], v[14:15]
	v_add_f64 v[19:20], v[33:34], -v[19:20]
	v_add_f64 v[21:22], v[21:22], -v[29:30]
	v_ldexp_f64 v[29:30], v[33:34], -2
	v_add_f64 v[37:38], v[27:28], -v[31:32]
	v_add_f64 v[19:20], v[23:24], -v[19:20]
	v_add_f64 v[10:11], v[10:11], v[21:22]
	v_fract_f64_e32 v[21:22], v[29:30]
	v_cmp_neq_f64_e64 vcc, |v[29:30]|, s[2:3]
	v_add_f64 v[14:15], v[14:15], -v[37:38]
	v_add_f64 v[23:24], v[27:28], v[10:11]
	v_ldexp_f64 v[21:22], v[21:22], 2
	v_add_f64 v[29:30], v[19:20], v[23:24]
	v_cndmask_b32_e32 v22, 0, v22, vcc
	v_cndmask_b32_e32 v21, 0, v21, vcc
	v_add_f64 v[39:40], v[23:24], -v[27:28]
	v_add_f64 v[33:34], v[29:30], v[21:22]
	v_add_f64 v[19:20], v[29:30], -v[19:20]
	v_add_f64 v[41:42], v[23:24], -v[39:40]
	;; [unrolled: 1-line block ×3, first 2 shown]
	v_cmp_gt_f64_e32 vcc, 0, v[33:34]
	v_add_f64 v[33:34], v[27:28], -v[37:38]
	v_add_f64 v[19:20], v[23:24], -v[19:20]
	;; [unrolled: 1-line block ×3, first 2 shown]
	v_cndmask_b32_e32 v36, 0, v36, vcc
	v_add_f64 v[21:22], v[21:22], v[35:36]
	v_add_f64 v[33:34], v[31:32], -v[33:34]
	v_add_f64 v[10:11], v[10:11], v[27:28]
	v_add_f64 v[43:44], v[29:30], v[21:22]
	;; [unrolled: 1-line block ×3, first 2 shown]
	v_cvt_i32_f64_e32 v38, v[43:44]
	v_add_f64 v[10:11], v[14:15], v[10:11]
	v_cvt_f64_i32_e32 v[36:37], v38
	v_add_f64 v[21:22], v[21:22], -v[36:37]
	v_add_f64 v[10:11], v[16:17], v[10:11]
	v_add_f64 v[14:15], v[29:30], v[21:22]
	;; [unrolled: 1-line block ×3, first 2 shown]
	v_add_f64 v[16:17], v[14:15], -v[21:22]
	v_cmp_le_f64_e32 vcc, 0.5, v[14:15]
	v_add_f64 v[19:20], v[29:30], -v[16:17]
	v_mov_b32_e32 v17, 0x3ff00000
	v_cndmask_b32_e32 v36, 0, v17, vcc
	v_add_f64 v[14:15], v[14:15], -v[35:36]
	v_addc_co_u32_e64 v16, s[2:3], 0, v38, vcc
	s_mov_b32 s2, 0x54442d18
	s_mov_b32 s3, 0x3ff921fb
	v_add_f64 v[10:11], v[10:11], v[19:20]
	v_add_f64 v[19:20], v[14:15], v[10:11]
	v_mul_f64 v[21:22], v[19:20], s[2:3]
	v_add_f64 v[14:15], v[19:20], -v[14:15]
	v_fma_f64 v[23:24], v[19:20], s[2:3], -v[21:22]
	v_add_f64 v[10:11], v[10:11], -v[14:15]
	v_fma_f64 v[14:15], v[19:20], s[16:17], v[23:24]
	v_fma_f64 v[14:15], v[10:11], s[2:3], v[14:15]
	v_add_f64 v[10:11], v[21:22], v[14:15]
	v_add_f64 v[19:20], v[10:11], -v[21:22]
	v_add_f64 v[14:15], v[14:15], -v[19:20]
.LBB3_80:
	s_andn2_saveexec_b64 s[2:3], s[14:15]
	s_cbranch_execz .LBB3_82
; %bb.81:
	s_mov_b32 s14, 0x6dc9c883
	s_mov_b32 s15, 0x3fe45f30
	v_mul_f64 v[10:11], |v[6:7]|, s[14:15]
	s_mov_b32 s14, 0x54442d18
	s_mov_b32 s15, 0xbff921fb
	;; [unrolled: 1-line block ×4, first 2 shown]
	v_rndne_f64_e32 v[16:17], v[10:11]
	v_fma_f64 v[10:11], v[16:17], s[14:15], |v[6:7]|
	v_mul_f64 v[14:15], v[16:17], s[16:17]
	s_mov_b32 s14, 0x252049c0
	s_mov_b32 s15, 0xb97b839a
	v_fma_f64 v[23:24], v[16:17], s[16:17], v[10:11]
	v_add_f64 v[19:20], v[10:11], v[14:15]
	s_mov_b32 s17, 0x3c91a626
	v_add_f64 v[21:22], v[10:11], -v[19:20]
	v_add_f64 v[19:20], v[19:20], -v[23:24]
	v_add_f64 v[10:11], v[21:22], v[14:15]
	v_fma_f64 v[14:15], v[16:17], s[16:17], v[14:15]
	v_add_f64 v[10:11], v[19:20], v[10:11]
	v_add_f64 v[10:11], v[10:11], -v[14:15]
	v_fma_f64 v[14:15], v[16:17], s[14:15], v[10:11]
	v_cvt_i32_f64_e32 v16, v[16:17]
	v_add_f64 v[10:11], v[23:24], v[14:15]
	v_add_f64 v[19:20], v[10:11], -v[23:24]
	v_add_f64 v[14:15], v[14:15], -v[19:20]
.LBB3_82:
	s_or_b64 exec, exec, s[2:3]
	v_mul_f64 v[19:20], v[10:11], v[10:11]
	s_mov_b32 s2, 0xf9a43bb8
	v_mov_b32_e32 v22, 0xb42fdfa7
	v_mov_b32_e32 v23, 0xbe5ae600
	s_mov_b32 s3, 0x3de5e0b2
	s_mov_b32 s14, 0x796cde01
	v_mov_b32_e32 v21, 0x9037ab78
	s_mov_b32 s15, 0x3ec71de3
	v_fma_f64 v[23:24], v[19:20], s[2:3], v[22:23]
	s_mov_b32 s2, 0x46cc5e42
	v_mov_b32_e32 v22, 0x3e21eeb6
	s_mov_b32 s3, 0xbda907db
	v_fma_f64 v[21:22], v[19:20], s[2:3], v[21:22]
	v_mul_f64 v[25:26], v[19:20], 0.5
	s_mov_b32 s2, 0xa17f65f6
	s_mov_b32 s16, 0x19e83e5c
	v_fma_f64 v[23:24], v[19:20], v[23:24], s[14:15]
	s_mov_b32 s3, 0xbe927e4f
	s_mov_b32 s17, 0xbf2a01a0
	;; [unrolled: 1-line block ×3, first 2 shown]
	v_fma_f64 v[21:22], v[19:20], v[21:22], s[2:3]
	v_add_f64 v[27:28], -v[25:26], 1.0
	s_mov_b32 s2, 0x11110bb3
	s_mov_b32 s15, 0x3efa01a0
	v_fma_f64 v[23:24], v[19:20], v[23:24], s[16:17]
	s_mov_b32 s3, 0x3f811111
	v_mul_f64 v[29:30], v[14:15], 0.5
	v_mul_f64 v[31:32], v[10:11], -v[19:20]
	v_fma_f64 v[21:22], v[19:20], v[21:22], s[14:15]
	v_add_f64 v[33:34], -v[27:28], 1.0
	v_fma_f64 v[23:24], v[19:20], v[23:24], s[2:3]
	s_mov_b32 s2, 0x16c16967
	s_mov_b32 s3, 0xbf56c16c
	v_fma_f64 v[21:22], v[19:20], v[21:22], s[2:3]
	v_add_f64 v[25:26], v[33:34], -v[25:26]
	s_mov_b32 s3, 0x3fa55555
	s_mov_b32 s2, 0x55555555
	v_fma_f64 v[23:24], v[31:32], v[23:24], v[29:30]
	v_mul_f64 v[29:30], v[19:20], v[19:20]
	v_fma_f64 v[21:22], v[19:20], v[21:22], s[2:3]
	v_fma_f64 v[25:26], v[10:11], -v[14:15], v[25:26]
	s_mov_b32 s3, 0xbfc55555
	v_fma_f64 v[14:15], v[19:20], v[23:24], -v[14:15]
	v_fma_f64 v[19:20], v[29:30], v[21:22], v[25:26]
	v_fma_f64 v[14:15], v[31:32], s[2:3], v[14:15]
	s_movk_i32 s2, 0x1f8
	v_cmp_class_f64_e64 s[2:3], v[6:7], s2
	v_add_f64 v[19:20], v[27:28], v[19:20]
	v_add_f64 v[10:11], v[10:11], -v[14:15]
	v_and_b32_e32 v14, 1, v16
	v_cmp_eq_u32_e32 vcc, 0, v14
	v_lshlrev_b32_e32 v14, 30, v16
	v_xor_b32_e32 v14, v14, v7
	v_and_b32_e32 v14, 0x80000000, v14
	v_mov_b32_e32 v15, 0x7ff80000
	v_cndmask_b32_e32 v11, v20, v11, vcc
	v_cndmask_b32_e32 v10, v19, v10, vcc
	v_xor_b32_e32 v11, v11, v14
	v_cndmask_b32_e64 v10, 0, v10, s[2:3]
	v_cndmask_b32_e64 v11, v15, v11, s[2:3]
	v_div_scale_f64 v[14:15], s[2:3], v[6:7], v[6:7], v[10:11]
	v_div_scale_f64 v[21:22], vcc, v[10:11], v[6:7], v[10:11]
	v_rcp_f64_e32 v[16:17], v[14:15]
	v_fma_f64 v[19:20], -v[14:15], v[16:17], 1.0
	v_fma_f64 v[16:17], v[16:17], v[19:20], v[16:17]
	v_fma_f64 v[19:20], -v[14:15], v[16:17], 1.0
	v_fma_f64 v[16:17], v[16:17], v[19:20], v[16:17]
	v_mul_f64 v[19:20], v[21:22], v[16:17]
	v_fma_f64 v[14:15], -v[14:15], v[19:20], v[21:22]
	v_div_fmas_f64 v[14:15], v[14:15], v[16:17], v[19:20]
	v_div_fixup_f64 v[10:11], v[14:15], v[6:7], v[10:11]
                                        ; implicit-def: $vgpr6_vgpr7
.LBB3_83:
	s_andn2_saveexec_b64 s[2:3], s[12:13]
	s_cbranch_execz .LBB3_85
; %bb.84:
	v_mul_f64 v[6:7], v[6:7], v[6:7]
	s_mov_b32 s12, 0x13a86d09
	v_mov_b32_e32 v10, 0x67f544e4
	v_mov_b32_e32 v11, 0xbe5ae645
	s_mov_b32 s13, 0x3de61246
	v_fma_f64 v[10:11], v[6:7], s[12:13], v[10:11]
	s_mov_b32 s12, 0xa556c734
	s_mov_b32 s13, 0x3ec71de3
	v_fma_f64 v[10:11], v[6:7], v[10:11], s[12:13]
	s_mov_b32 s12, 0x1a01a01a
	;; [unrolled: 3-line block ×4, first 2 shown]
	s_mov_b32 s13, 0xbfc55555
	v_fma_f64 v[10:11], v[6:7], v[10:11], s[12:13]
	v_fma_f64 v[10:11], v[6:7], v[10:11], 1.0
.LBB3_85:
	s_or_b64 exec, exec, s[2:3]
.LBB3_86:
	s_or_b64 exec, exec, s[10:11]
.LBB3_87:
	s_or_b64 exec, exec, s[6:7]
	v_or_b32_e32 v6, 0x300, v0
	v_cmp_gt_i32_e32 vcc, s18, v6
	s_and_saveexec_b64 s[6:7], vcc
	s_cbranch_execnz .LBB3_94
; %bb.88:
	s_or_b64 exec, exec, s[6:7]
	s_and_saveexec_b64 s[2:3], s[0:1]
	s_xor_b64 s[0:1], exec, s[2:3]
	s_cbranch_execnz .LBB3_105
.LBB3_89:
	s_or_b64 exec, exec, s[0:1]
	v_cmp_gt_i32_e32 vcc, s18, v0
	s_and_saveexec_b64 s[0:1], vcc
	s_cbranch_execnz .LBB3_106
.LBB3_90:
	s_or_b64 exec, exec, s[0:1]
	v_cmp_gt_i32_e32 vcc, s18, v0
	s_and_saveexec_b64 s[0:1], vcc
	s_cbranch_execnz .LBB3_107
.LBB3_91:
	s_or_b64 exec, exec, s[0:1]
	v_cmp_gt_i32_e32 vcc, s18, v0
	s_and_saveexec_b64 s[0:1], vcc
	s_cbranch_execz .LBB3_93
.LBB3_92:
	v_add_u32_e32 v0, s4, v0
	v_mov_b32_e32 v1, 0
	v_lshlrev_b64 v[0:1], 3, v[0:1]
	v_mov_b32_e32 v2, s9
	v_add_co_u32_e32 v0, vcc, s8, v0
	v_addc_co_u32_e32 v1, vcc, v2, v1, vcc
	global_store_dwordx2 v[0:1], v[8:9], off
.LBB3_93:
	s_endpgm
.LBB3_94:
	s_mov_b32 s2, 0
	s_mov_b32 s3, 0x7ff00000
	v_cmp_neq_f64_e64 s[2:3], |v[2:3]|, s[2:3]
	v_mov_b32_e32 v8, 0
	v_mov_b32_e32 v9, 0
	s_and_saveexec_b64 s[10:11], s[2:3]
	s_cbranch_execz .LBB3_104
; %bb.95:
	v_cmp_nlt_f64_e64 s[2:3], |v[2:3]|, 0.5
	s_and_saveexec_b64 s[12:13], s[2:3]
	s_xor_b64 s[12:13], exec, s[12:13]
                                        ; implicit-def: $vgpr8_vgpr9
	s_cbranch_execz .LBB3_101
; %bb.96:
	s_mov_b32 s2, 0
	s_mov_b32 s3, 0x41d00000
	v_cmp_nlt_f64_e64 s[2:3], |v[2:3]|, s[2:3]
                                        ; implicit-def: $vgpr14
                                        ; implicit-def: $vgpr6_vgpr7
                                        ; implicit-def: $vgpr8_vgpr9
	s_and_saveexec_b64 s[14:15], s[2:3]
	s_xor_b64 s[14:15], exec, s[14:15]
	s_cbranch_execz .LBB3_98
; %bb.97:
	v_trig_preop_f64 v[6:7], |v[2:3]|, 0
	s_mov_b32 s2, 0
	s_mov_b32 s3, 0x7b000000
	s_movk_i32 s5, 0xff80
	v_ldexp_f64 v[14:15], |v[2:3]|, s5
	v_cmp_ge_f64_e64 vcc, |v[2:3]|, s[2:3]
	v_trig_preop_f64 v[8:9], |v[2:3]|, 1
	v_and_b32_e32 v16, 0x7fffffff, v3
	v_trig_preop_f64 v[23:24], |v[2:3]|, 2
	s_mov_b32 s2, 0
	s_mov_b32 s3, 0x7ff00000
	v_mov_b32_e32 v34, 0x40100000
	v_mov_b32_e32 v33, 0
	v_cndmask_b32_e32 v15, v16, v15, vcc
	v_cndmask_b32_e32 v14, v2, v14, vcc
	s_mov_b32 s16, 0x33145c07
	v_mul_f64 v[16:17], v[6:7], v[14:15]
	s_mov_b32 s17, 0x3c91a626
	v_mul_f64 v[19:20], v[8:9], v[14:15]
	v_mul_f64 v[29:30], v[23:24], v[14:15]
	v_fma_f64 v[6:7], v[6:7], v[14:15], -v[16:17]
	v_fma_f64 v[8:9], v[8:9], v[14:15], -v[19:20]
	;; [unrolled: 1-line block ×3, first 2 shown]
	v_add_f64 v[21:22], v[19:20], v[6:7]
	v_add_f64 v[25:26], v[21:22], -v[19:20]
	v_add_f64 v[31:32], v[16:17], v[21:22]
	v_add_f64 v[27:28], v[21:22], -v[25:26]
	v_add_f64 v[6:7], v[6:7], -v[25:26]
	v_add_f64 v[25:26], v[29:30], v[8:9]
	v_add_f64 v[16:17], v[31:32], -v[16:17]
	v_add_f64 v[19:20], v[19:20], -v[27:28]
	v_ldexp_f64 v[27:28], v[31:32], -2
	v_add_f64 v[35:36], v[25:26], -v[29:30]
	v_add_f64 v[16:17], v[21:22], -v[16:17]
	v_add_f64 v[6:7], v[6:7], v[19:20]
	v_fract_f64_e32 v[19:20], v[27:28]
	v_cmp_neq_f64_e64 vcc, |v[27:28]|, s[2:3]
	v_add_f64 v[8:9], v[8:9], -v[35:36]
	v_add_f64 v[21:22], v[25:26], v[6:7]
	v_ldexp_f64 v[19:20], v[19:20], 2
	v_add_f64 v[27:28], v[16:17], v[21:22]
	v_cndmask_b32_e32 v20, 0, v20, vcc
	v_cndmask_b32_e32 v19, 0, v19, vcc
	v_add_f64 v[37:38], v[21:22], -v[25:26]
	v_add_f64 v[31:32], v[27:28], v[19:20]
	v_add_f64 v[16:17], v[27:28], -v[16:17]
	v_add_f64 v[39:40], v[21:22], -v[37:38]
	v_add_f64 v[6:7], v[6:7], -v[37:38]
	v_cmp_gt_f64_e32 vcc, 0, v[31:32]
	v_add_f64 v[31:32], v[25:26], -v[35:36]
	v_add_f64 v[16:17], v[21:22], -v[16:17]
	v_add_f64 v[25:26], v[25:26], -v[39:40]
	v_cndmask_b32_e32 v34, 0, v34, vcc
	v_add_f64 v[19:20], v[19:20], v[33:34]
	v_add_f64 v[31:32], v[29:30], -v[31:32]
	v_add_f64 v[6:7], v[6:7], v[25:26]
	v_add_f64 v[41:42], v[27:28], v[19:20]
	;; [unrolled: 1-line block ×3, first 2 shown]
	v_cvt_i32_f64_e32 v36, v[41:42]
	v_add_f64 v[6:7], v[8:9], v[6:7]
	v_cvt_f64_i32_e32 v[34:35], v36
	v_add_f64 v[19:20], v[19:20], -v[34:35]
	v_add_f64 v[6:7], v[14:15], v[6:7]
	v_add_f64 v[8:9], v[27:28], v[19:20]
	;; [unrolled: 1-line block ×3, first 2 shown]
	v_mov_b32_e32 v17, 0x3ff00000
	v_add_f64 v[14:15], v[8:9], -v[19:20]
	v_cmp_le_f64_e32 vcc, 0.5, v[8:9]
	v_add_f64 v[15:16], v[27:28], -v[14:15]
	v_cndmask_b32_e32 v34, 0, v17, vcc
	v_add_f64 v[8:9], v[8:9], -v[33:34]
	v_addc_co_u32_e64 v14, s[2:3], 0, v36, vcc
	s_mov_b32 s2, 0x54442d18
	s_mov_b32 s3, 0x3ff921fb
	v_add_f64 v[6:7], v[6:7], v[15:16]
	v_add_f64 v[15:16], v[8:9], v[6:7]
	v_mul_f64 v[19:20], v[15:16], s[2:3]
	v_add_f64 v[8:9], v[15:16], -v[8:9]
	v_fma_f64 v[21:22], v[15:16], s[2:3], -v[19:20]
	v_add_f64 v[6:7], v[6:7], -v[8:9]
	v_fma_f64 v[8:9], v[15:16], s[16:17], v[21:22]
	v_fma_f64 v[8:9], v[6:7], s[2:3], v[8:9]
	v_add_f64 v[6:7], v[19:20], v[8:9]
	v_add_f64 v[15:16], v[6:7], -v[19:20]
	v_add_f64 v[8:9], v[8:9], -v[15:16]
.LBB3_98:
	s_andn2_saveexec_b64 s[2:3], s[14:15]
	s_cbranch_execz .LBB3_100
; %bb.99:
	s_mov_b32 s14, 0x6dc9c883
	s_mov_b32 s15, 0x3fe45f30
	v_mul_f64 v[6:7], |v[2:3]|, s[14:15]
	s_mov_b32 s14, 0x54442d18
	s_mov_b32 s15, 0xbff921fb
	s_mov_b32 s17, 0xbc91a626
	s_mov_b32 s16, 0x33145c00
	v_rndne_f64_e32 v[14:15], v[6:7]
	v_fma_f64 v[6:7], v[14:15], s[14:15], |v[2:3]|
	v_mul_f64 v[8:9], v[14:15], s[16:17]
	s_mov_b32 s14, 0x252049c0
	s_mov_b32 s15, 0xb97b839a
	v_fma_f64 v[21:22], v[14:15], s[16:17], v[6:7]
	v_add_f64 v[16:17], v[6:7], v[8:9]
	s_mov_b32 s17, 0x3c91a626
	v_add_f64 v[19:20], v[6:7], -v[16:17]
	v_add_f64 v[16:17], v[16:17], -v[21:22]
	v_add_f64 v[6:7], v[19:20], v[8:9]
	v_fma_f64 v[8:9], v[14:15], s[16:17], v[8:9]
	v_add_f64 v[6:7], v[16:17], v[6:7]
	v_add_f64 v[6:7], v[6:7], -v[8:9]
	v_fma_f64 v[8:9], v[14:15], s[14:15], v[6:7]
	v_cvt_i32_f64_e32 v14, v[14:15]
	v_add_f64 v[6:7], v[21:22], v[8:9]
	v_add_f64 v[16:17], v[6:7], -v[21:22]
	v_add_f64 v[8:9], v[8:9], -v[16:17]
.LBB3_100:
	s_or_b64 exec, exec, s[2:3]
	v_mul_f64 v[15:16], v[6:7], v[6:7]
	s_mov_b32 s2, 0xf9a43bb8
	v_mov_b32_e32 v20, 0xb42fdfa7
	v_mov_b32_e32 v21, 0xbe5ae600
	s_mov_b32 s3, 0x3de5e0b2
	s_mov_b32 s14, 0x796cde01
	v_mov_b32_e32 v19, 0x9037ab78
	s_mov_b32 s15, 0x3ec71de3
	v_fma_f64 v[21:22], v[15:16], s[2:3], v[20:21]
	s_mov_b32 s2, 0x46cc5e42
	v_mov_b32_e32 v20, 0x3e21eeb6
	s_mov_b32 s3, 0xbda907db
	v_fma_f64 v[19:20], v[15:16], s[2:3], v[19:20]
	v_mul_f64 v[23:24], v[15:16], 0.5
	s_mov_b32 s2, 0xa17f65f6
	s_mov_b32 s16, 0x19e83e5c
	v_fma_f64 v[21:22], v[15:16], v[21:22], s[14:15]
	s_mov_b32 s3, 0xbe927e4f
	s_mov_b32 s17, 0xbf2a01a0
	;; [unrolled: 1-line block ×3, first 2 shown]
	v_fma_f64 v[19:20], v[15:16], v[19:20], s[2:3]
	v_add_f64 v[25:26], -v[23:24], 1.0
	s_mov_b32 s2, 0x11110bb3
	s_mov_b32 s15, 0x3efa01a0
	v_fma_f64 v[21:22], v[15:16], v[21:22], s[16:17]
	s_mov_b32 s3, 0x3f811111
	v_mul_f64 v[27:28], v[8:9], 0.5
	v_mul_f64 v[29:30], v[6:7], -v[15:16]
	v_fma_f64 v[19:20], v[15:16], v[19:20], s[14:15]
	v_add_f64 v[31:32], -v[25:26], 1.0
	v_fma_f64 v[21:22], v[15:16], v[21:22], s[2:3]
	s_mov_b32 s2, 0x16c16967
	s_mov_b32 s3, 0xbf56c16c
	v_fma_f64 v[19:20], v[15:16], v[19:20], s[2:3]
	v_add_f64 v[23:24], v[31:32], -v[23:24]
	s_mov_b32 s3, 0x3fa55555
	s_mov_b32 s2, 0x55555555
	v_fma_f64 v[21:22], v[29:30], v[21:22], v[27:28]
	v_mul_f64 v[27:28], v[15:16], v[15:16]
	v_fma_f64 v[19:20], v[15:16], v[19:20], s[2:3]
	v_fma_f64 v[23:24], v[6:7], -v[8:9], v[23:24]
	s_mov_b32 s3, 0xbfc55555
	v_fma_f64 v[8:9], v[15:16], v[21:22], -v[8:9]
	v_fma_f64 v[15:16], v[27:28], v[19:20], v[23:24]
	v_fma_f64 v[8:9], v[29:30], s[2:3], v[8:9]
	s_movk_i32 s2, 0x1f8
	v_cmp_class_f64_e64 s[2:3], v[2:3], s2
	v_add_f64 v[15:16], v[25:26], v[15:16]
	v_add_f64 v[6:7], v[6:7], -v[8:9]
	v_and_b32_e32 v8, 1, v14
	v_cmp_eq_u32_e32 vcc, 0, v8
	v_lshlrev_b32_e32 v8, 30, v14
	v_xor_b32_e32 v8, v8, v3
	v_and_b32_e32 v8, 0x80000000, v8
	v_mov_b32_e32 v9, 0x7ff80000
	v_cndmask_b32_e32 v7, v16, v7, vcc
	v_cndmask_b32_e32 v6, v15, v6, vcc
	v_xor_b32_e32 v7, v7, v8
	v_cndmask_b32_e64 v6, 0, v6, s[2:3]
	v_cndmask_b32_e64 v7, v9, v7, s[2:3]
	v_div_scale_f64 v[8:9], s[2:3], v[2:3], v[2:3], v[6:7]
	v_div_scale_f64 v[19:20], vcc, v[6:7], v[2:3], v[6:7]
	v_rcp_f64_e32 v[14:15], v[8:9]
	v_fma_f64 v[16:17], -v[8:9], v[14:15], 1.0
	v_fma_f64 v[14:15], v[14:15], v[16:17], v[14:15]
	v_fma_f64 v[16:17], -v[8:9], v[14:15], 1.0
	v_fma_f64 v[14:15], v[14:15], v[16:17], v[14:15]
	v_mul_f64 v[16:17], v[19:20], v[14:15]
	v_fma_f64 v[8:9], -v[8:9], v[16:17], v[19:20]
	v_div_fmas_f64 v[8:9], v[8:9], v[14:15], v[16:17]
	v_div_fixup_f64 v[8:9], v[8:9], v[2:3], v[6:7]
                                        ; implicit-def: $vgpr2_vgpr3
.LBB3_101:
	s_andn2_saveexec_b64 s[2:3], s[12:13]
	s_cbranch_execz .LBB3_103
; %bb.102:
	v_mul_f64 v[2:3], v[2:3], v[2:3]
	s_mov_b32 s12, 0x13a86d09
	v_mov_b32_e32 v6, 0x67f544e4
	v_mov_b32_e32 v7, 0xbe5ae645
	s_mov_b32 s13, 0x3de61246
	v_fma_f64 v[6:7], v[2:3], s[12:13], v[6:7]
	s_mov_b32 s12, 0xa556c734
	s_mov_b32 s13, 0x3ec71de3
	v_fma_f64 v[6:7], v[2:3], v[6:7], s[12:13]
	s_mov_b32 s12, 0x1a01a01a
	;; [unrolled: 3-line block ×4, first 2 shown]
	s_mov_b32 s13, 0xbfc55555
	v_fma_f64 v[6:7], v[2:3], v[6:7], s[12:13]
	v_fma_f64 v[8:9], v[2:3], v[6:7], 1.0
.LBB3_103:
	s_or_b64 exec, exec, s[2:3]
.LBB3_104:
	s_or_b64 exec, exec, s[10:11]
	s_or_b64 exec, exec, s[6:7]
	s_and_saveexec_b64 s[2:3], s[0:1]
	s_xor_b64 s[0:1], exec, s[2:3]
	s_cbranch_execz .LBB3_89
.LBB3_105:
	v_mov_b32_e32 v2, 0
	v_lshlrev_b64 v[0:1], 3, v[1:2]
	v_mov_b32_e32 v2, s9
	v_add_co_u32_e32 v0, vcc, s8, v0
	v_addc_co_u32_e32 v1, vcc, v2, v1, vcc
	global_store_dwordx2 v[0:1], v[4:5], off
	v_mov_b32_e32 v0, v18
	s_or_b64 exec, exec, s[0:1]
	v_cmp_gt_i32_e32 vcc, s18, v0
	s_and_saveexec_b64 s[0:1], vcc
	s_cbranch_execz .LBB3_90
.LBB3_106:
	v_add_u32_e32 v1, s4, v0
	v_mov_b32_e32 v2, 0
	v_lshlrev_b64 v[1:2], 3, v[1:2]
	v_mov_b32_e32 v3, s9
	v_add_co_u32_e32 v1, vcc, s8, v1
	v_addc_co_u32_e32 v2, vcc, v3, v2, vcc
	v_add_u32_e32 v0, 0x100, v0
	global_store_dwordx2 v[1:2], v[12:13], off
	s_or_b64 exec, exec, s[0:1]
	v_cmp_gt_i32_e32 vcc, s18, v0
	s_and_saveexec_b64 s[0:1], vcc
	s_cbranch_execz .LBB3_91
.LBB3_107:
	v_add_u32_e32 v1, s4, v0
	v_mov_b32_e32 v2, 0
	v_lshlrev_b64 v[1:2], 3, v[1:2]
	v_mov_b32_e32 v3, s9
	v_add_co_u32_e32 v1, vcc, s8, v1
	v_addc_co_u32_e32 v2, vcc, v3, v2, vcc
	v_add_u32_e32 v0, 0x100, v0
	global_store_dwordx2 v[1:2], v[10:11], off
	s_or_b64 exec, exec, s[0:1]
	v_cmp_gt_i32_e32 vcc, s18, v0
	s_and_saveexec_b64 s[0:1], vcc
	s_cbranch_execnz .LBB3_92
	s_branch .LBB3_93
	.section	.rodata,"a",@progbits
	.p2align	6, 0x0
	.amdhsa_kernel _ZN2at6native29vectorized_elementwise_kernelILi2EZZZNS0_12_GLOBAL__N_131spherical_bessel_j0_kernel_cudaERNS_18TensorIteratorBaseEENKUlvE_clEvENKUlvE_clEvEUldE_St5arrayIPcLm2EEEEviT0_T1_
		.amdhsa_group_segment_fixed_size 0
		.amdhsa_private_segment_fixed_size 0
		.amdhsa_kernarg_size 24
		.amdhsa_user_sgpr_count 6
		.amdhsa_user_sgpr_private_segment_buffer 1
		.amdhsa_user_sgpr_dispatch_ptr 0
		.amdhsa_user_sgpr_queue_ptr 0
		.amdhsa_user_sgpr_kernarg_segment_ptr 1
		.amdhsa_user_sgpr_dispatch_id 0
		.amdhsa_user_sgpr_flat_scratch_init 0
		.amdhsa_user_sgpr_private_segment_size 0
		.amdhsa_uses_dynamic_stack 0
		.amdhsa_system_sgpr_private_segment_wavefront_offset 0
		.amdhsa_system_sgpr_workgroup_id_x 1
		.amdhsa_system_sgpr_workgroup_id_y 0
		.amdhsa_system_sgpr_workgroup_id_z 0
		.amdhsa_system_sgpr_workgroup_info 0
		.amdhsa_system_vgpr_workitem_id 0
		.amdhsa_next_free_vgpr 47
		.amdhsa_next_free_sgpr 22
		.amdhsa_reserve_vcc 1
		.amdhsa_reserve_flat_scratch 0
		.amdhsa_float_round_mode_32 0
		.amdhsa_float_round_mode_16_64 0
		.amdhsa_float_denorm_mode_32 3
		.amdhsa_float_denorm_mode_16_64 3
		.amdhsa_dx10_clamp 1
		.amdhsa_ieee_mode 1
		.amdhsa_fp16_overflow 0
		.amdhsa_exception_fp_ieee_invalid_op 0
		.amdhsa_exception_fp_denorm_src 0
		.amdhsa_exception_fp_ieee_div_zero 0
		.amdhsa_exception_fp_ieee_overflow 0
		.amdhsa_exception_fp_ieee_underflow 0
		.amdhsa_exception_fp_ieee_inexact 0
		.amdhsa_exception_int_div_zero 0
	.end_amdhsa_kernel
	.section	.text._ZN2at6native29vectorized_elementwise_kernelILi2EZZZNS0_12_GLOBAL__N_131spherical_bessel_j0_kernel_cudaERNS_18TensorIteratorBaseEENKUlvE_clEvENKUlvE_clEvEUldE_St5arrayIPcLm2EEEEviT0_T1_,"axG",@progbits,_ZN2at6native29vectorized_elementwise_kernelILi2EZZZNS0_12_GLOBAL__N_131spherical_bessel_j0_kernel_cudaERNS_18TensorIteratorBaseEENKUlvE_clEvENKUlvE_clEvEUldE_St5arrayIPcLm2EEEEviT0_T1_,comdat
.Lfunc_end3:
	.size	_ZN2at6native29vectorized_elementwise_kernelILi2EZZZNS0_12_GLOBAL__N_131spherical_bessel_j0_kernel_cudaERNS_18TensorIteratorBaseEENKUlvE_clEvENKUlvE_clEvEUldE_St5arrayIPcLm2EEEEviT0_T1_, .Lfunc_end3-_ZN2at6native29vectorized_elementwise_kernelILi2EZZZNS0_12_GLOBAL__N_131spherical_bessel_j0_kernel_cudaERNS_18TensorIteratorBaseEENKUlvE_clEvENKUlvE_clEvEUldE_St5arrayIPcLm2EEEEviT0_T1_
                                        ; -- End function
	.set _ZN2at6native29vectorized_elementwise_kernelILi2EZZZNS0_12_GLOBAL__N_131spherical_bessel_j0_kernel_cudaERNS_18TensorIteratorBaseEENKUlvE_clEvENKUlvE_clEvEUldE_St5arrayIPcLm2EEEEviT0_T1_.num_vgpr, 47
	.set _ZN2at6native29vectorized_elementwise_kernelILi2EZZZNS0_12_GLOBAL__N_131spherical_bessel_j0_kernel_cudaERNS_18TensorIteratorBaseEENKUlvE_clEvENKUlvE_clEvEUldE_St5arrayIPcLm2EEEEviT0_T1_.num_agpr, 0
	.set _ZN2at6native29vectorized_elementwise_kernelILi2EZZZNS0_12_GLOBAL__N_131spherical_bessel_j0_kernel_cudaERNS_18TensorIteratorBaseEENKUlvE_clEvENKUlvE_clEvEUldE_St5arrayIPcLm2EEEEviT0_T1_.numbered_sgpr, 22
	.set _ZN2at6native29vectorized_elementwise_kernelILi2EZZZNS0_12_GLOBAL__N_131spherical_bessel_j0_kernel_cudaERNS_18TensorIteratorBaseEENKUlvE_clEvENKUlvE_clEvEUldE_St5arrayIPcLm2EEEEviT0_T1_.num_named_barrier, 0
	.set _ZN2at6native29vectorized_elementwise_kernelILi2EZZZNS0_12_GLOBAL__N_131spherical_bessel_j0_kernel_cudaERNS_18TensorIteratorBaseEENKUlvE_clEvENKUlvE_clEvEUldE_St5arrayIPcLm2EEEEviT0_T1_.private_seg_size, 0
	.set _ZN2at6native29vectorized_elementwise_kernelILi2EZZZNS0_12_GLOBAL__N_131spherical_bessel_j0_kernel_cudaERNS_18TensorIteratorBaseEENKUlvE_clEvENKUlvE_clEvEUldE_St5arrayIPcLm2EEEEviT0_T1_.uses_vcc, 1
	.set _ZN2at6native29vectorized_elementwise_kernelILi2EZZZNS0_12_GLOBAL__N_131spherical_bessel_j0_kernel_cudaERNS_18TensorIteratorBaseEENKUlvE_clEvENKUlvE_clEvEUldE_St5arrayIPcLm2EEEEviT0_T1_.uses_flat_scratch, 0
	.set _ZN2at6native29vectorized_elementwise_kernelILi2EZZZNS0_12_GLOBAL__N_131spherical_bessel_j0_kernel_cudaERNS_18TensorIteratorBaseEENKUlvE_clEvENKUlvE_clEvEUldE_St5arrayIPcLm2EEEEviT0_T1_.has_dyn_sized_stack, 0
	.set _ZN2at6native29vectorized_elementwise_kernelILi2EZZZNS0_12_GLOBAL__N_131spherical_bessel_j0_kernel_cudaERNS_18TensorIteratorBaseEENKUlvE_clEvENKUlvE_clEvEUldE_St5arrayIPcLm2EEEEviT0_T1_.has_recursion, 0
	.set _ZN2at6native29vectorized_elementwise_kernelILi2EZZZNS0_12_GLOBAL__N_131spherical_bessel_j0_kernel_cudaERNS_18TensorIteratorBaseEENKUlvE_clEvENKUlvE_clEvEUldE_St5arrayIPcLm2EEEEviT0_T1_.has_indirect_call, 0
	.section	.AMDGPU.csdata,"",@progbits
; Kernel info:
; codeLenInByte = 13816
; TotalNumSgprs: 26
; NumVgprs: 47
; ScratchSize: 0
; MemoryBound: 0
; FloatMode: 240
; IeeeMode: 1
; LDSByteSize: 0 bytes/workgroup (compile time only)
; SGPRBlocks: 3
; VGPRBlocks: 11
; NumSGPRsForWavesPerEU: 26
; NumVGPRsForWavesPerEU: 47
; Occupancy: 5
; WaveLimiterHint : 1
; COMPUTE_PGM_RSRC2:SCRATCH_EN: 0
; COMPUTE_PGM_RSRC2:USER_SGPR: 6
; COMPUTE_PGM_RSRC2:TRAP_HANDLER: 0
; COMPUTE_PGM_RSRC2:TGID_X_EN: 1
; COMPUTE_PGM_RSRC2:TGID_Y_EN: 0
; COMPUTE_PGM_RSRC2:TGID_Z_EN: 0
; COMPUTE_PGM_RSRC2:TIDIG_COMP_CNT: 0
	.section	.text._ZN2at6native27unrolled_elementwise_kernelIZZZNS0_12_GLOBAL__N_131spherical_bessel_j0_kernel_cudaERNS_18TensorIteratorBaseEENKUlvE_clEvENKUlvE_clEvEUldE_St5arrayIPcLm2EELi4E23TrivialOffsetCalculatorILi1EjESC_NS0_6memory15LoadWithoutCastENSD_16StoreWithoutCastEEEviT_T0_T2_T3_T4_T5_,"axG",@progbits,_ZN2at6native27unrolled_elementwise_kernelIZZZNS0_12_GLOBAL__N_131spherical_bessel_j0_kernel_cudaERNS_18TensorIteratorBaseEENKUlvE_clEvENKUlvE_clEvEUldE_St5arrayIPcLm2EELi4E23TrivialOffsetCalculatorILi1EjESC_NS0_6memory15LoadWithoutCastENSD_16StoreWithoutCastEEEviT_T0_T2_T3_T4_T5_,comdat
	.globl	_ZN2at6native27unrolled_elementwise_kernelIZZZNS0_12_GLOBAL__N_131spherical_bessel_j0_kernel_cudaERNS_18TensorIteratorBaseEENKUlvE_clEvENKUlvE_clEvEUldE_St5arrayIPcLm2EELi4E23TrivialOffsetCalculatorILi1EjESC_NS0_6memory15LoadWithoutCastENSD_16StoreWithoutCastEEEviT_T0_T2_T3_T4_T5_ ; -- Begin function _ZN2at6native27unrolled_elementwise_kernelIZZZNS0_12_GLOBAL__N_131spherical_bessel_j0_kernel_cudaERNS_18TensorIteratorBaseEENKUlvE_clEvENKUlvE_clEvEUldE_St5arrayIPcLm2EELi4E23TrivialOffsetCalculatorILi1EjESC_NS0_6memory15LoadWithoutCastENSD_16StoreWithoutCastEEEviT_T0_T2_T3_T4_T5_
	.p2align	8
	.type	_ZN2at6native27unrolled_elementwise_kernelIZZZNS0_12_GLOBAL__N_131spherical_bessel_j0_kernel_cudaERNS_18TensorIteratorBaseEENKUlvE_clEvENKUlvE_clEvEUldE_St5arrayIPcLm2EELi4E23TrivialOffsetCalculatorILi1EjESC_NS0_6memory15LoadWithoutCastENSD_16StoreWithoutCastEEEviT_T0_T2_T3_T4_T5_,@function
_ZN2at6native27unrolled_elementwise_kernelIZZZNS0_12_GLOBAL__N_131spherical_bessel_j0_kernel_cudaERNS_18TensorIteratorBaseEENKUlvE_clEvENKUlvE_clEvEUldE_St5arrayIPcLm2EELi4E23TrivialOffsetCalculatorILi1EjESC_NS0_6memory15LoadWithoutCastENSD_16StoreWithoutCastEEEviT_T0_T2_T3_T4_T5_: ; @_ZN2at6native27unrolled_elementwise_kernelIZZZNS0_12_GLOBAL__N_131spherical_bessel_j0_kernel_cudaERNS_18TensorIteratorBaseEENKUlvE_clEvENKUlvE_clEvEUldE_St5arrayIPcLm2EELi4E23TrivialOffsetCalculatorILi1EjESC_NS0_6memory15LoadWithoutCastENSD_16StoreWithoutCastEEEviT_T0_T2_T3_T4_T5_
; %bb.0:
	s_load_dword s0, s[4:5], 0x0
	s_load_dwordx4 s[8:11], s[4:5], 0x8
	s_lshl_b32 s14, s6, 10
	v_mov_b32_e32 v12, 0
	v_mov_b32_e32 v16, 0
	s_waitcnt lgkmcnt(0)
	s_sub_i32 s15, s0, s14
	v_cmp_gt_i32_e64 s[0:1], s15, v0
	v_mov_b32_e32 v13, 0
	v_or_b32_e32 v1, s14, v0
	v_mov_b32_e32 v17, 0
	v_mov_b32_e32 v4, v0
	s_and_saveexec_b64 s[2:3], s[0:1]
	s_cbranch_execz .LBB4_2
; %bb.1:
	v_mov_b32_e32 v2, 0
	v_lshlrev_b64 v[2:3], 3, v[1:2]
	v_mov_b32_e32 v4, s11
	v_add_co_u32_e32 v2, vcc, s10, v2
	v_addc_co_u32_e32 v3, vcc, v4, v3, vcc
	global_load_dwordx2 v[16:17], v[2:3], off
	v_or_b32_e32 v4, 0x100, v0
.LBB4_2:
	s_or_b64 exec, exec, s[2:3]
	v_cmp_gt_i32_e32 vcc, s15, v4
	s_and_saveexec_b64 s[2:3], vcc
	s_cbranch_execz .LBB4_4
; %bb.3:
	v_add_u32_e32 v2, s14, v4
	v_mov_b32_e32 v3, 0
	v_lshlrev_b64 v[2:3], 3, v[2:3]
	v_mov_b32_e32 v5, s11
	v_add_co_u32_e32 v2, vcc, s10, v2
	v_addc_co_u32_e32 v3, vcc, v5, v3, vcc
	global_load_dwordx2 v[12:13], v[2:3], off
	v_add_u32_e32 v4, 0x100, v4
.LBB4_4:
	s_or_b64 exec, exec, s[2:3]
	v_mov_b32_e32 v2, 0
	v_mov_b32_e32 v6, 0
	v_mov_b32_e32 v3, 0
	v_mov_b32_e32 v7, 0
	v_cmp_gt_i32_e32 vcc, s15, v4
	s_and_saveexec_b64 s[2:3], vcc
	s_cbranch_execz .LBB4_6
; %bb.5:
	v_add_u32_e32 v5, s14, v4
	v_mov_b32_e32 v6, 0
	v_lshlrev_b64 v[5:6], 3, v[5:6]
	v_mov_b32_e32 v7, s11
	v_add_co_u32_e32 v5, vcc, s10, v5
	v_addc_co_u32_e32 v6, vcc, v7, v6, vcc
	global_load_dwordx2 v[6:7], v[5:6], off
	v_add_u32_e32 v4, 0x100, v4
.LBB4_6:
	s_or_b64 exec, exec, s[2:3]
	v_cmp_gt_i32_e32 vcc, s15, v4
	s_and_saveexec_b64 s[2:3], vcc
	s_cbranch_execz .LBB4_8
; %bb.7:
	v_add_u32_e32 v2, s14, v4
	v_mov_b32_e32 v3, 0
	v_lshlrev_b64 v[2:3], 3, v[2:3]
	v_mov_b32_e32 v4, s11
	v_add_co_u32_e32 v2, vcc, s10, v2
	v_addc_co_u32_e32 v3, vcc, v4, v3, vcc
	global_load_dwordx2 v[2:3], v[2:3], off
.LBB4_8:
	s_or_b64 exec, exec, s[2:3]
	v_mov_b32_e32 v4, 0
	v_mov_b32_e32 v5, v4
	;; [unrolled: 1-line block ×8, first 2 shown]
	s_and_saveexec_b64 s[4:5], s[0:1]
	s_cbranch_execz .LBB4_20
; %bb.9:
	s_mov_b32 s2, 0
	s_mov_b32 s3, 0x7ff00000
	s_waitcnt vmcnt(0)
	v_cmp_neq_f64_e64 s[2:3], |v[16:17]|, s[2:3]
	v_mov_b32_e32 v4, 0
	v_mov_b32_e32 v5, 0
	s_and_saveexec_b64 s[6:7], s[2:3]
	s_cbranch_execz .LBB4_19
; %bb.10:
	v_cmp_nlt_f64_e64 s[2:3], |v[16:17]|, 0.5
                                        ; implicit-def: $vgpr4_vgpr5
	s_and_saveexec_b64 s[10:11], s[2:3]
	s_xor_b64 s[10:11], exec, s[10:11]
	s_cbranch_execz .LBB4_16
; %bb.11:
	s_mov_b32 s2, 0
	s_mov_b32 s3, 0x41d00000
	v_cmp_nlt_f64_e64 s[2:3], |v[16:17]|, s[2:3]
                                        ; implicit-def: $vgpr10
                                        ; implicit-def: $vgpr4_vgpr5
                                        ; implicit-def: $vgpr8_vgpr9
	s_and_saveexec_b64 s[12:13], s[2:3]
	s_xor_b64 s[12:13], exec, s[12:13]
	s_cbranch_execz .LBB4_13
; %bb.12:
	v_trig_preop_f64 v[4:5], |v[16:17]|, 0
	s_mov_b32 s2, 0
	s_mov_b32 s3, 0x7b000000
	s_movk_i32 s16, 0xff80
	v_ldexp_f64 v[10:11], |v[16:17]|, s16
	v_cmp_ge_f64_e64 vcc, |v[16:17]|, s[2:3]
	v_trig_preop_f64 v[8:9], |v[16:17]|, 1
	v_and_b32_e32 v14, 0x7fffffff, v17
	v_trig_preop_f64 v[22:23], |v[16:17]|, 2
	s_mov_b32 s2, 0
	s_mov_b32 s3, 0x7ff00000
	v_mov_b32_e32 v33, 0x40100000
	v_mov_b32_e32 v32, 0
	v_cndmask_b32_e32 v11, v14, v11, vcc
	v_cndmask_b32_e32 v10, v16, v10, vcc
	s_mov_b32 s16, 0x33145c07
	v_mul_f64 v[14:15], v[4:5], v[10:11]
	s_mov_b32 s17, 0x3c91a626
	v_mul_f64 v[18:19], v[8:9], v[10:11]
	v_mul_f64 v[28:29], v[22:23], v[10:11]
	v_fma_f64 v[4:5], v[4:5], v[10:11], -v[14:15]
	v_fma_f64 v[8:9], v[8:9], v[10:11], -v[18:19]
	;; [unrolled: 1-line block ×3, first 2 shown]
	v_add_f64 v[20:21], v[18:19], v[4:5]
	v_add_f64 v[24:25], v[20:21], -v[18:19]
	v_add_f64 v[30:31], v[14:15], v[20:21]
	v_add_f64 v[26:27], v[20:21], -v[24:25]
	v_add_f64 v[4:5], v[4:5], -v[24:25]
	v_add_f64 v[24:25], v[28:29], v[8:9]
	v_add_f64 v[14:15], v[30:31], -v[14:15]
	v_add_f64 v[18:19], v[18:19], -v[26:27]
	v_ldexp_f64 v[26:27], v[30:31], -2
	v_add_f64 v[34:35], v[24:25], -v[28:29]
	v_add_f64 v[14:15], v[20:21], -v[14:15]
	v_add_f64 v[4:5], v[4:5], v[18:19]
	v_fract_f64_e32 v[18:19], v[26:27]
	v_cmp_neq_f64_e64 vcc, |v[26:27]|, s[2:3]
	v_add_f64 v[8:9], v[8:9], -v[34:35]
	v_add_f64 v[20:21], v[24:25], v[4:5]
	v_ldexp_f64 v[18:19], v[18:19], 2
	v_add_f64 v[26:27], v[14:15], v[20:21]
	v_cndmask_b32_e32 v19, 0, v19, vcc
	v_cndmask_b32_e32 v18, 0, v18, vcc
	v_add_f64 v[36:37], v[20:21], -v[24:25]
	v_add_f64 v[30:31], v[26:27], v[18:19]
	v_add_f64 v[14:15], v[26:27], -v[14:15]
	v_add_f64 v[38:39], v[20:21], -v[36:37]
	;; [unrolled: 1-line block ×3, first 2 shown]
	v_cmp_gt_f64_e32 vcc, 0, v[30:31]
	v_add_f64 v[30:31], v[24:25], -v[34:35]
	v_add_f64 v[14:15], v[20:21], -v[14:15]
	;; [unrolled: 1-line block ×3, first 2 shown]
	v_cndmask_b32_e32 v33, 0, v33, vcc
	v_add_f64 v[18:19], v[18:19], v[32:33]
	v_add_f64 v[30:31], v[28:29], -v[30:31]
	v_add_f64 v[4:5], v[4:5], v[24:25]
	v_add_f64 v[40:41], v[26:27], v[18:19]
	;; [unrolled: 1-line block ×3, first 2 shown]
	v_cvt_i32_f64_e32 v35, v[40:41]
	v_add_f64 v[4:5], v[8:9], v[4:5]
	v_cvt_f64_i32_e32 v[33:34], v35
	v_add_f64 v[18:19], v[18:19], -v[33:34]
	v_add_f64 v[4:5], v[10:11], v[4:5]
	v_add_f64 v[8:9], v[26:27], v[18:19]
	;; [unrolled: 1-line block ×3, first 2 shown]
	v_add_f64 v[10:11], v[8:9], -v[18:19]
	v_cmp_le_f64_e32 vcc, 0.5, v[8:9]
	v_add_f64 v[14:15], v[26:27], -v[10:11]
	v_mov_b32_e32 v11, 0x3ff00000
	v_cndmask_b32_e32 v33, 0, v11, vcc
	v_add_f64 v[8:9], v[8:9], -v[32:33]
	v_addc_co_u32_e64 v10, s[2:3], 0, v35, vcc
	s_mov_b32 s2, 0x54442d18
	s_mov_b32 s3, 0x3ff921fb
	v_add_f64 v[4:5], v[4:5], v[14:15]
	v_add_f64 v[14:15], v[8:9], v[4:5]
	v_mul_f64 v[18:19], v[14:15], s[2:3]
	v_add_f64 v[8:9], v[14:15], -v[8:9]
	v_fma_f64 v[20:21], v[14:15], s[2:3], -v[18:19]
	v_add_f64 v[4:5], v[4:5], -v[8:9]
	v_fma_f64 v[8:9], v[14:15], s[16:17], v[20:21]
	v_fma_f64 v[8:9], v[4:5], s[2:3], v[8:9]
	v_add_f64 v[4:5], v[18:19], v[8:9]
	v_add_f64 v[14:15], v[4:5], -v[18:19]
	v_add_f64 v[8:9], v[8:9], -v[14:15]
.LBB4_13:
	s_andn2_saveexec_b64 s[2:3], s[12:13]
	s_cbranch_execz .LBB4_15
; %bb.14:
	s_mov_b32 s12, 0x6dc9c883
	s_mov_b32 s13, 0x3fe45f30
	v_mul_f64 v[4:5], |v[16:17]|, s[12:13]
	s_mov_b32 s12, 0x54442d18
	s_mov_b32 s13, 0xbff921fb
	s_mov_b32 s17, 0xbc91a626
	s_mov_b32 s16, 0x33145c00
	v_rndne_f64_e32 v[10:11], v[4:5]
	v_fma_f64 v[4:5], v[10:11], s[12:13], |v[16:17]|
	v_mul_f64 v[8:9], v[10:11], s[16:17]
	s_mov_b32 s12, 0x252049c0
	s_mov_b32 s13, 0xb97b839a
	v_fma_f64 v[20:21], v[10:11], s[16:17], v[4:5]
	v_add_f64 v[14:15], v[4:5], v[8:9]
	s_mov_b32 s17, 0x3c91a626
	v_add_f64 v[18:19], v[4:5], -v[14:15]
	v_add_f64 v[14:15], v[14:15], -v[20:21]
	v_add_f64 v[4:5], v[18:19], v[8:9]
	v_fma_f64 v[8:9], v[10:11], s[16:17], v[8:9]
	v_add_f64 v[4:5], v[14:15], v[4:5]
	v_add_f64 v[4:5], v[4:5], -v[8:9]
	v_fma_f64 v[8:9], v[10:11], s[12:13], v[4:5]
	v_cvt_i32_f64_e32 v10, v[10:11]
	v_add_f64 v[4:5], v[20:21], v[8:9]
	v_add_f64 v[14:15], v[4:5], -v[20:21]
	v_add_f64 v[8:9], v[8:9], -v[14:15]
.LBB4_15:
	s_or_b64 exec, exec, s[2:3]
	v_mul_f64 v[14:15], v[4:5], v[4:5]
	s_mov_b32 s2, 0x46cc5e42
	v_mov_b32_e32 v24, 0x9037ab78
	v_mov_b32_e32 v25, 0x3e21eeb6
	s_mov_b32 s3, 0xbda907db
	s_mov_b32 s12, 0xf9a43bb8
	;; [unrolled: 1-line block ×3, first 2 shown]
	v_mul_f64 v[18:19], v[14:15], 0.5
	v_fma_f64 v[24:25], v[14:15], s[2:3], v[24:25]
	s_mov_b32 s2, 0xa17f65f6
	s_mov_b32 s3, 0xbe927e4f
	v_add_f64 v[20:21], -v[18:19], 1.0
	v_fma_f64 v[24:25], v[14:15], v[24:25], s[2:3]
	s_mov_b32 s2, 0x19f4ec90
	s_mov_b32 s3, 0x3efa01a0
	v_add_f64 v[22:23], -v[20:21], 1.0
	v_fma_f64 v[24:25], v[14:15], v[24:25], s[2:3]
	s_mov_b32 s2, 0x16c16967
	s_mov_b32 s3, 0xbf56c16c
	v_add_f64 v[18:19], v[22:23], -v[18:19]
	v_fma_f64 v[24:25], v[14:15], v[24:25], s[2:3]
	s_mov_b32 s3, 0x3fa55555
	s_mov_b32 s2, 0x55555555
	v_mul_f64 v[22:23], v[14:15], v[14:15]
	v_fma_f64 v[18:19], v[4:5], -v[8:9], v[18:19]
	v_fma_f64 v[24:25], v[14:15], v[24:25], s[2:3]
	s_mov_b32 s3, 0xbfc55555
	v_fma_f64 v[18:19], v[22:23], v[24:25], v[18:19]
	v_mul_f64 v[22:23], v[4:5], -v[14:15]
	v_mul_f64 v[24:25], v[8:9], 0.5
	v_add_f64 v[18:19], v[20:21], v[18:19]
	v_mov_b32_e32 v20, 0xb42fdfa7
	v_mov_b32_e32 v21, 0xbe5ae600
	v_fma_f64 v[20:21], v[14:15], s[12:13], v[20:21]
	s_mov_b32 s12, 0x796cde01
	s_mov_b32 s13, 0x3ec71de3
	v_fma_f64 v[20:21], v[14:15], v[20:21], s[12:13]
	s_mov_b32 s12, 0x19e83e5c
	s_mov_b32 s13, 0xbf2a01a0
	;; [unrolled: 3-line block ×3, first 2 shown]
	v_fma_f64 v[20:21], v[14:15], v[20:21], s[12:13]
	v_fma_f64 v[20:21], v[22:23], v[20:21], v[24:25]
	v_fma_f64 v[8:9], v[14:15], v[20:21], -v[8:9]
	v_fma_f64 v[8:9], v[22:23], s[2:3], v[8:9]
	s_movk_i32 s2, 0x1f8
	v_add_f64 v[4:5], v[4:5], -v[8:9]
	v_and_b32_e32 v8, 1, v10
	v_cmp_eq_u32_e32 vcc, 0, v8
	v_lshlrev_b32_e32 v8, 30, v10
	v_xor_b32_e32 v8, v8, v17
	v_and_b32_e32 v8, 0x80000000, v8
	v_cndmask_b32_e32 v4, v18, v4, vcc
	v_cndmask_b32_e32 v5, v19, v5, vcc
	v_cmp_class_f64_e64 vcc, v[16:17], s2
	v_xor_b32_e32 v5, v5, v8
	v_mov_b32_e32 v8, 0x7ff80000
	v_cndmask_b32_e32 v4, 0, v4, vcc
	v_cndmask_b32_e32 v5, v8, v5, vcc
	v_div_scale_f64 v[8:9], s[2:3], v[16:17], v[16:17], v[4:5]
	v_rcp_f64_e32 v[10:11], v[8:9]
	v_fma_f64 v[14:15], -v[8:9], v[10:11], 1.0
	v_fma_f64 v[10:11], v[10:11], v[14:15], v[10:11]
	v_fma_f64 v[14:15], -v[8:9], v[10:11], 1.0
	v_fma_f64 v[10:11], v[10:11], v[14:15], v[10:11]
	v_div_scale_f64 v[14:15], vcc, v[4:5], v[16:17], v[4:5]
	v_mul_f64 v[18:19], v[14:15], v[10:11]
	v_fma_f64 v[8:9], -v[8:9], v[18:19], v[14:15]
	s_nop 1
	v_div_fmas_f64 v[8:9], v[8:9], v[10:11], v[18:19]
	v_div_fixup_f64 v[4:5], v[8:9], v[16:17], v[4:5]
                                        ; implicit-def: $vgpr16_vgpr17
.LBB4_16:
	s_andn2_saveexec_b64 s[2:3], s[10:11]
	s_cbranch_execz .LBB4_18
; %bb.17:
	v_mul_f64 v[4:5], v[16:17], v[16:17]
	s_mov_b32 s10, 0x13a86d09
	v_mov_b32_e32 v8, 0x67f544e4
	v_mov_b32_e32 v9, 0xbe5ae645
	s_mov_b32 s11, 0x3de61246
	v_fma_f64 v[8:9], v[4:5], s[10:11], v[8:9]
	s_mov_b32 s10, 0xa556c734
	s_mov_b32 s11, 0x3ec71de3
	v_fma_f64 v[8:9], v[4:5], v[8:9], s[10:11]
	s_mov_b32 s10, 0x1a01a01a
	;; [unrolled: 3-line block ×4, first 2 shown]
	s_mov_b32 s11, 0xbfc55555
	v_fma_f64 v[8:9], v[4:5], v[8:9], s[10:11]
	v_fma_f64 v[4:5], v[4:5], v[8:9], 1.0
.LBB4_18:
	s_or_b64 exec, exec, s[2:3]
.LBB4_19:
	s_or_b64 exec, exec, s[6:7]
	v_mov_b32_e32 v14, 0
	v_mov_b32_e32 v15, v14
	;; [unrolled: 1-line block ×6, first 2 shown]
.LBB4_20:
	s_or_b64 exec, exec, s[4:5]
	v_or_b32_e32 v18, 0x100, v0
	v_cmp_gt_i32_e32 vcc, s15, v18
	s_and_saveexec_b64 s[4:5], vcc
	s_cbranch_execz .LBB4_32
; %bb.21:
	s_mov_b32 s2, 0
	s_mov_b32 s3, 0x7ff00000
	s_waitcnt vmcnt(0)
	v_cmp_neq_f64_e64 s[2:3], |v[12:13]|, s[2:3]
	v_mov_b32_e32 v14, 0
	v_mov_b32_e32 v15, 0
	s_and_saveexec_b64 s[6:7], s[2:3]
	s_cbranch_execz .LBB4_31
; %bb.22:
	v_cmp_nlt_f64_e64 s[2:3], |v[12:13]|, 0.5
	s_and_saveexec_b64 s[10:11], s[2:3]
	s_xor_b64 s[10:11], exec, s[10:11]
                                        ; implicit-def: $vgpr14_vgpr15
	s_cbranch_execz .LBB4_28
; %bb.23:
	s_mov_b32 s2, 0
	s_mov_b32 s3, 0x41d00000
	v_cmp_nlt_f64_e64 s[2:3], |v[12:13]|, s[2:3]
                                        ; implicit-def: $vgpr19
                                        ; implicit-def: $vgpr14_vgpr15
                                        ; implicit-def: $vgpr16_vgpr17
	s_and_saveexec_b64 s[12:13], s[2:3]
	s_xor_b64 s[2:3], exec, s[12:13]
	s_cbranch_execz .LBB4_25
; %bb.24:
	v_trig_preop_f64 v[14:15], |v[12:13]|, 0
	s_mov_b32 s12, 0
	s_mov_b32 s13, 0x7b000000
	s_movk_i32 s16, 0xff80
	v_ldexp_f64 v[19:20], |v[12:13]|, s16
	v_cmp_ge_f64_e64 vcc, |v[12:13]|, s[12:13]
	v_trig_preop_f64 v[16:17], |v[12:13]|, 1
	v_and_b32_e32 v21, 0x7fffffff, v13
	v_trig_preop_f64 v[27:28], |v[12:13]|, 2
	s_mov_b32 s12, 0
	s_mov_b32 s13, 0x7ff00000
	v_mov_b32_e32 v38, 0x40100000
	v_mov_b32_e32 v37, 0
	v_cndmask_b32_e32 v20, v21, v20, vcc
	v_cndmask_b32_e32 v19, v12, v19, vcc
	s_mov_b32 s16, 0x33145c07
	v_mul_f64 v[21:22], v[14:15], v[19:20]
	s_mov_b32 s17, 0x3c91a626
	v_mul_f64 v[23:24], v[16:17], v[19:20]
	v_mul_f64 v[33:34], v[27:28], v[19:20]
	v_fma_f64 v[14:15], v[14:15], v[19:20], -v[21:22]
	v_fma_f64 v[16:17], v[16:17], v[19:20], -v[23:24]
	;; [unrolled: 1-line block ×3, first 2 shown]
	v_add_f64 v[25:26], v[23:24], v[14:15]
	v_add_f64 v[29:30], v[25:26], -v[23:24]
	v_add_f64 v[35:36], v[21:22], v[25:26]
	v_add_f64 v[31:32], v[25:26], -v[29:30]
	v_add_f64 v[14:15], v[14:15], -v[29:30]
	v_add_f64 v[29:30], v[33:34], v[16:17]
	v_add_f64 v[21:22], v[35:36], -v[21:22]
	v_add_f64 v[23:24], v[23:24], -v[31:32]
	v_ldexp_f64 v[31:32], v[35:36], -2
	v_add_f64 v[39:40], v[29:30], -v[33:34]
	v_add_f64 v[21:22], v[25:26], -v[21:22]
	v_add_f64 v[14:15], v[14:15], v[23:24]
	v_fract_f64_e32 v[23:24], v[31:32]
	v_cmp_neq_f64_e64 vcc, |v[31:32]|, s[12:13]
	v_add_f64 v[16:17], v[16:17], -v[39:40]
	s_mov_b32 s12, 0x54442d18
	s_mov_b32 s13, 0x3ff921fb
	v_add_f64 v[25:26], v[29:30], v[14:15]
	v_ldexp_f64 v[23:24], v[23:24], 2
	v_add_f64 v[31:32], v[21:22], v[25:26]
	v_cndmask_b32_e32 v24, 0, v24, vcc
	v_cndmask_b32_e32 v23, 0, v23, vcc
	v_add_f64 v[41:42], v[25:26], -v[29:30]
	v_add_f64 v[35:36], v[31:32], v[23:24]
	v_add_f64 v[21:22], v[31:32], -v[21:22]
	v_add_f64 v[43:44], v[25:26], -v[41:42]
	;; [unrolled: 1-line block ×3, first 2 shown]
	v_cmp_gt_f64_e32 vcc, 0, v[35:36]
	v_add_f64 v[35:36], v[29:30], -v[39:40]
	v_add_f64 v[21:22], v[25:26], -v[21:22]
	;; [unrolled: 1-line block ×3, first 2 shown]
	v_cndmask_b32_e32 v38, 0, v38, vcc
	v_add_f64 v[23:24], v[23:24], v[37:38]
	v_add_f64 v[35:36], v[33:34], -v[35:36]
	v_add_f64 v[14:15], v[14:15], v[29:30]
	v_add_f64 v[45:46], v[31:32], v[23:24]
	;; [unrolled: 1-line block ×3, first 2 shown]
	v_cvt_i32_f64_e32 v40, v[45:46]
	v_add_f64 v[14:15], v[16:17], v[14:15]
	v_cvt_f64_i32_e32 v[38:39], v40
	v_add_f64 v[23:24], v[23:24], -v[38:39]
	v_add_f64 v[14:15], v[19:20], v[14:15]
	v_add_f64 v[16:17], v[31:32], v[23:24]
	;; [unrolled: 1-line block ×3, first 2 shown]
	v_mov_b32_e32 v21, 0x3ff00000
	v_add_f64 v[19:20], v[16:17], -v[23:24]
	v_cmp_le_f64_e32 vcc, 0.5, v[16:17]
	v_add_f64 v[19:20], v[31:32], -v[19:20]
	v_cndmask_b32_e32 v38, 0, v21, vcc
	v_add_f64 v[16:17], v[16:17], -v[37:38]
	v_add_f64 v[14:15], v[14:15], v[19:20]
	v_add_f64 v[19:20], v[16:17], v[14:15]
	v_mul_f64 v[21:22], v[19:20], s[12:13]
	v_add_f64 v[16:17], v[19:20], -v[16:17]
	v_fma_f64 v[23:24], v[19:20], s[12:13], -v[21:22]
	v_add_f64 v[14:15], v[14:15], -v[16:17]
	v_fma_f64 v[16:17], v[19:20], s[16:17], v[23:24]
	v_fma_f64 v[16:17], v[14:15], s[12:13], v[16:17]
	v_add_f64 v[14:15], v[21:22], v[16:17]
	v_add_f64 v[19:20], v[14:15], -v[21:22]
	v_add_f64 v[16:17], v[16:17], -v[19:20]
	v_addc_co_u32_e32 v19, vcc, 0, v40, vcc
.LBB4_25:
	s_andn2_saveexec_b64 s[2:3], s[2:3]
	s_cbranch_execz .LBB4_27
; %bb.26:
	s_mov_b32 s12, 0x6dc9c883
	s_mov_b32 s13, 0x3fe45f30
	v_mul_f64 v[14:15], |v[12:13]|, s[12:13]
	s_mov_b32 s12, 0x54442d18
	s_mov_b32 s13, 0xbff921fb
	;; [unrolled: 1-line block ×4, first 2 shown]
	v_rndne_f64_e32 v[19:20], v[14:15]
	v_fma_f64 v[14:15], v[19:20], s[12:13], |v[12:13]|
	v_mul_f64 v[16:17], v[19:20], s[16:17]
	s_mov_b32 s12, 0x252049c0
	s_mov_b32 s13, 0xb97b839a
	v_fma_f64 v[25:26], v[19:20], s[16:17], v[14:15]
	v_add_f64 v[21:22], v[14:15], v[16:17]
	s_mov_b32 s17, 0x3c91a626
	v_add_f64 v[23:24], v[14:15], -v[21:22]
	v_add_f64 v[21:22], v[21:22], -v[25:26]
	v_add_f64 v[14:15], v[23:24], v[16:17]
	v_fma_f64 v[16:17], v[19:20], s[16:17], v[16:17]
	v_add_f64 v[14:15], v[21:22], v[14:15]
	v_add_f64 v[14:15], v[14:15], -v[16:17]
	v_fma_f64 v[16:17], v[19:20], s[12:13], v[14:15]
	v_cvt_i32_f64_e32 v19, v[19:20]
	v_add_f64 v[14:15], v[25:26], v[16:17]
	v_add_f64 v[21:22], v[14:15], -v[25:26]
	v_add_f64 v[16:17], v[16:17], -v[21:22]
.LBB4_27:
	s_or_b64 exec, exec, s[2:3]
	v_mul_f64 v[20:21], v[14:15], v[14:15]
	s_mov_b32 s2, 0xf9a43bb8
	v_mov_b32_e32 v23, 0xb42fdfa7
	v_mov_b32_e32 v24, 0xbe5ae600
	s_mov_b32 s3, 0x3de5e0b2
	s_mov_b32 s12, 0x796cde01
	v_mov_b32_e32 v22, 0x9037ab78
	s_mov_b32 s13, 0x3ec71de3
	v_fma_f64 v[24:25], v[20:21], s[2:3], v[23:24]
	s_mov_b32 s2, 0x46cc5e42
	v_mov_b32_e32 v23, 0x3e21eeb6
	s_mov_b32 s3, 0xbda907db
	v_fma_f64 v[22:23], v[20:21], s[2:3], v[22:23]
	v_mul_f64 v[26:27], v[20:21], 0.5
	s_mov_b32 s2, 0xa17f65f6
	s_mov_b32 s16, 0x19e83e5c
	v_fma_f64 v[24:25], v[20:21], v[24:25], s[12:13]
	s_mov_b32 s3, 0xbe927e4f
	s_mov_b32 s17, 0xbf2a01a0
	;; [unrolled: 1-line block ×3, first 2 shown]
	v_fma_f64 v[22:23], v[20:21], v[22:23], s[2:3]
	v_add_f64 v[28:29], -v[26:27], 1.0
	s_mov_b32 s2, 0x11110bb3
	s_mov_b32 s13, 0x3efa01a0
	v_fma_f64 v[24:25], v[20:21], v[24:25], s[16:17]
	s_mov_b32 s3, 0x3f811111
	v_mul_f64 v[30:31], v[16:17], 0.5
	v_mul_f64 v[32:33], v[14:15], -v[20:21]
	v_fma_f64 v[22:23], v[20:21], v[22:23], s[12:13]
	v_add_f64 v[34:35], -v[28:29], 1.0
	v_fma_f64 v[24:25], v[20:21], v[24:25], s[2:3]
	s_mov_b32 s2, 0x16c16967
	s_mov_b32 s3, 0xbf56c16c
	v_fma_f64 v[22:23], v[20:21], v[22:23], s[2:3]
	v_add_f64 v[26:27], v[34:35], -v[26:27]
	s_mov_b32 s3, 0x3fa55555
	s_mov_b32 s2, 0x55555555
	v_fma_f64 v[24:25], v[32:33], v[24:25], v[30:31]
	v_mul_f64 v[30:31], v[20:21], v[20:21]
	v_fma_f64 v[22:23], v[20:21], v[22:23], s[2:3]
	v_fma_f64 v[26:27], v[14:15], -v[16:17], v[26:27]
	s_mov_b32 s3, 0xbfc55555
	v_fma_f64 v[16:17], v[20:21], v[24:25], -v[16:17]
	v_fma_f64 v[20:21], v[30:31], v[22:23], v[26:27]
	v_fma_f64 v[16:17], v[32:33], s[2:3], v[16:17]
	s_movk_i32 s2, 0x1f8
	v_cmp_class_f64_e64 s[2:3], v[12:13], s2
	v_add_f64 v[20:21], v[28:29], v[20:21]
	v_add_f64 v[14:15], v[14:15], -v[16:17]
	v_and_b32_e32 v16, 1, v19
	v_cmp_eq_u32_e32 vcc, 0, v16
	v_lshlrev_b32_e32 v16, 30, v19
	v_xor_b32_e32 v16, v16, v13
	v_and_b32_e32 v16, 0x80000000, v16
	v_mov_b32_e32 v17, 0x7ff80000
	v_cndmask_b32_e32 v15, v21, v15, vcc
	v_cndmask_b32_e32 v14, v20, v14, vcc
	v_xor_b32_e32 v15, v15, v16
	v_cndmask_b32_e64 v14, 0, v14, s[2:3]
	v_cndmask_b32_e64 v15, v17, v15, s[2:3]
	v_div_scale_f64 v[16:17], s[2:3], v[12:13], v[12:13], v[14:15]
	v_div_scale_f64 v[23:24], vcc, v[14:15], v[12:13], v[14:15]
	v_rcp_f64_e32 v[19:20], v[16:17]
	v_fma_f64 v[21:22], -v[16:17], v[19:20], 1.0
	v_fma_f64 v[19:20], v[19:20], v[21:22], v[19:20]
	v_fma_f64 v[21:22], -v[16:17], v[19:20], 1.0
	v_fma_f64 v[19:20], v[19:20], v[21:22], v[19:20]
	v_mul_f64 v[21:22], v[23:24], v[19:20]
	v_fma_f64 v[16:17], -v[16:17], v[21:22], v[23:24]
	v_div_fmas_f64 v[16:17], v[16:17], v[19:20], v[21:22]
	v_div_fixup_f64 v[14:15], v[16:17], v[12:13], v[14:15]
                                        ; implicit-def: $vgpr12_vgpr13
.LBB4_28:
	s_andn2_saveexec_b64 s[2:3], s[10:11]
	s_cbranch_execz .LBB4_30
; %bb.29:
	v_mul_f64 v[12:13], v[12:13], v[12:13]
	s_mov_b32 s10, 0x13a86d09
	v_mov_b32_e32 v14, 0x67f544e4
	v_mov_b32_e32 v15, 0xbe5ae645
	s_mov_b32 s11, 0x3de61246
	v_fma_f64 v[14:15], v[12:13], s[10:11], v[14:15]
	s_mov_b32 s10, 0xa556c734
	s_mov_b32 s11, 0x3ec71de3
	v_fma_f64 v[14:15], v[12:13], v[14:15], s[10:11]
	s_mov_b32 s10, 0x1a01a01a
	;; [unrolled: 3-line block ×4, first 2 shown]
	s_mov_b32 s11, 0xbfc55555
	v_fma_f64 v[14:15], v[12:13], v[14:15], s[10:11]
	v_fma_f64 v[14:15], v[12:13], v[14:15], 1.0
.LBB4_30:
	s_or_b64 exec, exec, s[2:3]
.LBB4_31:
	s_or_b64 exec, exec, s[6:7]
.LBB4_32:
	s_or_b64 exec, exec, s[4:5]
	s_waitcnt vmcnt(0)
	v_or_b32_e32 v12, 0x200, v0
	v_cmp_gt_i32_e32 vcc, s15, v12
	s_and_saveexec_b64 s[4:5], vcc
	s_cbranch_execz .LBB4_44
; %bb.33:
	s_mov_b32 s2, 0
	s_mov_b32 s3, 0x7ff00000
	v_cmp_neq_f64_e64 s[2:3], |v[6:7]|, s[2:3]
	v_mov_b32_e32 v10, 0
	v_mov_b32_e32 v11, 0
	s_and_saveexec_b64 s[6:7], s[2:3]
	s_cbranch_execz .LBB4_43
; %bb.34:
	v_cmp_nlt_f64_e64 s[2:3], |v[6:7]|, 0.5
	s_and_saveexec_b64 s[10:11], s[2:3]
	s_xor_b64 s[10:11], exec, s[10:11]
                                        ; implicit-def: $vgpr10_vgpr11
	s_cbranch_execz .LBB4_40
; %bb.35:
	s_mov_b32 s2, 0
	s_mov_b32 s3, 0x41d00000
	v_cmp_nlt_f64_e64 s[2:3], |v[6:7]|, s[2:3]
                                        ; implicit-def: $vgpr16
                                        ; implicit-def: $vgpr10_vgpr11
                                        ; implicit-def: $vgpr12_vgpr13
	s_and_saveexec_b64 s[12:13], s[2:3]
	s_xor_b64 s[12:13], exec, s[12:13]
	s_cbranch_execz .LBB4_37
; %bb.36:
	v_trig_preop_f64 v[10:11], |v[6:7]|, 0
	s_mov_b32 s2, 0
	s_mov_b32 s3, 0x7b000000
	s_movk_i32 s16, 0xff80
	v_ldexp_f64 v[16:17], |v[6:7]|, s16
	v_cmp_ge_f64_e64 vcc, |v[6:7]|, s[2:3]
	v_trig_preop_f64 v[12:13], |v[6:7]|, 1
	v_and_b32_e32 v19, 0x7fffffff, v7
	v_trig_preop_f64 v[25:26], |v[6:7]|, 2
	s_mov_b32 s2, 0
	s_mov_b32 s3, 0x7ff00000
	v_mov_b32_e32 v36, 0x40100000
	v_mov_b32_e32 v35, 0
	v_cndmask_b32_e32 v17, v19, v17, vcc
	v_cndmask_b32_e32 v16, v6, v16, vcc
	s_mov_b32 s16, 0x33145c07
	v_mul_f64 v[19:20], v[10:11], v[16:17]
	s_mov_b32 s17, 0x3c91a626
	v_mul_f64 v[21:22], v[12:13], v[16:17]
	v_mul_f64 v[31:32], v[25:26], v[16:17]
	v_fma_f64 v[10:11], v[10:11], v[16:17], -v[19:20]
	v_fma_f64 v[12:13], v[12:13], v[16:17], -v[21:22]
	;; [unrolled: 1-line block ×3, first 2 shown]
	v_add_f64 v[23:24], v[21:22], v[10:11]
	v_add_f64 v[27:28], v[23:24], -v[21:22]
	v_add_f64 v[33:34], v[19:20], v[23:24]
	v_add_f64 v[29:30], v[23:24], -v[27:28]
	v_add_f64 v[10:11], v[10:11], -v[27:28]
	v_add_f64 v[27:28], v[31:32], v[12:13]
	v_add_f64 v[19:20], v[33:34], -v[19:20]
	v_add_f64 v[21:22], v[21:22], -v[29:30]
	v_ldexp_f64 v[29:30], v[33:34], -2
	v_add_f64 v[37:38], v[27:28], -v[31:32]
	v_add_f64 v[19:20], v[23:24], -v[19:20]
	v_add_f64 v[10:11], v[10:11], v[21:22]
	v_fract_f64_e32 v[21:22], v[29:30]
	v_cmp_neq_f64_e64 vcc, |v[29:30]|, s[2:3]
	v_add_f64 v[12:13], v[12:13], -v[37:38]
	v_add_f64 v[23:24], v[27:28], v[10:11]
	v_ldexp_f64 v[21:22], v[21:22], 2
	v_add_f64 v[29:30], v[19:20], v[23:24]
	v_cndmask_b32_e32 v22, 0, v22, vcc
	v_cndmask_b32_e32 v21, 0, v21, vcc
	v_add_f64 v[39:40], v[23:24], -v[27:28]
	v_add_f64 v[33:34], v[29:30], v[21:22]
	v_add_f64 v[19:20], v[29:30], -v[19:20]
	v_add_f64 v[41:42], v[23:24], -v[39:40]
	;; [unrolled: 1-line block ×3, first 2 shown]
	v_cmp_gt_f64_e32 vcc, 0, v[33:34]
	v_add_f64 v[33:34], v[27:28], -v[37:38]
	v_add_f64 v[19:20], v[23:24], -v[19:20]
	;; [unrolled: 1-line block ×3, first 2 shown]
	v_cndmask_b32_e32 v36, 0, v36, vcc
	v_add_f64 v[21:22], v[21:22], v[35:36]
	v_add_f64 v[33:34], v[31:32], -v[33:34]
	v_add_f64 v[10:11], v[10:11], v[27:28]
	v_add_f64 v[43:44], v[29:30], v[21:22]
	;; [unrolled: 1-line block ×3, first 2 shown]
	v_cvt_i32_f64_e32 v38, v[43:44]
	v_add_f64 v[10:11], v[12:13], v[10:11]
	v_cvt_f64_i32_e32 v[36:37], v38
	v_add_f64 v[21:22], v[21:22], -v[36:37]
	v_add_f64 v[10:11], v[16:17], v[10:11]
	v_add_f64 v[12:13], v[29:30], v[21:22]
	;; [unrolled: 1-line block ×3, first 2 shown]
	v_add_f64 v[16:17], v[12:13], -v[21:22]
	v_cmp_le_f64_e32 vcc, 0.5, v[12:13]
	v_add_f64 v[19:20], v[29:30], -v[16:17]
	v_mov_b32_e32 v17, 0x3ff00000
	v_cndmask_b32_e32 v36, 0, v17, vcc
	v_add_f64 v[12:13], v[12:13], -v[35:36]
	v_addc_co_u32_e64 v16, s[2:3], 0, v38, vcc
	s_mov_b32 s2, 0x54442d18
	s_mov_b32 s3, 0x3ff921fb
	v_add_f64 v[10:11], v[10:11], v[19:20]
	v_add_f64 v[19:20], v[12:13], v[10:11]
	v_mul_f64 v[21:22], v[19:20], s[2:3]
	v_add_f64 v[12:13], v[19:20], -v[12:13]
	v_fma_f64 v[23:24], v[19:20], s[2:3], -v[21:22]
	v_add_f64 v[10:11], v[10:11], -v[12:13]
	v_fma_f64 v[12:13], v[19:20], s[16:17], v[23:24]
	v_fma_f64 v[12:13], v[10:11], s[2:3], v[12:13]
	v_add_f64 v[10:11], v[21:22], v[12:13]
	v_add_f64 v[19:20], v[10:11], -v[21:22]
	v_add_f64 v[12:13], v[12:13], -v[19:20]
.LBB4_37:
	s_andn2_saveexec_b64 s[2:3], s[12:13]
	s_cbranch_execz .LBB4_39
; %bb.38:
	s_mov_b32 s12, 0x6dc9c883
	s_mov_b32 s13, 0x3fe45f30
	v_mul_f64 v[10:11], |v[6:7]|, s[12:13]
	s_mov_b32 s12, 0x54442d18
	s_mov_b32 s13, 0xbff921fb
	;; [unrolled: 1-line block ×4, first 2 shown]
	v_rndne_f64_e32 v[16:17], v[10:11]
	v_fma_f64 v[10:11], v[16:17], s[12:13], |v[6:7]|
	v_mul_f64 v[12:13], v[16:17], s[16:17]
	s_mov_b32 s12, 0x252049c0
	s_mov_b32 s13, 0xb97b839a
	v_fma_f64 v[23:24], v[16:17], s[16:17], v[10:11]
	v_add_f64 v[19:20], v[10:11], v[12:13]
	s_mov_b32 s17, 0x3c91a626
	v_add_f64 v[21:22], v[10:11], -v[19:20]
	v_add_f64 v[19:20], v[19:20], -v[23:24]
	v_add_f64 v[10:11], v[21:22], v[12:13]
	v_fma_f64 v[12:13], v[16:17], s[16:17], v[12:13]
	v_add_f64 v[10:11], v[19:20], v[10:11]
	v_add_f64 v[10:11], v[10:11], -v[12:13]
	v_fma_f64 v[12:13], v[16:17], s[12:13], v[10:11]
	v_cvt_i32_f64_e32 v16, v[16:17]
	v_add_f64 v[10:11], v[23:24], v[12:13]
	v_add_f64 v[19:20], v[10:11], -v[23:24]
	v_add_f64 v[12:13], v[12:13], -v[19:20]
.LBB4_39:
	s_or_b64 exec, exec, s[2:3]
	v_mul_f64 v[19:20], v[10:11], v[10:11]
	s_mov_b32 s2, 0xf9a43bb8
	v_mov_b32_e32 v22, 0xb42fdfa7
	v_mov_b32_e32 v23, 0xbe5ae600
	s_mov_b32 s3, 0x3de5e0b2
	s_mov_b32 s12, 0x796cde01
	v_mov_b32_e32 v21, 0x9037ab78
	s_mov_b32 s13, 0x3ec71de3
	v_fma_f64 v[23:24], v[19:20], s[2:3], v[22:23]
	s_mov_b32 s2, 0x46cc5e42
	v_mov_b32_e32 v22, 0x3e21eeb6
	s_mov_b32 s3, 0xbda907db
	v_fma_f64 v[21:22], v[19:20], s[2:3], v[21:22]
	v_mul_f64 v[25:26], v[19:20], 0.5
	s_mov_b32 s2, 0xa17f65f6
	s_mov_b32 s16, 0x19e83e5c
	v_fma_f64 v[23:24], v[19:20], v[23:24], s[12:13]
	s_mov_b32 s3, 0xbe927e4f
	s_mov_b32 s17, 0xbf2a01a0
	;; [unrolled: 1-line block ×3, first 2 shown]
	v_fma_f64 v[21:22], v[19:20], v[21:22], s[2:3]
	v_add_f64 v[27:28], -v[25:26], 1.0
	s_mov_b32 s2, 0x11110bb3
	s_mov_b32 s13, 0x3efa01a0
	v_fma_f64 v[23:24], v[19:20], v[23:24], s[16:17]
	s_mov_b32 s3, 0x3f811111
	v_mul_f64 v[29:30], v[12:13], 0.5
	v_mul_f64 v[31:32], v[10:11], -v[19:20]
	v_fma_f64 v[21:22], v[19:20], v[21:22], s[12:13]
	v_add_f64 v[33:34], -v[27:28], 1.0
	v_fma_f64 v[23:24], v[19:20], v[23:24], s[2:3]
	s_mov_b32 s2, 0x16c16967
	s_mov_b32 s3, 0xbf56c16c
	v_fma_f64 v[21:22], v[19:20], v[21:22], s[2:3]
	v_add_f64 v[25:26], v[33:34], -v[25:26]
	s_mov_b32 s3, 0x3fa55555
	s_mov_b32 s2, 0x55555555
	v_fma_f64 v[23:24], v[31:32], v[23:24], v[29:30]
	v_mul_f64 v[29:30], v[19:20], v[19:20]
	v_fma_f64 v[21:22], v[19:20], v[21:22], s[2:3]
	v_fma_f64 v[25:26], v[10:11], -v[12:13], v[25:26]
	s_mov_b32 s3, 0xbfc55555
	v_fma_f64 v[12:13], v[19:20], v[23:24], -v[12:13]
	v_fma_f64 v[19:20], v[29:30], v[21:22], v[25:26]
	v_fma_f64 v[12:13], v[31:32], s[2:3], v[12:13]
	s_movk_i32 s2, 0x1f8
	v_cmp_class_f64_e64 s[2:3], v[6:7], s2
	v_add_f64 v[19:20], v[27:28], v[19:20]
	v_add_f64 v[10:11], v[10:11], -v[12:13]
	v_and_b32_e32 v12, 1, v16
	v_cmp_eq_u32_e32 vcc, 0, v12
	v_lshlrev_b32_e32 v12, 30, v16
	v_xor_b32_e32 v12, v12, v7
	v_and_b32_e32 v12, 0x80000000, v12
	v_mov_b32_e32 v13, 0x7ff80000
	v_cndmask_b32_e32 v11, v20, v11, vcc
	v_cndmask_b32_e32 v10, v19, v10, vcc
	v_xor_b32_e32 v11, v11, v12
	v_cndmask_b32_e64 v10, 0, v10, s[2:3]
	v_cndmask_b32_e64 v11, v13, v11, s[2:3]
	v_div_scale_f64 v[12:13], s[2:3], v[6:7], v[6:7], v[10:11]
	v_div_scale_f64 v[21:22], vcc, v[10:11], v[6:7], v[10:11]
	v_rcp_f64_e32 v[16:17], v[12:13]
	v_fma_f64 v[19:20], -v[12:13], v[16:17], 1.0
	v_fma_f64 v[16:17], v[16:17], v[19:20], v[16:17]
	v_fma_f64 v[19:20], -v[12:13], v[16:17], 1.0
	v_fma_f64 v[16:17], v[16:17], v[19:20], v[16:17]
	v_mul_f64 v[19:20], v[21:22], v[16:17]
	v_fma_f64 v[12:13], -v[12:13], v[19:20], v[21:22]
	v_div_fmas_f64 v[12:13], v[12:13], v[16:17], v[19:20]
	v_div_fixup_f64 v[10:11], v[12:13], v[6:7], v[10:11]
                                        ; implicit-def: $vgpr6_vgpr7
.LBB4_40:
	s_andn2_saveexec_b64 s[2:3], s[10:11]
	s_cbranch_execz .LBB4_42
; %bb.41:
	v_mul_f64 v[6:7], v[6:7], v[6:7]
	s_mov_b32 s10, 0x13a86d09
	v_mov_b32_e32 v10, 0x67f544e4
	v_mov_b32_e32 v11, 0xbe5ae645
	s_mov_b32 s11, 0x3de61246
	v_fma_f64 v[10:11], v[6:7], s[10:11], v[10:11]
	s_mov_b32 s10, 0xa556c734
	s_mov_b32 s11, 0x3ec71de3
	v_fma_f64 v[10:11], v[6:7], v[10:11], s[10:11]
	s_mov_b32 s10, 0x1a01a01a
	;; [unrolled: 3-line block ×4, first 2 shown]
	s_mov_b32 s11, 0xbfc55555
	v_fma_f64 v[10:11], v[6:7], v[10:11], s[10:11]
	v_fma_f64 v[10:11], v[6:7], v[10:11], 1.0
.LBB4_42:
	s_or_b64 exec, exec, s[2:3]
.LBB4_43:
	s_or_b64 exec, exec, s[6:7]
.LBB4_44:
	s_or_b64 exec, exec, s[4:5]
	v_or_b32_e32 v6, 0x300, v0
	v_cmp_gt_i32_e32 vcc, s15, v6
	s_and_saveexec_b64 s[4:5], vcc
	s_cbranch_execnz .LBB4_50
; %bb.45:
	s_or_b64 exec, exec, s[4:5]
	s_and_saveexec_b64 s[2:3], s[0:1]
	s_xor_b64 s[0:1], exec, s[2:3]
	s_cbranch_execnz .LBB4_61
.LBB4_46:
	s_or_b64 exec, exec, s[0:1]
	v_cmp_gt_i32_e32 vcc, s15, v0
	s_and_saveexec_b64 s[0:1], vcc
	s_cbranch_execnz .LBB4_62
.LBB4_47:
	s_or_b64 exec, exec, s[0:1]
	v_cmp_gt_i32_e32 vcc, s15, v0
	s_and_saveexec_b64 s[0:1], vcc
	s_cbranch_execnz .LBB4_63
.LBB4_48:
	s_or_b64 exec, exec, s[0:1]
	v_cmp_gt_i32_e32 vcc, s15, v0
	s_and_saveexec_b64 s[0:1], vcc
	s_cbranch_execnz .LBB4_64
.LBB4_49:
	s_endpgm
.LBB4_50:
	s_mov_b32 s2, 0
	s_mov_b32 s3, 0x7ff00000
	v_cmp_neq_f64_e64 s[2:3], |v[2:3]|, s[2:3]
	v_mov_b32_e32 v8, 0
	v_mov_b32_e32 v9, 0
	s_and_saveexec_b64 s[6:7], s[2:3]
	s_cbranch_execz .LBB4_60
; %bb.51:
	v_cmp_nlt_f64_e64 s[2:3], |v[2:3]|, 0.5
	s_and_saveexec_b64 s[10:11], s[2:3]
	s_xor_b64 s[10:11], exec, s[10:11]
                                        ; implicit-def: $vgpr8_vgpr9
	s_cbranch_execz .LBB4_57
; %bb.52:
	s_mov_b32 s2, 0
	s_mov_b32 s3, 0x41d00000
	v_cmp_nlt_f64_e64 s[2:3], |v[2:3]|, s[2:3]
                                        ; implicit-def: $vgpr12
                                        ; implicit-def: $vgpr6_vgpr7
                                        ; implicit-def: $vgpr8_vgpr9
	s_and_saveexec_b64 s[12:13], s[2:3]
	s_xor_b64 s[12:13], exec, s[12:13]
	s_cbranch_execz .LBB4_54
; %bb.53:
	v_trig_preop_f64 v[6:7], |v[2:3]|, 0
	s_mov_b32 s2, 0
	s_mov_b32 s3, 0x7b000000
	s_movk_i32 s16, 0xff80
	v_ldexp_f64 v[12:13], |v[2:3]|, s16
	v_cmp_ge_f64_e64 vcc, |v[2:3]|, s[2:3]
	v_trig_preop_f64 v[8:9], |v[2:3]|, 1
	v_and_b32_e32 v16, 0x7fffffff, v3
	v_trig_preop_f64 v[23:24], |v[2:3]|, 2
	s_mov_b32 s2, 0
	s_mov_b32 s3, 0x7ff00000
	v_mov_b32_e32 v34, 0x40100000
	v_mov_b32_e32 v33, 0
	v_cndmask_b32_e32 v13, v16, v13, vcc
	v_cndmask_b32_e32 v12, v2, v12, vcc
	s_mov_b32 s16, 0x33145c07
	v_mul_f64 v[16:17], v[6:7], v[12:13]
	s_mov_b32 s17, 0x3c91a626
	v_mul_f64 v[19:20], v[8:9], v[12:13]
	v_mul_f64 v[29:30], v[23:24], v[12:13]
	v_fma_f64 v[6:7], v[6:7], v[12:13], -v[16:17]
	v_fma_f64 v[8:9], v[8:9], v[12:13], -v[19:20]
	;; [unrolled: 1-line block ×3, first 2 shown]
	v_add_f64 v[21:22], v[19:20], v[6:7]
	v_add_f64 v[25:26], v[21:22], -v[19:20]
	v_add_f64 v[31:32], v[16:17], v[21:22]
	v_add_f64 v[27:28], v[21:22], -v[25:26]
	v_add_f64 v[6:7], v[6:7], -v[25:26]
	v_add_f64 v[25:26], v[29:30], v[8:9]
	v_add_f64 v[16:17], v[31:32], -v[16:17]
	v_add_f64 v[19:20], v[19:20], -v[27:28]
	v_ldexp_f64 v[27:28], v[31:32], -2
	v_add_f64 v[35:36], v[25:26], -v[29:30]
	v_add_f64 v[16:17], v[21:22], -v[16:17]
	v_add_f64 v[6:7], v[6:7], v[19:20]
	v_fract_f64_e32 v[19:20], v[27:28]
	v_cmp_neq_f64_e64 vcc, |v[27:28]|, s[2:3]
	v_add_f64 v[8:9], v[8:9], -v[35:36]
	v_add_f64 v[21:22], v[25:26], v[6:7]
	v_ldexp_f64 v[19:20], v[19:20], 2
	v_add_f64 v[27:28], v[16:17], v[21:22]
	v_cndmask_b32_e32 v20, 0, v20, vcc
	v_cndmask_b32_e32 v19, 0, v19, vcc
	v_add_f64 v[37:38], v[21:22], -v[25:26]
	v_add_f64 v[31:32], v[27:28], v[19:20]
	v_add_f64 v[16:17], v[27:28], -v[16:17]
	v_add_f64 v[39:40], v[21:22], -v[37:38]
	;; [unrolled: 1-line block ×3, first 2 shown]
	v_cmp_gt_f64_e32 vcc, 0, v[31:32]
	v_add_f64 v[31:32], v[25:26], -v[35:36]
	v_add_f64 v[16:17], v[21:22], -v[16:17]
	;; [unrolled: 1-line block ×3, first 2 shown]
	v_cndmask_b32_e32 v34, 0, v34, vcc
	v_add_f64 v[19:20], v[19:20], v[33:34]
	v_add_f64 v[31:32], v[29:30], -v[31:32]
	v_add_f64 v[6:7], v[6:7], v[25:26]
	v_add_f64 v[41:42], v[27:28], v[19:20]
	;; [unrolled: 1-line block ×3, first 2 shown]
	v_cvt_i32_f64_e32 v36, v[41:42]
	v_add_f64 v[6:7], v[8:9], v[6:7]
	v_cvt_f64_i32_e32 v[34:35], v36
	v_add_f64 v[19:20], v[19:20], -v[34:35]
	v_add_f64 v[6:7], v[12:13], v[6:7]
	v_add_f64 v[8:9], v[27:28], v[19:20]
	;; [unrolled: 1-line block ×3, first 2 shown]
	v_add_f64 v[12:13], v[8:9], -v[19:20]
	v_cmp_le_f64_e32 vcc, 0.5, v[8:9]
	v_add_f64 v[16:17], v[27:28], -v[12:13]
	v_mov_b32_e32 v13, 0x3ff00000
	v_cndmask_b32_e32 v34, 0, v13, vcc
	v_add_f64 v[8:9], v[8:9], -v[33:34]
	v_addc_co_u32_e64 v12, s[2:3], 0, v36, vcc
	s_mov_b32 s2, 0x54442d18
	s_mov_b32 s3, 0x3ff921fb
	v_add_f64 v[6:7], v[6:7], v[16:17]
	v_add_f64 v[16:17], v[8:9], v[6:7]
	v_mul_f64 v[19:20], v[16:17], s[2:3]
	v_add_f64 v[8:9], v[16:17], -v[8:9]
	v_fma_f64 v[21:22], v[16:17], s[2:3], -v[19:20]
	v_add_f64 v[6:7], v[6:7], -v[8:9]
	v_fma_f64 v[8:9], v[16:17], s[16:17], v[21:22]
	v_fma_f64 v[8:9], v[6:7], s[2:3], v[8:9]
	v_add_f64 v[6:7], v[19:20], v[8:9]
	v_add_f64 v[16:17], v[6:7], -v[19:20]
	v_add_f64 v[8:9], v[8:9], -v[16:17]
.LBB4_54:
	s_andn2_saveexec_b64 s[2:3], s[12:13]
	s_cbranch_execz .LBB4_56
; %bb.55:
	s_mov_b32 s12, 0x6dc9c883
	s_mov_b32 s13, 0x3fe45f30
	v_mul_f64 v[6:7], |v[2:3]|, s[12:13]
	s_mov_b32 s12, 0x54442d18
	s_mov_b32 s13, 0xbff921fb
	;; [unrolled: 1-line block ×4, first 2 shown]
	v_rndne_f64_e32 v[12:13], v[6:7]
	v_fma_f64 v[6:7], v[12:13], s[12:13], |v[2:3]|
	v_mul_f64 v[8:9], v[12:13], s[16:17]
	s_mov_b32 s12, 0x252049c0
	s_mov_b32 s13, 0xb97b839a
	v_fma_f64 v[21:22], v[12:13], s[16:17], v[6:7]
	v_add_f64 v[16:17], v[6:7], v[8:9]
	s_mov_b32 s17, 0x3c91a626
	v_add_f64 v[19:20], v[6:7], -v[16:17]
	v_add_f64 v[16:17], v[16:17], -v[21:22]
	v_add_f64 v[6:7], v[19:20], v[8:9]
	v_fma_f64 v[8:9], v[12:13], s[16:17], v[8:9]
	v_add_f64 v[6:7], v[16:17], v[6:7]
	v_add_f64 v[6:7], v[6:7], -v[8:9]
	v_fma_f64 v[8:9], v[12:13], s[12:13], v[6:7]
	v_cvt_i32_f64_e32 v12, v[12:13]
	v_add_f64 v[6:7], v[21:22], v[8:9]
	v_add_f64 v[16:17], v[6:7], -v[21:22]
	v_add_f64 v[8:9], v[8:9], -v[16:17]
.LBB4_56:
	s_or_b64 exec, exec, s[2:3]
	v_mul_f64 v[16:17], v[6:7], v[6:7]
	s_mov_b32 s2, 0xf9a43bb8
	v_mov_b32_e32 v20, 0xb42fdfa7
	v_mov_b32_e32 v21, 0xbe5ae600
	s_mov_b32 s3, 0x3de5e0b2
	s_mov_b32 s12, 0x796cde01
	v_mov_b32_e32 v19, 0x9037ab78
	s_mov_b32 s13, 0x3ec71de3
	v_fma_f64 v[21:22], v[16:17], s[2:3], v[20:21]
	s_mov_b32 s2, 0x46cc5e42
	v_mov_b32_e32 v20, 0x3e21eeb6
	s_mov_b32 s3, 0xbda907db
	v_fma_f64 v[19:20], v[16:17], s[2:3], v[19:20]
	v_mul_f64 v[23:24], v[16:17], 0.5
	s_mov_b32 s2, 0xa17f65f6
	s_mov_b32 s16, 0x19e83e5c
	v_fma_f64 v[21:22], v[16:17], v[21:22], s[12:13]
	s_mov_b32 s3, 0xbe927e4f
	s_mov_b32 s17, 0xbf2a01a0
	;; [unrolled: 1-line block ×3, first 2 shown]
	v_fma_f64 v[19:20], v[16:17], v[19:20], s[2:3]
	v_add_f64 v[25:26], -v[23:24], 1.0
	s_mov_b32 s2, 0x11110bb3
	s_mov_b32 s13, 0x3efa01a0
	v_fma_f64 v[21:22], v[16:17], v[21:22], s[16:17]
	s_mov_b32 s3, 0x3f811111
	v_mul_f64 v[27:28], v[8:9], 0.5
	v_mul_f64 v[29:30], v[6:7], -v[16:17]
	v_fma_f64 v[19:20], v[16:17], v[19:20], s[12:13]
	v_add_f64 v[31:32], -v[25:26], 1.0
	v_fma_f64 v[21:22], v[16:17], v[21:22], s[2:3]
	s_mov_b32 s2, 0x16c16967
	s_mov_b32 s3, 0xbf56c16c
	v_fma_f64 v[19:20], v[16:17], v[19:20], s[2:3]
	v_add_f64 v[23:24], v[31:32], -v[23:24]
	s_mov_b32 s3, 0x3fa55555
	s_mov_b32 s2, 0x55555555
	v_fma_f64 v[21:22], v[29:30], v[21:22], v[27:28]
	v_mul_f64 v[27:28], v[16:17], v[16:17]
	v_fma_f64 v[19:20], v[16:17], v[19:20], s[2:3]
	v_fma_f64 v[23:24], v[6:7], -v[8:9], v[23:24]
	s_mov_b32 s3, 0xbfc55555
	v_fma_f64 v[8:9], v[16:17], v[21:22], -v[8:9]
	v_fma_f64 v[16:17], v[27:28], v[19:20], v[23:24]
	v_fma_f64 v[8:9], v[29:30], s[2:3], v[8:9]
	s_movk_i32 s2, 0x1f8
	v_cmp_class_f64_e64 s[2:3], v[2:3], s2
	v_add_f64 v[16:17], v[25:26], v[16:17]
	v_add_f64 v[6:7], v[6:7], -v[8:9]
	v_and_b32_e32 v8, 1, v12
	v_cmp_eq_u32_e32 vcc, 0, v8
	v_lshlrev_b32_e32 v8, 30, v12
	v_xor_b32_e32 v8, v8, v3
	v_and_b32_e32 v8, 0x80000000, v8
	v_mov_b32_e32 v9, 0x7ff80000
	v_cndmask_b32_e32 v7, v17, v7, vcc
	v_cndmask_b32_e32 v6, v16, v6, vcc
	v_xor_b32_e32 v7, v7, v8
	v_cndmask_b32_e64 v6, 0, v6, s[2:3]
	v_cndmask_b32_e64 v7, v9, v7, s[2:3]
	v_div_scale_f64 v[8:9], s[2:3], v[2:3], v[2:3], v[6:7]
	v_div_scale_f64 v[19:20], vcc, v[6:7], v[2:3], v[6:7]
	v_rcp_f64_e32 v[12:13], v[8:9]
	v_fma_f64 v[16:17], -v[8:9], v[12:13], 1.0
	v_fma_f64 v[12:13], v[12:13], v[16:17], v[12:13]
	v_fma_f64 v[16:17], -v[8:9], v[12:13], 1.0
	v_fma_f64 v[12:13], v[12:13], v[16:17], v[12:13]
	v_mul_f64 v[16:17], v[19:20], v[12:13]
	v_fma_f64 v[8:9], -v[8:9], v[16:17], v[19:20]
	v_div_fmas_f64 v[8:9], v[8:9], v[12:13], v[16:17]
	v_div_fixup_f64 v[8:9], v[8:9], v[2:3], v[6:7]
                                        ; implicit-def: $vgpr2_vgpr3
.LBB4_57:
	s_andn2_saveexec_b64 s[2:3], s[10:11]
	s_cbranch_execz .LBB4_59
; %bb.58:
	v_mul_f64 v[2:3], v[2:3], v[2:3]
	s_mov_b32 s10, 0x13a86d09
	v_mov_b32_e32 v6, 0x67f544e4
	v_mov_b32_e32 v7, 0xbe5ae645
	s_mov_b32 s11, 0x3de61246
	v_fma_f64 v[6:7], v[2:3], s[10:11], v[6:7]
	s_mov_b32 s10, 0xa556c734
	s_mov_b32 s11, 0x3ec71de3
	v_fma_f64 v[6:7], v[2:3], v[6:7], s[10:11]
	s_mov_b32 s10, 0x1a01a01a
	;; [unrolled: 3-line block ×4, first 2 shown]
	s_mov_b32 s11, 0xbfc55555
	v_fma_f64 v[6:7], v[2:3], v[6:7], s[10:11]
	v_fma_f64 v[8:9], v[2:3], v[6:7], 1.0
.LBB4_59:
	s_or_b64 exec, exec, s[2:3]
.LBB4_60:
	s_or_b64 exec, exec, s[6:7]
	s_or_b64 exec, exec, s[4:5]
	s_and_saveexec_b64 s[2:3], s[0:1]
	s_xor_b64 s[0:1], exec, s[2:3]
	s_cbranch_execz .LBB4_46
.LBB4_61:
	v_mov_b32_e32 v2, 0
	v_lshlrev_b64 v[0:1], 3, v[1:2]
	v_mov_b32_e32 v2, s9
	v_add_co_u32_e32 v0, vcc, s8, v0
	v_addc_co_u32_e32 v1, vcc, v2, v1, vcc
	global_store_dwordx2 v[0:1], v[4:5], off
	v_mov_b32_e32 v0, v18
	s_or_b64 exec, exec, s[0:1]
	v_cmp_gt_i32_e32 vcc, s15, v0
	s_and_saveexec_b64 s[0:1], vcc
	s_cbranch_execz .LBB4_47
.LBB4_62:
	v_add_u32_e32 v2, 0x100, v0
	v_add_u32_e32 v0, s14, v0
	v_mov_b32_e32 v1, 0
	v_lshlrev_b64 v[0:1], 3, v[0:1]
	v_mov_b32_e32 v3, s9
	v_add_co_u32_e32 v0, vcc, s8, v0
	v_addc_co_u32_e32 v1, vcc, v3, v1, vcc
	global_store_dwordx2 v[0:1], v[14:15], off
	v_mov_b32_e32 v0, v2
	s_or_b64 exec, exec, s[0:1]
	v_cmp_gt_i32_e32 vcc, s15, v0
	s_and_saveexec_b64 s[0:1], vcc
	s_cbranch_execz .LBB4_48
.LBB4_63:
	v_add_u32_e32 v2, 0x100, v0
	v_add_u32_e32 v0, s14, v0
	v_mov_b32_e32 v1, 0
	v_lshlrev_b64 v[0:1], 3, v[0:1]
	v_mov_b32_e32 v3, s9
	v_add_co_u32_e32 v0, vcc, s8, v0
	v_addc_co_u32_e32 v1, vcc, v3, v1, vcc
	global_store_dwordx2 v[0:1], v[10:11], off
	v_mov_b32_e32 v0, v2
	s_or_b64 exec, exec, s[0:1]
	v_cmp_gt_i32_e32 vcc, s15, v0
	s_and_saveexec_b64 s[0:1], vcc
	s_cbranch_execz .LBB4_49
.LBB4_64:
	v_add_u32_e32 v0, s14, v0
	v_mov_b32_e32 v1, 0
	v_lshlrev_b64 v[0:1], 3, v[0:1]
	v_mov_b32_e32 v2, s9
	v_add_co_u32_e32 v0, vcc, s8, v0
	v_addc_co_u32_e32 v1, vcc, v2, v1, vcc
	global_store_dwordx2 v[0:1], v[8:9], off
	s_endpgm
	.section	.rodata,"a",@progbits
	.p2align	6, 0x0
	.amdhsa_kernel _ZN2at6native27unrolled_elementwise_kernelIZZZNS0_12_GLOBAL__N_131spherical_bessel_j0_kernel_cudaERNS_18TensorIteratorBaseEENKUlvE_clEvENKUlvE_clEvEUldE_St5arrayIPcLm2EELi4E23TrivialOffsetCalculatorILi1EjESC_NS0_6memory15LoadWithoutCastENSD_16StoreWithoutCastEEEviT_T0_T2_T3_T4_T5_
		.amdhsa_group_segment_fixed_size 0
		.amdhsa_private_segment_fixed_size 0
		.amdhsa_kernarg_size 28
		.amdhsa_user_sgpr_count 6
		.amdhsa_user_sgpr_private_segment_buffer 1
		.amdhsa_user_sgpr_dispatch_ptr 0
		.amdhsa_user_sgpr_queue_ptr 0
		.amdhsa_user_sgpr_kernarg_segment_ptr 1
		.amdhsa_user_sgpr_dispatch_id 0
		.amdhsa_user_sgpr_flat_scratch_init 0
		.amdhsa_user_sgpr_private_segment_size 0
		.amdhsa_uses_dynamic_stack 0
		.amdhsa_system_sgpr_private_segment_wavefront_offset 0
		.amdhsa_system_sgpr_workgroup_id_x 1
		.amdhsa_system_sgpr_workgroup_id_y 0
		.amdhsa_system_sgpr_workgroup_id_z 0
		.amdhsa_system_sgpr_workgroup_info 0
		.amdhsa_system_vgpr_workitem_id 0
		.amdhsa_next_free_vgpr 47
		.amdhsa_next_free_sgpr 18
		.amdhsa_reserve_vcc 1
		.amdhsa_reserve_flat_scratch 0
		.amdhsa_float_round_mode_32 0
		.amdhsa_float_round_mode_16_64 0
		.amdhsa_float_denorm_mode_32 3
		.amdhsa_float_denorm_mode_16_64 3
		.amdhsa_dx10_clamp 1
		.amdhsa_ieee_mode 1
		.amdhsa_fp16_overflow 0
		.amdhsa_exception_fp_ieee_invalid_op 0
		.amdhsa_exception_fp_denorm_src 0
		.amdhsa_exception_fp_ieee_div_zero 0
		.amdhsa_exception_fp_ieee_overflow 0
		.amdhsa_exception_fp_ieee_underflow 0
		.amdhsa_exception_fp_ieee_inexact 0
		.amdhsa_exception_int_div_zero 0
	.end_amdhsa_kernel
	.section	.text._ZN2at6native27unrolled_elementwise_kernelIZZZNS0_12_GLOBAL__N_131spherical_bessel_j0_kernel_cudaERNS_18TensorIteratorBaseEENKUlvE_clEvENKUlvE_clEvEUldE_St5arrayIPcLm2EELi4E23TrivialOffsetCalculatorILi1EjESC_NS0_6memory15LoadWithoutCastENSD_16StoreWithoutCastEEEviT_T0_T2_T3_T4_T5_,"axG",@progbits,_ZN2at6native27unrolled_elementwise_kernelIZZZNS0_12_GLOBAL__N_131spherical_bessel_j0_kernel_cudaERNS_18TensorIteratorBaseEENKUlvE_clEvENKUlvE_clEvEUldE_St5arrayIPcLm2EELi4E23TrivialOffsetCalculatorILi1EjESC_NS0_6memory15LoadWithoutCastENSD_16StoreWithoutCastEEEviT_T0_T2_T3_T4_T5_,comdat
.Lfunc_end4:
	.size	_ZN2at6native27unrolled_elementwise_kernelIZZZNS0_12_GLOBAL__N_131spherical_bessel_j0_kernel_cudaERNS_18TensorIteratorBaseEENKUlvE_clEvENKUlvE_clEvEUldE_St5arrayIPcLm2EELi4E23TrivialOffsetCalculatorILi1EjESC_NS0_6memory15LoadWithoutCastENSD_16StoreWithoutCastEEEviT_T0_T2_T3_T4_T5_, .Lfunc_end4-_ZN2at6native27unrolled_elementwise_kernelIZZZNS0_12_GLOBAL__N_131spherical_bessel_j0_kernel_cudaERNS_18TensorIteratorBaseEENKUlvE_clEvENKUlvE_clEvEUldE_St5arrayIPcLm2EELi4E23TrivialOffsetCalculatorILi1EjESC_NS0_6memory15LoadWithoutCastENSD_16StoreWithoutCastEEEviT_T0_T2_T3_T4_T5_
                                        ; -- End function
	.set _ZN2at6native27unrolled_elementwise_kernelIZZZNS0_12_GLOBAL__N_131spherical_bessel_j0_kernel_cudaERNS_18TensorIteratorBaseEENKUlvE_clEvENKUlvE_clEvEUldE_St5arrayIPcLm2EELi4E23TrivialOffsetCalculatorILi1EjESC_NS0_6memory15LoadWithoutCastENSD_16StoreWithoutCastEEEviT_T0_T2_T3_T4_T5_.num_vgpr, 47
	.set _ZN2at6native27unrolled_elementwise_kernelIZZZNS0_12_GLOBAL__N_131spherical_bessel_j0_kernel_cudaERNS_18TensorIteratorBaseEENKUlvE_clEvENKUlvE_clEvEUldE_St5arrayIPcLm2EELi4E23TrivialOffsetCalculatorILi1EjESC_NS0_6memory15LoadWithoutCastENSD_16StoreWithoutCastEEEviT_T0_T2_T3_T4_T5_.num_agpr, 0
	.set _ZN2at6native27unrolled_elementwise_kernelIZZZNS0_12_GLOBAL__N_131spherical_bessel_j0_kernel_cudaERNS_18TensorIteratorBaseEENKUlvE_clEvENKUlvE_clEvEUldE_St5arrayIPcLm2EELi4E23TrivialOffsetCalculatorILi1EjESC_NS0_6memory15LoadWithoutCastENSD_16StoreWithoutCastEEEviT_T0_T2_T3_T4_T5_.numbered_sgpr, 18
	.set _ZN2at6native27unrolled_elementwise_kernelIZZZNS0_12_GLOBAL__N_131spherical_bessel_j0_kernel_cudaERNS_18TensorIteratorBaseEENKUlvE_clEvENKUlvE_clEvEUldE_St5arrayIPcLm2EELi4E23TrivialOffsetCalculatorILi1EjESC_NS0_6memory15LoadWithoutCastENSD_16StoreWithoutCastEEEviT_T0_T2_T3_T4_T5_.num_named_barrier, 0
	.set _ZN2at6native27unrolled_elementwise_kernelIZZZNS0_12_GLOBAL__N_131spherical_bessel_j0_kernel_cudaERNS_18TensorIteratorBaseEENKUlvE_clEvENKUlvE_clEvEUldE_St5arrayIPcLm2EELi4E23TrivialOffsetCalculatorILi1EjESC_NS0_6memory15LoadWithoutCastENSD_16StoreWithoutCastEEEviT_T0_T2_T3_T4_T5_.private_seg_size, 0
	.set _ZN2at6native27unrolled_elementwise_kernelIZZZNS0_12_GLOBAL__N_131spherical_bessel_j0_kernel_cudaERNS_18TensorIteratorBaseEENKUlvE_clEvENKUlvE_clEvEUldE_St5arrayIPcLm2EELi4E23TrivialOffsetCalculatorILi1EjESC_NS0_6memory15LoadWithoutCastENSD_16StoreWithoutCastEEEviT_T0_T2_T3_T4_T5_.uses_vcc, 1
	.set _ZN2at6native27unrolled_elementwise_kernelIZZZNS0_12_GLOBAL__N_131spherical_bessel_j0_kernel_cudaERNS_18TensorIteratorBaseEENKUlvE_clEvENKUlvE_clEvEUldE_St5arrayIPcLm2EELi4E23TrivialOffsetCalculatorILi1EjESC_NS0_6memory15LoadWithoutCastENSD_16StoreWithoutCastEEEviT_T0_T2_T3_T4_T5_.uses_flat_scratch, 0
	.set _ZN2at6native27unrolled_elementwise_kernelIZZZNS0_12_GLOBAL__N_131spherical_bessel_j0_kernel_cudaERNS_18TensorIteratorBaseEENKUlvE_clEvENKUlvE_clEvEUldE_St5arrayIPcLm2EELi4E23TrivialOffsetCalculatorILi1EjESC_NS0_6memory15LoadWithoutCastENSD_16StoreWithoutCastEEEviT_T0_T2_T3_T4_T5_.has_dyn_sized_stack, 0
	.set _ZN2at6native27unrolled_elementwise_kernelIZZZNS0_12_GLOBAL__N_131spherical_bessel_j0_kernel_cudaERNS_18TensorIteratorBaseEENKUlvE_clEvENKUlvE_clEvEUldE_St5arrayIPcLm2EELi4E23TrivialOffsetCalculatorILi1EjESC_NS0_6memory15LoadWithoutCastENSD_16StoreWithoutCastEEEviT_T0_T2_T3_T4_T5_.has_recursion, 0
	.set _ZN2at6native27unrolled_elementwise_kernelIZZZNS0_12_GLOBAL__N_131spherical_bessel_j0_kernel_cudaERNS_18TensorIteratorBaseEENKUlvE_clEvENKUlvE_clEvEUldE_St5arrayIPcLm2EELi4E23TrivialOffsetCalculatorILi1EjESC_NS0_6memory15LoadWithoutCastENSD_16StoreWithoutCastEEEviT_T0_T2_T3_T4_T5_.has_indirect_call, 0
	.section	.AMDGPU.csdata,"",@progbits
; Kernel info:
; codeLenInByte = 7224
; TotalNumSgprs: 22
; NumVgprs: 47
; ScratchSize: 0
; MemoryBound: 0
; FloatMode: 240
; IeeeMode: 1
; LDSByteSize: 0 bytes/workgroup (compile time only)
; SGPRBlocks: 2
; VGPRBlocks: 11
; NumSGPRsForWavesPerEU: 22
; NumVGPRsForWavesPerEU: 47
; Occupancy: 5
; WaveLimiterHint : 0
; COMPUTE_PGM_RSRC2:SCRATCH_EN: 0
; COMPUTE_PGM_RSRC2:USER_SGPR: 6
; COMPUTE_PGM_RSRC2:TRAP_HANDLER: 0
; COMPUTE_PGM_RSRC2:TGID_X_EN: 1
; COMPUTE_PGM_RSRC2:TGID_Y_EN: 0
; COMPUTE_PGM_RSRC2:TGID_Z_EN: 0
; COMPUTE_PGM_RSRC2:TIDIG_COMP_CNT: 0
	.section	.text._ZN2at6native32elementwise_kernel_manual_unrollILi128ELi4EZNS0_22gpu_kernel_impl_nocastIZZZNS0_12_GLOBAL__N_131spherical_bessel_j0_kernel_cudaERNS_18TensorIteratorBaseEENKUlvE_clEvENKUlvE_clEvEUldE_EEvS5_RKT_EUlibE_EEviT1_,"axG",@progbits,_ZN2at6native32elementwise_kernel_manual_unrollILi128ELi4EZNS0_22gpu_kernel_impl_nocastIZZZNS0_12_GLOBAL__N_131spherical_bessel_j0_kernel_cudaERNS_18TensorIteratorBaseEENKUlvE_clEvENKUlvE_clEvEUldE_EEvS5_RKT_EUlibE_EEviT1_,comdat
	.globl	_ZN2at6native32elementwise_kernel_manual_unrollILi128ELi4EZNS0_22gpu_kernel_impl_nocastIZZZNS0_12_GLOBAL__N_131spherical_bessel_j0_kernel_cudaERNS_18TensorIteratorBaseEENKUlvE_clEvENKUlvE_clEvEUldE_EEvS5_RKT_EUlibE_EEviT1_ ; -- Begin function _ZN2at6native32elementwise_kernel_manual_unrollILi128ELi4EZNS0_22gpu_kernel_impl_nocastIZZZNS0_12_GLOBAL__N_131spherical_bessel_j0_kernel_cudaERNS_18TensorIteratorBaseEENKUlvE_clEvENKUlvE_clEvEUldE_EEvS5_RKT_EUlibE_EEviT1_
	.p2align	8
	.type	_ZN2at6native32elementwise_kernel_manual_unrollILi128ELi4EZNS0_22gpu_kernel_impl_nocastIZZZNS0_12_GLOBAL__N_131spherical_bessel_j0_kernel_cudaERNS_18TensorIteratorBaseEENKUlvE_clEvENKUlvE_clEvEUldE_EEvS5_RKT_EUlibE_EEviT1_,@function
_ZN2at6native32elementwise_kernel_manual_unrollILi128ELi4EZNS0_22gpu_kernel_impl_nocastIZZZNS0_12_GLOBAL__N_131spherical_bessel_j0_kernel_cudaERNS_18TensorIteratorBaseEENKUlvE_clEvENKUlvE_clEvEUldE_EEvS5_RKT_EUlibE_EEviT1_: ; @_ZN2at6native32elementwise_kernel_manual_unrollILi128ELi4EZNS0_22gpu_kernel_impl_nocastIZZZNS0_12_GLOBAL__N_131spherical_bessel_j0_kernel_cudaERNS_18TensorIteratorBaseEENKUlvE_clEvENKUlvE_clEvEUldE_EEvS5_RKT_EUlibE_EEviT1_
; %bb.0:
	s_load_dword s55, s[4:5], 0x0
	s_load_dword s33, s[4:5], 0x8
	s_add_u32 s34, s4, 8
	s_addc_u32 s35, s5, 0
	v_lshl_or_b32 v7, s6, 9, v0
	v_or_b32_e32 v11, 0x180, v7
	s_waitcnt lgkmcnt(0)
	s_add_i32 s54, s33, -1
	s_cmp_gt_u32 s54, 1
	v_cmp_le_i32_e32 vcc, s55, v11
	s_cselect_b64 s[36:37], -1, 0
	s_and_saveexec_b64 s[0:1], vcc
	s_xor_b64 s[38:39], exec, s[0:1]
	s_cbranch_execz .LBB5_7
; %bb.1:
	s_load_dwordx4 s[24:27], s[34:35], 0x4
	s_load_dwordx2 s[40:41], s[34:35], 0x14
	s_load_dwordx4 s[20:23], s[34:35], 0xc4
	s_load_dwordx4 s[16:19], s[34:35], 0x148
	s_cmp_lg_u32 s33, 0
	s_cselect_b64 s[46:47], -1, 0
	s_add_u32 s44, s34, 0xc4
	s_addc_u32 s45, s35, 0
	s_min_u32 s56, s54, 15
	s_cmp_gt_u32 s33, 1
	s_cselect_b64 s[42:43], -1, 0
	v_cmp_gt_i32_e32 vcc, s55, v7
	s_and_saveexec_b64 s[48:49], vcc
	s_cbranch_execz .LBB5_14
; %bb.2:
	s_andn2_b64 vcc, exec, s[36:37]
	s_cbranch_vccnz .LBB5_21
; %bb.3:
	s_andn2_b64 vcc, exec, s[46:47]
	s_cbranch_vccnz .LBB5_113
; %bb.4:
	s_add_i32 s58, s56, 1
	s_cmp_eq_u32 s54, 2
	s_cbranch_scc1 .LBB5_115
; %bb.5:
	s_and_b32 s57, s58, 28
	v_mov_b32_e32 v2, 0
	s_mov_b32 s59, 0
	s_mov_b64 s[50:51], s[34:35]
	s_mov_b64 s[52:53], s[44:45]
	v_mov_b32_e32 v0, 0
	v_mov_b32_e32 v1, v7
.LBB5_6:                                ; =>This Inner Loop Header: Depth=1
	s_load_dwordx8 s[8:15], s[50:51], 0x4
	s_load_dwordx4 s[28:31], s[50:51], 0x24
	s_load_dwordx8 s[0:7], s[52:53], 0x0
	s_add_u32 s50, s50, 48
	s_addc_u32 s51, s51, 0
	s_waitcnt lgkmcnt(0)
	v_mul_hi_u32 v3, s9, v1
	s_add_i32 s59, s59, 4
	s_add_u32 s52, s52, 32
	s_addc_u32 s53, s53, 0
	v_add_u32_e32 v3, v1, v3
	v_lshrrev_b32_e32 v3, s10, v3
	v_mul_lo_u32 v4, v3, s8
	v_mul_hi_u32 v5, s12, v3
	s_cmp_lg_u32 s57, s59
	v_sub_u32_e32 v1, v1, v4
	v_add_u32_e32 v4, v3, v5
	v_mul_lo_u32 v5, v1, s0
	v_mul_lo_u32 v6, v1, s1
	v_lshrrev_b32_e32 v1, s13, v4
	v_mul_lo_u32 v4, v1, s11
	v_mul_hi_u32 v8, s15, v1
	v_sub_u32_e32 v3, v3, v4
	v_add_u32_e32 v4, v1, v8
	v_lshrrev_b32_e32 v4, s28, v4
	v_mul_hi_u32 v9, s30, v4
	v_mul_lo_u32 v10, v4, s14
	v_mul_lo_u32 v8, v3, s2
	;; [unrolled: 1-line block ×3, first 2 shown]
	v_sub_u32_e32 v10, v1, v10
	v_add_u32_e32 v1, v4, v9
	v_lshrrev_b32_e32 v1, s31, v1
	v_mul_lo_u32 v9, v1, s29
	v_mul_lo_u32 v11, v10, s4
	;; [unrolled: 1-line block ×3, first 2 shown]
	v_add3_u32 v0, v5, v0, v8
	v_sub_u32_e32 v4, v4, v9
	v_mul_lo_u32 v9, v4, s6
	v_mul_lo_u32 v4, v4, s7
	v_add3_u32 v2, v6, v2, v3
	v_add3_u32 v0, v11, v0, v9
	;; [unrolled: 1-line block ×3, first 2 shown]
	s_cbranch_scc1 .LBB5_6
	s_branch .LBB5_116
.LBB5_7:
	s_andn2_saveexec_b64 s[0:1], s[38:39]
	s_cbranch_execz .LBB5_161
.LBB5_8:
	v_cndmask_b32_e64 v0, 0, 1, s[36:37]
	v_cmp_ne_u32_e64 s[0:1], 1, v0
	s_andn2_b64 vcc, exec, s[36:37]
	s_cbranch_vccnz .LBB5_20
; %bb.9:
	s_cmp_lg_u32 s33, 0
	s_waitcnt lgkmcnt(0)
	s_mov_b32 s26, 0
	s_cbranch_scc0 .LBB5_23
; %bb.10:
	s_min_u32 s27, s54, 15
	s_add_i32 s27, s27, 1
	s_cmp_eq_u32 s54, 2
	s_cbranch_scc1 .LBB5_24
; %bb.11:
	s_and_b32 s26, s27, 28
	s_add_u32 s2, s34, 0xc4
	s_addc_u32 s3, s35, 0
	v_mov_b32_e32 v9, 0
	s_mov_b32 s28, 0
	s_mov_b64 s[24:25], s[34:35]
	v_mov_b32_e32 v0, 0
	v_mov_b32_e32 v1, v7
.LBB5_12:                               ; =>This Inner Loop Header: Depth=1
	s_load_dwordx8 s[12:19], s[24:25], 0x4
	s_load_dwordx4 s[20:23], s[24:25], 0x24
	s_load_dwordx8 s[4:11], s[2:3], 0x0
	s_add_u32 s24, s24, 48
	s_addc_u32 s25, s25, 0
	s_waitcnt lgkmcnt(0)
	v_mul_hi_u32 v2, s13, v1
	s_add_i32 s28, s28, 4
	s_add_u32 s2, s2, 32
	s_addc_u32 s3, s3, 0
	v_add_u32_e32 v2, v1, v2
	v_lshrrev_b32_e32 v2, s14, v2
	v_mul_lo_u32 v3, v2, s12
	v_mul_hi_u32 v4, s16, v2
	s_cmp_lg_u32 s26, s28
	v_sub_u32_e32 v1, v1, v3
	v_add_u32_e32 v3, v2, v4
	v_mul_lo_u32 v4, v1, s4
	v_mul_lo_u32 v5, v1, s5
	v_lshrrev_b32_e32 v1, s17, v3
	v_mul_lo_u32 v3, v1, s15
	v_mul_hi_u32 v6, s19, v1
	v_sub_u32_e32 v2, v2, v3
	v_add_u32_e32 v3, v1, v6
	v_lshrrev_b32_e32 v3, s20, v3
	v_mul_hi_u32 v8, s22, v3
	v_mul_lo_u32 v10, v3, s18
	v_mul_lo_u32 v6, v2, s6
	;; [unrolled: 1-line block ×3, first 2 shown]
	v_sub_u32_e32 v10, v1, v10
	v_add_u32_e32 v1, v3, v8
	v_lshrrev_b32_e32 v1, s23, v1
	v_mul_lo_u32 v8, v1, s21
	v_mul_lo_u32 v12, v10, s8
	;; [unrolled: 1-line block ×3, first 2 shown]
	v_add3_u32 v0, v4, v0, v6
	v_sub_u32_e32 v3, v3, v8
	v_mul_lo_u32 v8, v3, s10
	v_mul_lo_u32 v3, v3, s11
	v_add3_u32 v2, v5, v9, v2
	v_add3_u32 v0, v12, v0, v8
	;; [unrolled: 1-line block ×3, first 2 shown]
	s_cbranch_scc1 .LBB5_12
; %bb.13:
	s_and_b32 s6, s27, 3
	s_cmp_eq_u32 s6, 0
	s_cbranch_scc0 .LBB5_25
	s_branch .LBB5_27
.LBB5_14:
	s_or_b64 exec, exec, s[48:49]
	v_cmp_gt_i32_e32 vcc, s55, v7
	s_and_saveexec_b64 s[48:49], vcc
	s_cbranch_execz .LBB5_133
.LBB5_15:
	s_andn2_b64 vcc, exec, s[36:37]
	s_cbranch_vccnz .LBB5_22
; %bb.16:
	s_andn2_b64 vcc, exec, s[46:47]
	s_cbranch_vccnz .LBB5_114
; %bb.17:
	s_add_i32 s58, s56, 1
	s_cmp_eq_u32 s54, 2
	s_cbranch_scc1 .LBB5_141
; %bb.18:
	s_and_b32 s57, s58, 28
	v_mov_b32_e32 v2, 0
	s_mov_b32 s59, 0
	s_mov_b64 s[50:51], s[34:35]
	s_mov_b64 s[52:53], s[44:45]
	v_mov_b32_e32 v0, 0
	v_mov_b32_e32 v1, v7
.LBB5_19:                               ; =>This Inner Loop Header: Depth=1
	s_load_dwordx8 s[8:15], s[50:51], 0x4
	s_load_dwordx4 s[28:31], s[50:51], 0x24
	s_load_dwordx8 s[0:7], s[52:53], 0x0
	s_add_u32 s50, s50, 48
	s_addc_u32 s51, s51, 0
	s_waitcnt lgkmcnt(0)
	v_mul_hi_u32 v3, s9, v1
	s_add_i32 s59, s59, 4
	s_add_u32 s52, s52, 32
	s_addc_u32 s53, s53, 0
	v_add_u32_e32 v3, v1, v3
	v_lshrrev_b32_e32 v3, s10, v3
	v_mul_lo_u32 v4, v3, s8
	v_mul_hi_u32 v5, s12, v3
	s_cmp_eq_u32 s57, s59
	v_sub_u32_e32 v1, v1, v4
	v_add_u32_e32 v4, v3, v5
	v_mul_lo_u32 v5, v1, s0
	v_mul_lo_u32 v6, v1, s1
	v_lshrrev_b32_e32 v1, s13, v4
	v_mul_lo_u32 v4, v1, s11
	v_mul_hi_u32 v8, s15, v1
	v_sub_u32_e32 v3, v3, v4
	v_add_u32_e32 v4, v1, v8
	v_lshrrev_b32_e32 v4, s28, v4
	v_mul_hi_u32 v9, s30, v4
	v_mul_lo_u32 v10, v4, s14
	v_mul_lo_u32 v8, v3, s2
	;; [unrolled: 1-line block ×3, first 2 shown]
	v_sub_u32_e32 v10, v1, v10
	v_add_u32_e32 v1, v4, v9
	v_lshrrev_b32_e32 v1, s31, v1
	v_mul_lo_u32 v9, v1, s29
	v_mul_lo_u32 v11, v10, s4
	;; [unrolled: 1-line block ×3, first 2 shown]
	v_add3_u32 v0, v5, v0, v8
	v_sub_u32_e32 v4, v4, v9
	v_mul_lo_u32 v9, v4, s6
	v_mul_lo_u32 v4, v4, s7
	v_add3_u32 v2, v6, v2, v3
	v_add3_u32 v0, v11, v0, v9
	;; [unrolled: 1-line block ×3, first 2 shown]
	s_cbranch_scc0 .LBB5_19
	s_branch .LBB5_142
.LBB5_20:
                                        ; implicit-def: $vgpr0
                                        ; implicit-def: $vgpr9
	s_branch .LBB5_28
.LBB5_21:
                                        ; implicit-def: $vgpr0
                                        ; implicit-def: $vgpr2
	s_branch .LBB5_120
.LBB5_22:
                                        ; implicit-def: $vgpr0
                                        ; implicit-def: $vgpr2
	s_branch .LBB5_146
.LBB5_23:
	v_mov_b32_e32 v0, 0
	v_mov_b32_e32 v9, 0
	s_branch .LBB5_27
.LBB5_24:
	v_mov_b32_e32 v0, 0
	v_mov_b32_e32 v9, 0
	;; [unrolled: 1-line block ×3, first 2 shown]
	s_and_b32 s6, s27, 3
	s_cmp_eq_u32 s6, 0
	s_cbranch_scc1 .LBB5_27
.LBB5_25:
	s_lshl_b32 s2, s26, 3
	s_add_u32 s2, s34, s2
	s_addc_u32 s3, s35, 0
	s_add_u32 s2, s2, 0xc4
	s_addc_u32 s3, s3, 0
	s_mul_i32 s4, s26, 12
	s_add_u32 s4, s34, s4
	s_addc_u32 s5, s35, 0
.LBB5_26:                               ; =>This Inner Loop Header: Depth=1
	s_load_dwordx2 s[8:9], s[4:5], 0x4
	s_load_dword s7, s[4:5], 0xc
	s_load_dwordx2 s[10:11], s[2:3], 0x0
	s_add_u32 s4, s4, 12
	s_addc_u32 s5, s5, 0
	s_waitcnt lgkmcnt(0)
	v_mul_hi_u32 v2, s9, v1
	s_add_u32 s2, s2, 8
	s_addc_u32 s3, s3, 0
	s_add_i32 s6, s6, -1
	v_add_u32_e32 v2, v1, v2
	v_lshrrev_b32_e32 v2, s7, v2
	v_mul_lo_u32 v3, v2, s8
	s_cmp_lg_u32 s6, 0
	v_sub_u32_e32 v3, v1, v3
	v_mad_u64_u32 v[0:1], s[8:9], v3, s10, v[0:1]
	v_mad_u64_u32 v[9:10], s[8:9], v3, s11, v[9:10]
	v_mov_b32_e32 v1, v2
	s_cbranch_scc1 .LBB5_26
.LBB5_27:
	s_cbranch_execnz .LBB5_30
.LBB5_28:
	s_load_dwordx4 s[4:7], s[34:35], 0x4
	s_load_dwordx2 s[2:3], s[34:35], 0xc4
	s_cmp_lt_u32 s33, 2
	s_waitcnt lgkmcnt(0)
	v_mul_hi_u32 v0, s5, v7
	v_add_u32_e32 v0, v7, v0
	v_lshrrev_b32_e32 v1, s6, v0
	v_mul_lo_u32 v0, v1, s4
	v_sub_u32_e32 v2, v7, v0
	v_mul_lo_u32 v0, v2, s2
	v_mul_lo_u32 v9, v2, s3
	s_cbranch_scc1 .LBB5_30
; %bb.29:
	s_load_dwordx4 s[4:7], s[34:35], 0x10
	s_load_dwordx2 s[2:3], s[34:35], 0xcc
	s_waitcnt lgkmcnt(0)
	v_mul_hi_u32 v2, s5, v1
	v_add_u32_e32 v2, v1, v2
	v_lshrrev_b32_e32 v2, s6, v2
	v_mul_lo_u32 v2, v2, s4
	v_sub_u32_e32 v2, v1, v2
	v_mad_u64_u32 v[0:1], s[4:5], v2, s2, v[0:1]
	v_mad_u64_u32 v[9:10], s[2:3], v2, s3, v[9:10]
.LBB5_30:
	s_and_b64 vcc, exec, s[0:1]
	v_add_u32_e32 v3, 0x80, v7
	s_cbranch_vccnz .LBB5_36
; %bb.31:
	s_cmp_lg_u32 s33, 0
	s_waitcnt lgkmcnt(0)
	s_mov_b32 s26, 0
	s_cbranch_scc0 .LBB5_37
; %bb.32:
	s_min_u32 s27, s54, 15
	s_add_i32 s27, s27, 1
	s_cmp_eq_u32 s54, 2
	s_cbranch_scc1 .LBB5_38
; %bb.33:
	s_and_b32 s26, s27, 28
	s_add_u32 s2, s34, 0xc4
	s_addc_u32 s3, s35, 0
	v_mov_b32_e32 v12, 0
	s_mov_b32 s28, 0
	s_mov_b64 s[24:25], s[34:35]
	v_mov_b32_e32 v1, 0
	v_mov_b32_e32 v2, v3
.LBB5_34:                               ; =>This Inner Loop Header: Depth=1
	s_load_dwordx8 s[12:19], s[24:25], 0x4
	s_load_dwordx4 s[20:23], s[24:25], 0x24
	s_load_dwordx8 s[4:11], s[2:3], 0x0
	s_add_u32 s24, s24, 48
	s_addc_u32 s25, s25, 0
	s_waitcnt lgkmcnt(0)
	v_mul_hi_u32 v4, s13, v2
	s_add_i32 s28, s28, 4
	s_add_u32 s2, s2, 32
	s_addc_u32 s3, s3, 0
	v_add_u32_e32 v4, v2, v4
	v_lshrrev_b32_e32 v4, s14, v4
	v_mul_lo_u32 v5, v4, s12
	v_mul_hi_u32 v6, s16, v4
	s_cmp_lg_u32 s26, s28
	v_sub_u32_e32 v2, v2, v5
	v_add_u32_e32 v5, v4, v6
	v_mul_lo_u32 v6, v2, s4
	v_mul_lo_u32 v8, v2, s5
	v_lshrrev_b32_e32 v2, s17, v5
	v_mul_lo_u32 v5, v2, s15
	v_mul_hi_u32 v10, s19, v2
	v_sub_u32_e32 v4, v4, v5
	v_add_u32_e32 v5, v2, v10
	v_lshrrev_b32_e32 v5, s20, v5
	v_mul_hi_u32 v13, s22, v5
	v_mul_lo_u32 v14, v5, s18
	v_mul_lo_u32 v10, v4, s6
	;; [unrolled: 1-line block ×3, first 2 shown]
	v_sub_u32_e32 v14, v2, v14
	v_add_u32_e32 v2, v5, v13
	v_lshrrev_b32_e32 v2, s23, v2
	v_mul_lo_u32 v13, v2, s21
	v_mul_lo_u32 v15, v14, s8
	;; [unrolled: 1-line block ×3, first 2 shown]
	v_add3_u32 v1, v6, v1, v10
	v_sub_u32_e32 v5, v5, v13
	v_mul_lo_u32 v13, v5, s10
	v_mul_lo_u32 v5, v5, s11
	v_add3_u32 v4, v8, v12, v4
	v_add3_u32 v1, v15, v1, v13
	;; [unrolled: 1-line block ×3, first 2 shown]
	s_cbranch_scc1 .LBB5_34
; %bb.35:
	s_and_b32 s6, s27, 3
	s_cmp_eq_u32 s6, 0
	s_cbranch_scc0 .LBB5_39
	s_branch .LBB5_41
.LBB5_36:
                                        ; implicit-def: $vgpr1
                                        ; implicit-def: $vgpr12
	s_branch .LBB5_42
.LBB5_37:
	v_mov_b32_e32 v1, 0
	v_mov_b32_e32 v12, 0
	s_branch .LBB5_41
.LBB5_38:
	v_mov_b32_e32 v1, 0
	v_mov_b32_e32 v12, 0
	;; [unrolled: 1-line block ×3, first 2 shown]
	s_and_b32 s6, s27, 3
	s_cmp_eq_u32 s6, 0
	s_cbranch_scc1 .LBB5_41
.LBB5_39:
	s_lshl_b32 s2, s26, 3
	s_add_u32 s2, s34, s2
	s_addc_u32 s3, s35, 0
	s_add_u32 s2, s2, 0xc4
	s_addc_u32 s3, s3, 0
	s_mul_i32 s4, s26, 12
	s_add_u32 s4, s34, s4
	s_addc_u32 s5, s35, 0
.LBB5_40:                               ; =>This Inner Loop Header: Depth=1
	s_load_dwordx2 s[8:9], s[4:5], 0x4
	s_load_dword s7, s[4:5], 0xc
	s_load_dwordx2 s[10:11], s[2:3], 0x0
	s_add_u32 s4, s4, 12
	s_addc_u32 s5, s5, 0
	s_waitcnt lgkmcnt(0)
	v_mul_hi_u32 v4, s9, v2
	s_add_u32 s2, s2, 8
	s_addc_u32 s3, s3, 0
	s_add_i32 s6, s6, -1
	v_add_u32_e32 v4, v2, v4
	v_lshrrev_b32_e32 v4, s7, v4
	v_mul_lo_u32 v5, v4, s8
	s_cmp_lg_u32 s6, 0
	v_sub_u32_e32 v5, v2, v5
	v_mad_u64_u32 v[1:2], s[8:9], v5, s10, v[1:2]
	v_mad_u64_u32 v[12:13], s[8:9], v5, s11, v[12:13]
	v_mov_b32_e32 v2, v4
	s_cbranch_scc1 .LBB5_40
.LBB5_41:
	s_cbranch_execnz .LBB5_44
.LBB5_42:
	s_load_dwordx4 s[4:7], s[34:35], 0x4
	s_load_dwordx2 s[2:3], s[34:35], 0xc4
	s_cmp_lt_u32 s33, 2
	s_waitcnt lgkmcnt(0)
	v_mul_hi_u32 v1, s5, v3
	v_add_u32_e32 v1, v3, v1
	v_lshrrev_b32_e32 v2, s6, v1
	v_mul_lo_u32 v1, v2, s4
	v_sub_u32_e32 v3, v3, v1
	v_mul_lo_u32 v1, v3, s2
	v_mul_lo_u32 v12, v3, s3
	s_cbranch_scc1 .LBB5_44
; %bb.43:
	s_load_dwordx4 s[4:7], s[34:35], 0x10
	s_load_dwordx2 s[2:3], s[34:35], 0xcc
	s_waitcnt lgkmcnt(0)
	v_mul_hi_u32 v3, s5, v2
	v_add_u32_e32 v3, v2, v3
	v_lshrrev_b32_e32 v3, s6, v3
	v_mul_lo_u32 v3, v3, s4
	v_sub_u32_e32 v3, v2, v3
	v_mad_u64_u32 v[1:2], s[4:5], v3, s2, v[1:2]
	v_mad_u64_u32 v[12:13], s[2:3], v3, s3, v[12:13]
.LBB5_44:
	s_and_b64 vcc, exec, s[0:1]
	v_add_u32_e32 v4, 0x100, v7
	s_cbranch_vccnz .LBB5_50
; %bb.45:
	s_cmp_lg_u32 s33, 0
	s_waitcnt lgkmcnt(0)
	s_mov_b32 s26, 0
	s_cbranch_scc0 .LBB5_51
; %bb.46:
	s_min_u32 s27, s54, 15
	s_add_i32 s27, s27, 1
	s_cmp_eq_u32 s54, 2
	s_cbranch_scc1 .LBB5_52
; %bb.47:
	s_and_b32 s26, s27, 28
	s_add_u32 s2, s34, 0xc4
	s_addc_u32 s3, s35, 0
	v_mov_b32_e32 v7, 0
	s_mov_b32 s28, 0
	s_mov_b64 s[24:25], s[34:35]
	v_mov_b32_e32 v2, 0
	v_mov_b32_e32 v3, v4
.LBB5_48:                               ; =>This Inner Loop Header: Depth=1
	s_load_dwordx8 s[12:19], s[24:25], 0x4
	s_load_dwordx4 s[20:23], s[24:25], 0x24
	s_load_dwordx8 s[4:11], s[2:3], 0x0
	s_add_u32 s24, s24, 48
	s_addc_u32 s25, s25, 0
	s_waitcnt lgkmcnt(0)
	v_mul_hi_u32 v5, s13, v3
	s_add_i32 s28, s28, 4
	s_add_u32 s2, s2, 32
	s_addc_u32 s3, s3, 0
	v_add_u32_e32 v5, v3, v5
	v_lshrrev_b32_e32 v5, s14, v5
	v_mul_lo_u32 v6, v5, s12
	v_mul_hi_u32 v8, s16, v5
	s_cmp_lg_u32 s26, s28
	v_sub_u32_e32 v3, v3, v6
	v_add_u32_e32 v6, v5, v8
	v_mul_lo_u32 v8, v3, s4
	v_mul_lo_u32 v10, v3, s5
	v_lshrrev_b32_e32 v3, s17, v6
	v_mul_lo_u32 v6, v3, s15
	v_mul_hi_u32 v13, s19, v3
	v_sub_u32_e32 v5, v5, v6
	v_add_u32_e32 v6, v3, v13
	v_lshrrev_b32_e32 v6, s20, v6
	v_mul_hi_u32 v14, s22, v6
	v_mul_lo_u32 v15, v6, s18
	v_mul_lo_u32 v13, v5, s6
	;; [unrolled: 1-line block ×3, first 2 shown]
	v_sub_u32_e32 v15, v3, v15
	v_add_u32_e32 v3, v6, v14
	v_lshrrev_b32_e32 v3, s23, v3
	v_mul_lo_u32 v14, v3, s21
	v_mul_lo_u32 v16, v15, s8
	;; [unrolled: 1-line block ×3, first 2 shown]
	v_add3_u32 v2, v8, v2, v13
	v_sub_u32_e32 v6, v6, v14
	v_mul_lo_u32 v14, v6, s10
	v_mul_lo_u32 v6, v6, s11
	v_add3_u32 v5, v10, v7, v5
	v_add3_u32 v2, v16, v2, v14
	;; [unrolled: 1-line block ×3, first 2 shown]
	s_cbranch_scc1 .LBB5_48
; %bb.49:
	s_and_b32 s6, s27, 3
	s_cmp_eq_u32 s6, 0
	s_cbranch_scc0 .LBB5_53
	s_branch .LBB5_55
.LBB5_50:
                                        ; implicit-def: $vgpr2
                                        ; implicit-def: $vgpr7
	s_branch .LBB5_56
.LBB5_51:
	v_mov_b32_e32 v2, 0
	v_mov_b32_e32 v7, 0
	s_branch .LBB5_55
.LBB5_52:
	v_mov_b32_e32 v2, 0
	v_mov_b32_e32 v7, 0
	v_mov_b32_e32 v3, v4
	s_and_b32 s6, s27, 3
	s_cmp_eq_u32 s6, 0
	s_cbranch_scc1 .LBB5_55
.LBB5_53:
	s_lshl_b32 s2, s26, 3
	s_add_u32 s2, s34, s2
	s_addc_u32 s3, s35, 0
	s_add_u32 s2, s2, 0xc4
	s_addc_u32 s3, s3, 0
	s_mul_i32 s4, s26, 12
	s_add_u32 s4, s34, s4
	s_addc_u32 s5, s35, 0
.LBB5_54:                               ; =>This Inner Loop Header: Depth=1
	s_load_dwordx2 s[8:9], s[4:5], 0x4
	s_load_dword s7, s[4:5], 0xc
	s_load_dwordx2 s[10:11], s[2:3], 0x0
	s_add_u32 s4, s4, 12
	s_addc_u32 s5, s5, 0
	s_waitcnt lgkmcnt(0)
	v_mul_hi_u32 v5, s9, v3
	s_add_u32 s2, s2, 8
	s_addc_u32 s3, s3, 0
	s_add_i32 s6, s6, -1
	v_add_u32_e32 v5, v3, v5
	v_lshrrev_b32_e32 v5, s7, v5
	v_mul_lo_u32 v6, v5, s8
	s_cmp_lg_u32 s6, 0
	v_sub_u32_e32 v6, v3, v6
	v_mad_u64_u32 v[2:3], s[8:9], v6, s10, v[2:3]
	v_mad_u64_u32 v[7:8], s[8:9], v6, s11, v[7:8]
	v_mov_b32_e32 v3, v5
	s_cbranch_scc1 .LBB5_54
.LBB5_55:
	s_cbranch_execnz .LBB5_58
.LBB5_56:
	s_load_dwordx4 s[4:7], s[34:35], 0x4
	s_load_dwordx2 s[2:3], s[34:35], 0xc4
	s_cmp_lt_u32 s33, 2
	s_waitcnt lgkmcnt(0)
	v_mul_hi_u32 v2, s5, v4
	v_add_u32_e32 v2, v4, v2
	v_lshrrev_b32_e32 v3, s6, v2
	v_mul_lo_u32 v2, v3, s4
	v_sub_u32_e32 v4, v4, v2
	v_mul_lo_u32 v2, v4, s2
	v_mul_lo_u32 v7, v4, s3
	s_cbranch_scc1 .LBB5_58
; %bb.57:
	s_load_dwordx4 s[4:7], s[34:35], 0x10
	s_load_dwordx2 s[2:3], s[34:35], 0xcc
	s_waitcnt lgkmcnt(0)
	v_mul_hi_u32 v4, s5, v3
	v_add_u32_e32 v4, v3, v4
	v_lshrrev_b32_e32 v4, s6, v4
	v_mul_lo_u32 v4, v4, s4
	v_sub_u32_e32 v4, v3, v4
	v_mad_u64_u32 v[2:3], s[4:5], v4, s2, v[2:3]
	v_mad_u64_u32 v[7:8], s[2:3], v4, s3, v[7:8]
.LBB5_58:
	s_and_b64 vcc, exec, s[0:1]
	s_cbranch_vccnz .LBB5_64
; %bb.59:
	s_cmp_lg_u32 s33, 0
	s_waitcnt lgkmcnt(0)
	s_mov_b32 s24, 0
	s_cbranch_scc0 .LBB5_65
; %bb.60:
	s_min_u32 s25, s54, 15
	s_add_i32 s25, s25, 1
	s_cmp_eq_u32 s54, 2
	s_cbranch_scc1 .LBB5_66
; %bb.61:
	s_and_b32 s24, s25, 28
	s_add_u32 s20, s34, 0xc4
	s_addc_u32 s21, s35, 0
	v_mov_b32_e32 v5, 0
	s_mov_b32 s26, 0
	s_mov_b64 s[22:23], s[34:35]
	v_mov_b32_e32 v3, 0
	v_mov_b32_e32 v4, v11
.LBB5_62:                               ; =>This Inner Loop Header: Depth=1
	s_load_dwordx8 s[8:15], s[22:23], 0x4
	s_load_dwordx4 s[16:19], s[22:23], 0x24
	s_load_dwordx8 s[0:7], s[20:21], 0x0
	s_add_u32 s22, s22, 48
	s_addc_u32 s23, s23, 0
	s_waitcnt lgkmcnt(0)
	v_mul_hi_u32 v6, s9, v4
	s_add_i32 s26, s26, 4
	s_add_u32 s20, s20, 32
	s_addc_u32 s21, s21, 0
	v_add_u32_e32 v6, v4, v6
	v_lshrrev_b32_e32 v6, s10, v6
	v_mul_lo_u32 v8, v6, s8
	v_mul_hi_u32 v10, s12, v6
	s_cmp_lg_u32 s24, s26
	v_sub_u32_e32 v4, v4, v8
	v_add_u32_e32 v8, v6, v10
	v_mul_lo_u32 v10, v4, s0
	v_mul_lo_u32 v13, v4, s1
	v_lshrrev_b32_e32 v4, s13, v8
	v_mul_lo_u32 v8, v4, s11
	v_mul_hi_u32 v14, s15, v4
	v_sub_u32_e32 v6, v6, v8
	v_add_u32_e32 v8, v4, v14
	v_lshrrev_b32_e32 v8, s16, v8
	v_mul_hi_u32 v15, s18, v8
	v_mul_lo_u32 v16, v8, s14
	v_mul_lo_u32 v14, v6, s2
	;; [unrolled: 1-line block ×3, first 2 shown]
	v_sub_u32_e32 v16, v4, v16
	v_add_u32_e32 v4, v8, v15
	v_lshrrev_b32_e32 v4, s19, v4
	v_mul_lo_u32 v15, v4, s17
	v_mul_lo_u32 v17, v16, s4
	;; [unrolled: 1-line block ×3, first 2 shown]
	v_add3_u32 v3, v10, v3, v14
	v_sub_u32_e32 v8, v8, v15
	v_mul_lo_u32 v15, v8, s6
	v_mul_lo_u32 v8, v8, s7
	v_add3_u32 v5, v13, v5, v6
	v_add3_u32 v3, v17, v3, v15
	;; [unrolled: 1-line block ×3, first 2 shown]
	s_cbranch_scc1 .LBB5_62
; %bb.63:
	s_and_b32 s4, s25, 3
	s_cmp_eq_u32 s4, 0
	s_cbranch_scc0 .LBB5_67
	s_branch .LBB5_69
.LBB5_64:
                                        ; implicit-def: $vgpr3
                                        ; implicit-def: $vgpr5
	s_branch .LBB5_70
.LBB5_65:
	v_mov_b32_e32 v3, 0
	v_mov_b32_e32 v5, 0
	s_branch .LBB5_69
.LBB5_66:
	v_mov_b32_e32 v3, 0
	v_mov_b32_e32 v5, 0
	;; [unrolled: 1-line block ×3, first 2 shown]
	s_and_b32 s4, s25, 3
	s_cmp_eq_u32 s4, 0
	s_cbranch_scc1 .LBB5_69
.LBB5_67:
	s_lshl_b32 s0, s24, 3
	s_add_u32 s0, s34, s0
	s_addc_u32 s1, s35, 0
	s_add_u32 s0, s0, 0xc4
	s_addc_u32 s1, s1, 0
	s_mul_i32 s2, s24, 12
	s_add_u32 s2, s34, s2
	s_addc_u32 s3, s35, 0
.LBB5_68:                               ; =>This Inner Loop Header: Depth=1
	s_load_dwordx2 s[6:7], s[2:3], 0x4
	s_load_dword s5, s[2:3], 0xc
	s_load_dwordx2 s[8:9], s[0:1], 0x0
	s_add_u32 s2, s2, 12
	s_addc_u32 s3, s3, 0
	s_waitcnt lgkmcnt(0)
	v_mul_hi_u32 v6, s7, v4
	s_add_u32 s0, s0, 8
	s_addc_u32 s1, s1, 0
	s_add_i32 s4, s4, -1
	v_add_u32_e32 v6, v4, v6
	v_lshrrev_b32_e32 v8, s5, v6
	v_mul_lo_u32 v6, v8, s6
	s_cmp_lg_u32 s4, 0
	v_sub_u32_e32 v6, v4, v6
	v_mad_u64_u32 v[3:4], s[6:7], v6, s8, v[3:4]
	v_mad_u64_u32 v[5:6], s[6:7], v6, s9, v[5:6]
	v_mov_b32_e32 v4, v8
	s_cbranch_scc1 .LBB5_68
.LBB5_69:
	s_cbranch_execnz .LBB5_72
.LBB5_70:
	s_load_dwordx4 s[0:3], s[34:35], 0x4
	s_load_dwordx2 s[4:5], s[34:35], 0xc4
	s_cmp_lt_u32 s33, 2
	s_waitcnt lgkmcnt(0)
	v_mul_hi_u32 v3, s1, v11
	v_add_u32_e32 v3, v11, v3
	v_lshrrev_b32_e32 v4, s2, v3
	v_mul_lo_u32 v3, v4, s0
	v_sub_u32_e32 v5, v11, v3
	v_mul_lo_u32 v3, v5, s4
	v_mul_lo_u32 v5, v5, s5
	s_cbranch_scc1 .LBB5_72
; %bb.71:
	s_load_dwordx4 s[0:3], s[34:35], 0x10
	s_load_dwordx2 s[4:5], s[34:35], 0xcc
	s_waitcnt lgkmcnt(0)
	v_mul_hi_u32 v6, s1, v4
	v_add_u32_e32 v6, v4, v6
	v_lshrrev_b32_e32 v6, s2, v6
	v_mul_lo_u32 v6, v6, s0
	v_sub_u32_e32 v6, v4, v6
	v_mad_u64_u32 v[3:4], s[0:1], v6, s4, v[3:4]
	v_mad_u64_u32 v[5:6], s[0:1], v6, s5, v[5:6]
.LBB5_72:
	s_load_dwordx4 s[4:7], s[34:35], 0x148
	s_mov_b32 s2, 0
	s_mov_b32 s3, 0x7ff00000
	v_mov_b32_e32 v10, 0
	v_mov_b32_e32 v11, 0
	s_waitcnt lgkmcnt(0)
	global_load_dwordx2 v[13:14], v9, s[6:7]
	v_mov_b32_e32 v8, 0
	v_mov_b32_e32 v9, 0
	s_waitcnt vmcnt(0)
	v_cmp_neq_f64_e64 s[0:1], |v[13:14]|, s[2:3]
	s_and_saveexec_b64 s[8:9], s[0:1]
	s_cbranch_execz .LBB5_82
; %bb.73:
	v_cmp_nlt_f64_e64 s[0:1], |v[13:14]|, 0.5
                                        ; implicit-def: $vgpr10_vgpr11
	s_and_saveexec_b64 s[10:11], s[0:1]
	s_xor_b64 s[10:11], exec, s[10:11]
	s_cbranch_execz .LBB5_79
; %bb.74:
	s_mov_b32 s0, 0
	s_mov_b32 s1, 0x41d00000
	v_cmp_nlt_f64_e64 s[0:1], |v[13:14]|, s[0:1]
                                        ; implicit-def: $vgpr4
                                        ; implicit-def: $vgpr10_vgpr11
                                        ; implicit-def: $vgpr15_vgpr16
	s_and_saveexec_b64 s[12:13], s[0:1]
	s_xor_b64 s[12:13], exec, s[12:13]
	s_cbranch_execz .LBB5_76
; %bb.75:
	v_trig_preop_f64 v[10:11], |v[13:14]|, 0
	s_mov_b32 s0, 0
	s_mov_b32 s1, 0x7b000000
	s_movk_i32 s14, 0xff80
	v_ldexp_f64 v[17:18], |v[13:14]|, s14
	v_cmp_ge_f64_e64 vcc, |v[13:14]|, s[0:1]
	v_trig_preop_f64 v[15:16], |v[13:14]|, 1
	v_and_b32_e32 v4, 0x7fffffff, v14
	v_trig_preop_f64 v[25:26], |v[13:14]|, 2
	s_mov_b32 s0, 0
	s_mov_b32 s1, 0x7ff00000
	v_mov_b32_e32 v35, 0
	v_mov_b32_e32 v6, 0x3ff00000
	v_cndmask_b32_e32 v18, v4, v18, vcc
	v_cndmask_b32_e32 v17, v13, v17, vcc
	v_mov_b32_e32 v4, 0x40100000
	v_mul_f64 v[19:20], v[10:11], v[17:18]
	s_mov_b32 s14, 0x33145c07
	s_mov_b32 s15, 0x3c91a626
	v_mul_f64 v[21:22], v[15:16], v[17:18]
	v_mul_f64 v[31:32], v[25:26], v[17:18]
	v_fma_f64 v[10:11], v[10:11], v[17:18], -v[19:20]
	v_fma_f64 v[15:16], v[15:16], v[17:18], -v[21:22]
	;; [unrolled: 1-line block ×3, first 2 shown]
	v_add_f64 v[23:24], v[21:22], v[10:11]
	v_add_f64 v[27:28], v[23:24], -v[21:22]
	v_add_f64 v[33:34], v[19:20], v[23:24]
	v_add_f64 v[29:30], v[23:24], -v[27:28]
	v_add_f64 v[10:11], v[10:11], -v[27:28]
	v_add_f64 v[27:28], v[31:32], v[15:16]
	v_add_f64 v[19:20], v[33:34], -v[19:20]
	v_add_f64 v[21:22], v[21:22], -v[29:30]
	v_ldexp_f64 v[29:30], v[33:34], -2
	v_add_f64 v[37:38], v[27:28], -v[31:32]
	v_add_f64 v[19:20], v[23:24], -v[19:20]
	v_add_f64 v[10:11], v[10:11], v[21:22]
	v_fract_f64_e32 v[21:22], v[29:30]
	v_cmp_neq_f64_e64 vcc, |v[29:30]|, s[0:1]
	v_add_f64 v[15:16], v[15:16], -v[37:38]
	v_add_f64 v[23:24], v[27:28], v[10:11]
	v_ldexp_f64 v[21:22], v[21:22], 2
	v_add_f64 v[29:30], v[19:20], v[23:24]
	v_cndmask_b32_e32 v22, 0, v22, vcc
	v_cndmask_b32_e32 v21, 0, v21, vcc
	v_add_f64 v[39:40], v[23:24], -v[27:28]
	v_add_f64 v[33:34], v[29:30], v[21:22]
	v_add_f64 v[19:20], v[29:30], -v[19:20]
	v_add_f64 v[41:42], v[23:24], -v[39:40]
	v_add_f64 v[10:11], v[10:11], -v[39:40]
	v_cmp_gt_f64_e32 vcc, 0, v[33:34]
	v_add_f64 v[33:34], v[27:28], -v[37:38]
	v_add_f64 v[19:20], v[23:24], -v[19:20]
	;; [unrolled: 1-line block ×3, first 2 shown]
	v_cndmask_b32_e32 v36, 0, v4, vcc
	v_add_f64 v[21:22], v[21:22], v[35:36]
	v_add_f64 v[33:34], v[31:32], -v[33:34]
	v_add_f64 v[10:11], v[10:11], v[27:28]
	v_add_f64 v[43:44], v[29:30], v[21:22]
	;; [unrolled: 1-line block ×3, first 2 shown]
	v_cvt_i32_f64_e32 v4, v[43:44]
	v_add_f64 v[10:11], v[15:16], v[10:11]
	v_cvt_f64_i32_e32 v[36:37], v4
	v_add_f64 v[21:22], v[21:22], -v[36:37]
	v_add_f64 v[10:11], v[17:18], v[10:11]
	v_add_f64 v[15:16], v[29:30], v[21:22]
	;; [unrolled: 1-line block ×3, first 2 shown]
	v_add_f64 v[17:18], v[15:16], -v[21:22]
	v_cmp_le_f64_e32 vcc, 0.5, v[15:16]
	v_add_f64 v[17:18], v[29:30], -v[17:18]
	v_cndmask_b32_e32 v36, 0, v6, vcc
	v_add_f64 v[15:16], v[15:16], -v[35:36]
	v_addc_co_u32_e64 v4, s[0:1], 0, v4, vcc
	s_mov_b32 s0, 0x54442d18
	s_mov_b32 s1, 0x3ff921fb
	v_add_f64 v[10:11], v[10:11], v[17:18]
	v_add_f64 v[17:18], v[15:16], v[10:11]
	v_mul_f64 v[19:20], v[17:18], s[0:1]
	v_add_f64 v[15:16], v[17:18], -v[15:16]
	v_fma_f64 v[21:22], v[17:18], s[0:1], -v[19:20]
	v_add_f64 v[10:11], v[10:11], -v[15:16]
	v_fma_f64 v[15:16], v[17:18], s[14:15], v[21:22]
	v_fma_f64 v[15:16], v[10:11], s[0:1], v[15:16]
	v_add_f64 v[10:11], v[19:20], v[15:16]
	v_add_f64 v[17:18], v[10:11], -v[19:20]
	v_add_f64 v[15:16], v[15:16], -v[17:18]
.LBB5_76:
	s_andn2_saveexec_b64 s[0:1], s[12:13]
	s_cbranch_execz .LBB5_78
; %bb.77:
	s_mov_b32 s12, 0x6dc9c883
	s_mov_b32 s13, 0x3fe45f30
	v_mul_f64 v[10:11], |v[13:14]|, s[12:13]
	s_mov_b32 s12, 0x54442d18
	s_mov_b32 s13, 0xbff921fb
	;; [unrolled: 1-line block ×4, first 2 shown]
	v_rndne_f64_e32 v[17:18], v[10:11]
	v_fma_f64 v[10:11], v[17:18], s[12:13], |v[13:14]|
	v_mul_f64 v[15:16], v[17:18], s[14:15]
	s_mov_b32 s12, 0x252049c0
	s_mov_b32 s13, 0xb97b839a
	v_cvt_i32_f64_e32 v4, v[17:18]
	v_fma_f64 v[23:24], v[17:18], s[14:15], v[10:11]
	v_add_f64 v[19:20], v[10:11], v[15:16]
	s_mov_b32 s15, 0x3c91a626
	v_add_f64 v[21:22], v[10:11], -v[19:20]
	v_add_f64 v[19:20], v[19:20], -v[23:24]
	v_add_f64 v[10:11], v[21:22], v[15:16]
	v_fma_f64 v[15:16], v[17:18], s[14:15], v[15:16]
	v_add_f64 v[10:11], v[19:20], v[10:11]
	v_add_f64 v[10:11], v[10:11], -v[15:16]
	v_fma_f64 v[15:16], v[17:18], s[12:13], v[10:11]
	v_add_f64 v[10:11], v[23:24], v[15:16]
	v_add_f64 v[19:20], v[10:11], -v[23:24]
	v_add_f64 v[15:16], v[15:16], -v[19:20]
.LBB5_78:
	s_or_b64 exec, exec, s[0:1]
	v_mul_f64 v[17:18], v[10:11], v[10:11]
	s_mov_b32 s0, 0xf9a43bb8
	v_mov_b32_e32 v20, 0xb42fdfa7
	v_mov_b32_e32 v21, 0xbe5ae600
	s_mov_b32 s1, 0x3de5e0b2
	s_mov_b32 s12, 0x796cde01
	v_mov_b32_e32 v19, 0x9037ab78
	s_mov_b32 s13, 0x3ec71de3
	v_fma_f64 v[21:22], v[17:18], s[0:1], v[20:21]
	s_mov_b32 s0, 0x46cc5e42
	v_mov_b32_e32 v20, 0x3e21eeb6
	s_mov_b32 s1, 0xbda907db
	v_fma_f64 v[19:20], v[17:18], s[0:1], v[19:20]
	v_mul_f64 v[23:24], v[17:18], 0.5
	s_mov_b32 s0, 0xa17f65f6
	s_mov_b32 s14, 0x19e83e5c
	v_fma_f64 v[21:22], v[17:18], v[21:22], s[12:13]
	s_mov_b32 s1, 0xbe927e4f
	s_mov_b32 s15, 0xbf2a01a0
	;; [unrolled: 1-line block ×3, first 2 shown]
	v_fma_f64 v[19:20], v[17:18], v[19:20], s[0:1]
	v_add_f64 v[25:26], -v[23:24], 1.0
	s_mov_b32 s0, 0x11110bb3
	s_mov_b32 s13, 0x3efa01a0
	v_fma_f64 v[21:22], v[17:18], v[21:22], s[14:15]
	s_mov_b32 s1, 0x3f811111
	v_mul_f64 v[27:28], v[15:16], 0.5
	v_mul_f64 v[29:30], v[10:11], -v[17:18]
	v_fma_f64 v[19:20], v[17:18], v[19:20], s[12:13]
	v_add_f64 v[31:32], -v[25:26], 1.0
	v_and_b32_e32 v6, 1, v4
	v_lshlrev_b32_e32 v4, 30, v4
	v_fma_f64 v[21:22], v[17:18], v[21:22], s[0:1]
	s_mov_b32 s0, 0x16c16967
	s_mov_b32 s1, 0xbf56c16c
	v_cmp_eq_u32_e32 vcc, 0, v6
	v_fma_f64 v[19:20], v[17:18], v[19:20], s[0:1]
	v_add_f64 v[23:24], v[31:32], -v[23:24]
	s_mov_b32 s1, 0x3fa55555
	s_mov_b32 s0, 0x55555555
	v_fma_f64 v[21:22], v[29:30], v[21:22], v[27:28]
	v_mul_f64 v[27:28], v[17:18], v[17:18]
	v_xor_b32_e32 v4, v4, v14
	v_and_b32_e32 v4, 0x80000000, v4
	v_fma_f64 v[19:20], v[17:18], v[19:20], s[0:1]
	v_fma_f64 v[23:24], v[10:11], -v[15:16], v[23:24]
	s_mov_b32 s1, 0xbfc55555
	v_fma_f64 v[15:16], v[17:18], v[21:22], -v[15:16]
	v_fma_f64 v[17:18], v[27:28], v[19:20], v[23:24]
	v_fma_f64 v[15:16], v[29:30], s[0:1], v[15:16]
	s_movk_i32 s0, 0x1f8
	v_cmp_class_f64_e64 s[0:1], v[13:14], s0
	v_add_f64 v[17:18], v[25:26], v[17:18]
	v_add_f64 v[10:11], v[10:11], -v[15:16]
	v_mov_b32_e32 v15, 0x7ff80000
	v_cndmask_b32_e32 v6, v17, v10, vcc
	v_cndmask_b32_e32 v10, v18, v11, vcc
	v_xor_b32_e32 v4, v10, v4
	v_cndmask_b32_e64 v10, 0, v6, s[0:1]
	v_cndmask_b32_e64 v11, v15, v4, s[0:1]
	v_div_scale_f64 v[15:16], s[0:1], v[13:14], v[13:14], v[10:11]
	v_div_scale_f64 v[21:22], vcc, v[10:11], v[13:14], v[10:11]
	v_rcp_f64_e32 v[17:18], v[15:16]
	v_fma_f64 v[19:20], -v[15:16], v[17:18], 1.0
	v_fma_f64 v[17:18], v[17:18], v[19:20], v[17:18]
	v_fma_f64 v[19:20], -v[15:16], v[17:18], 1.0
	v_fma_f64 v[17:18], v[17:18], v[19:20], v[17:18]
	v_mul_f64 v[19:20], v[21:22], v[17:18]
	v_fma_f64 v[15:16], -v[15:16], v[19:20], v[21:22]
	v_div_fmas_f64 v[15:16], v[15:16], v[17:18], v[19:20]
	v_div_fixup_f64 v[10:11], v[15:16], v[13:14], v[10:11]
                                        ; implicit-def: $vgpr13_vgpr14
.LBB5_79:
	s_andn2_saveexec_b64 s[0:1], s[10:11]
	s_cbranch_execz .LBB5_81
; %bb.80:
	v_mul_f64 v[10:11], v[13:14], v[13:14]
	s_mov_b32 s10, 0x13a86d09
	v_mov_b32_e32 v13, 0x67f544e4
	v_mov_b32_e32 v14, 0xbe5ae645
	s_mov_b32 s11, 0x3de61246
	v_fma_f64 v[13:14], v[10:11], s[10:11], v[13:14]
	s_mov_b32 s10, 0xa556c734
	s_mov_b32 s11, 0x3ec71de3
	v_fma_f64 v[13:14], v[10:11], v[13:14], s[10:11]
	s_mov_b32 s10, 0x1a01a01a
	;; [unrolled: 3-line block ×4, first 2 shown]
	s_mov_b32 s11, 0xbfc55555
	v_fma_f64 v[13:14], v[10:11], v[13:14], s[10:11]
	v_fma_f64 v[10:11], v[10:11], v[13:14], 1.0
.LBB5_81:
	s_or_b64 exec, exec, s[0:1]
.LBB5_82:
	s_or_b64 exec, exec, s[8:9]
	global_load_dwordx2 v[12:13], v12, s[6:7]
	s_waitcnt vmcnt(0)
	v_cmp_neq_f64_e64 s[0:1], |v[12:13]|, s[2:3]
	s_and_saveexec_b64 s[2:3], s[0:1]
	s_cbranch_execz .LBB5_92
; %bb.83:
	v_cmp_nlt_f64_e64 s[0:1], |v[12:13]|, 0.5
                                        ; implicit-def: $vgpr8_vgpr9
	s_and_saveexec_b64 s[8:9], s[0:1]
	s_xor_b64 s[8:9], exec, s[8:9]
	s_cbranch_execz .LBB5_89
; %bb.84:
	s_mov_b32 s0, 0
	s_mov_b32 s1, 0x41d00000
	v_cmp_nlt_f64_e64 s[0:1], |v[12:13]|, s[0:1]
                                        ; implicit-def: $vgpr4
                                        ; implicit-def: $vgpr8_vgpr9
                                        ; implicit-def: $vgpr14_vgpr15
	s_and_saveexec_b64 s[10:11], s[0:1]
	s_xor_b64 s[0:1], exec, s[10:11]
	s_cbranch_execz .LBB5_86
; %bb.85:
	v_trig_preop_f64 v[8:9], |v[12:13]|, 0
	s_mov_b32 s10, 0
	s_mov_b32 s11, 0x7b000000
	s_movk_i32 s12, 0xff80
	v_ldexp_f64 v[16:17], |v[12:13]|, s12
	v_cmp_ge_f64_e64 vcc, |v[12:13]|, s[10:11]
	v_trig_preop_f64 v[14:15], |v[12:13]|, 1
	v_and_b32_e32 v4, 0x7fffffff, v13
	v_trig_preop_f64 v[24:25], |v[12:13]|, 2
	s_mov_b32 s10, 0
	s_mov_b32 s11, 0x7ff00000
	v_mov_b32_e32 v34, 0
	v_mov_b32_e32 v6, 0x3ff00000
	v_cndmask_b32_e32 v17, v4, v17, vcc
	v_cndmask_b32_e32 v16, v12, v16, vcc
	v_mov_b32_e32 v4, 0x40100000
	v_mul_f64 v[18:19], v[8:9], v[16:17]
	s_mov_b32 s12, 0x33145c07
	s_mov_b32 s13, 0x3c91a626
	v_mul_f64 v[20:21], v[14:15], v[16:17]
	v_mul_f64 v[30:31], v[24:25], v[16:17]
	v_fma_f64 v[8:9], v[8:9], v[16:17], -v[18:19]
	v_fma_f64 v[14:15], v[14:15], v[16:17], -v[20:21]
	v_fma_f64 v[16:17], v[24:25], v[16:17], -v[30:31]
	v_add_f64 v[22:23], v[20:21], v[8:9]
	v_add_f64 v[26:27], v[22:23], -v[20:21]
	v_add_f64 v[32:33], v[18:19], v[22:23]
	v_add_f64 v[28:29], v[22:23], -v[26:27]
	v_add_f64 v[8:9], v[8:9], -v[26:27]
	v_add_f64 v[26:27], v[30:31], v[14:15]
	v_add_f64 v[18:19], v[32:33], -v[18:19]
	v_add_f64 v[20:21], v[20:21], -v[28:29]
	v_ldexp_f64 v[28:29], v[32:33], -2
	v_add_f64 v[36:37], v[26:27], -v[30:31]
	v_add_f64 v[18:19], v[22:23], -v[18:19]
	v_add_f64 v[8:9], v[8:9], v[20:21]
	v_fract_f64_e32 v[20:21], v[28:29]
	v_cmp_neq_f64_e64 vcc, |v[28:29]|, s[10:11]
	v_add_f64 v[14:15], v[14:15], -v[36:37]
	s_mov_b32 s10, 0x54442d18
	s_mov_b32 s11, 0x3ff921fb
	v_add_f64 v[22:23], v[26:27], v[8:9]
	v_ldexp_f64 v[20:21], v[20:21], 2
	v_add_f64 v[28:29], v[18:19], v[22:23]
	v_cndmask_b32_e32 v21, 0, v21, vcc
	v_cndmask_b32_e32 v20, 0, v20, vcc
	v_add_f64 v[38:39], v[22:23], -v[26:27]
	v_add_f64 v[32:33], v[28:29], v[20:21]
	v_add_f64 v[18:19], v[28:29], -v[18:19]
	v_add_f64 v[40:41], v[22:23], -v[38:39]
	;; [unrolled: 1-line block ×3, first 2 shown]
	v_cmp_gt_f64_e32 vcc, 0, v[32:33]
	v_add_f64 v[32:33], v[26:27], -v[36:37]
	v_add_f64 v[18:19], v[22:23], -v[18:19]
	;; [unrolled: 1-line block ×3, first 2 shown]
	v_cndmask_b32_e32 v35, 0, v4, vcc
	v_add_f64 v[20:21], v[20:21], v[34:35]
	v_add_f64 v[32:33], v[30:31], -v[32:33]
	v_add_f64 v[8:9], v[8:9], v[26:27]
	v_add_f64 v[42:43], v[28:29], v[20:21]
	;; [unrolled: 1-line block ×3, first 2 shown]
	v_cvt_i32_f64_e32 v4, v[42:43]
	v_add_f64 v[8:9], v[14:15], v[8:9]
	v_cvt_f64_i32_e32 v[35:36], v4
	v_add_f64 v[20:21], v[20:21], -v[35:36]
	v_add_f64 v[8:9], v[16:17], v[8:9]
	v_add_f64 v[14:15], v[28:29], v[20:21]
	;; [unrolled: 1-line block ×3, first 2 shown]
	v_add_f64 v[16:17], v[14:15], -v[20:21]
	v_cmp_le_f64_e32 vcc, 0.5, v[14:15]
	v_add_f64 v[16:17], v[28:29], -v[16:17]
	v_cndmask_b32_e32 v35, 0, v6, vcc
	v_add_f64 v[14:15], v[14:15], -v[34:35]
	v_addc_co_u32_e32 v4, vcc, 0, v4, vcc
	v_add_f64 v[8:9], v[8:9], v[16:17]
	v_add_f64 v[16:17], v[14:15], v[8:9]
	v_mul_f64 v[18:19], v[16:17], s[10:11]
	v_add_f64 v[14:15], v[16:17], -v[14:15]
	v_fma_f64 v[20:21], v[16:17], s[10:11], -v[18:19]
	v_add_f64 v[8:9], v[8:9], -v[14:15]
	v_fma_f64 v[14:15], v[16:17], s[12:13], v[20:21]
	v_fma_f64 v[14:15], v[8:9], s[10:11], v[14:15]
	v_add_f64 v[8:9], v[18:19], v[14:15]
	v_add_f64 v[16:17], v[8:9], -v[18:19]
	v_add_f64 v[14:15], v[14:15], -v[16:17]
.LBB5_86:
	s_andn2_saveexec_b64 s[0:1], s[0:1]
	s_cbranch_execz .LBB5_88
; %bb.87:
	s_mov_b32 s10, 0x6dc9c883
	s_mov_b32 s11, 0x3fe45f30
	v_mul_f64 v[8:9], |v[12:13]|, s[10:11]
	s_mov_b32 s10, 0x54442d18
	s_mov_b32 s11, 0xbff921fb
	;; [unrolled: 1-line block ×4, first 2 shown]
	v_rndne_f64_e32 v[16:17], v[8:9]
	v_fma_f64 v[8:9], v[16:17], s[10:11], |v[12:13]|
	v_mul_f64 v[14:15], v[16:17], s[12:13]
	s_mov_b32 s10, 0x252049c0
	s_mov_b32 s11, 0xb97b839a
	v_cvt_i32_f64_e32 v4, v[16:17]
	v_fma_f64 v[22:23], v[16:17], s[12:13], v[8:9]
	v_add_f64 v[18:19], v[8:9], v[14:15]
	s_mov_b32 s13, 0x3c91a626
	v_add_f64 v[20:21], v[8:9], -v[18:19]
	v_add_f64 v[18:19], v[18:19], -v[22:23]
	v_add_f64 v[8:9], v[20:21], v[14:15]
	v_fma_f64 v[14:15], v[16:17], s[12:13], v[14:15]
	v_add_f64 v[8:9], v[18:19], v[8:9]
	v_add_f64 v[8:9], v[8:9], -v[14:15]
	v_fma_f64 v[14:15], v[16:17], s[10:11], v[8:9]
	v_add_f64 v[8:9], v[22:23], v[14:15]
	v_add_f64 v[18:19], v[8:9], -v[22:23]
	v_add_f64 v[14:15], v[14:15], -v[18:19]
.LBB5_88:
	s_or_b64 exec, exec, s[0:1]
	v_mul_f64 v[16:17], v[8:9], v[8:9]
	s_mov_b32 s0, 0xf9a43bb8
	v_mov_b32_e32 v19, 0xb42fdfa7
	v_mov_b32_e32 v20, 0xbe5ae600
	s_mov_b32 s1, 0x3de5e0b2
	s_mov_b32 s10, 0x796cde01
	v_mov_b32_e32 v18, 0x9037ab78
	s_mov_b32 s11, 0x3ec71de3
	v_fma_f64 v[20:21], v[16:17], s[0:1], v[19:20]
	s_mov_b32 s0, 0x46cc5e42
	v_mov_b32_e32 v19, 0x3e21eeb6
	s_mov_b32 s1, 0xbda907db
	v_fma_f64 v[18:19], v[16:17], s[0:1], v[18:19]
	v_mul_f64 v[22:23], v[16:17], 0.5
	s_mov_b32 s0, 0xa17f65f6
	s_mov_b32 s12, 0x19e83e5c
	v_fma_f64 v[20:21], v[16:17], v[20:21], s[10:11]
	s_mov_b32 s1, 0xbe927e4f
	s_mov_b32 s13, 0xbf2a01a0
	;; [unrolled: 1-line block ×3, first 2 shown]
	v_fma_f64 v[18:19], v[16:17], v[18:19], s[0:1]
	v_add_f64 v[24:25], -v[22:23], 1.0
	s_mov_b32 s0, 0x11110bb3
	s_mov_b32 s11, 0x3efa01a0
	v_fma_f64 v[20:21], v[16:17], v[20:21], s[12:13]
	s_mov_b32 s1, 0x3f811111
	v_mul_f64 v[26:27], v[14:15], 0.5
	v_mul_f64 v[28:29], v[8:9], -v[16:17]
	v_fma_f64 v[18:19], v[16:17], v[18:19], s[10:11]
	v_add_f64 v[30:31], -v[24:25], 1.0
	v_and_b32_e32 v6, 1, v4
	v_lshlrev_b32_e32 v4, 30, v4
	v_fma_f64 v[20:21], v[16:17], v[20:21], s[0:1]
	s_mov_b32 s0, 0x16c16967
	s_mov_b32 s1, 0xbf56c16c
	v_cmp_eq_u32_e32 vcc, 0, v6
	v_fma_f64 v[18:19], v[16:17], v[18:19], s[0:1]
	v_add_f64 v[22:23], v[30:31], -v[22:23]
	s_mov_b32 s1, 0x3fa55555
	s_mov_b32 s0, 0x55555555
	v_fma_f64 v[20:21], v[28:29], v[20:21], v[26:27]
	v_mul_f64 v[26:27], v[16:17], v[16:17]
	v_xor_b32_e32 v4, v4, v13
	v_and_b32_e32 v4, 0x80000000, v4
	v_fma_f64 v[18:19], v[16:17], v[18:19], s[0:1]
	v_fma_f64 v[22:23], v[8:9], -v[14:15], v[22:23]
	s_mov_b32 s1, 0xbfc55555
	v_fma_f64 v[14:15], v[16:17], v[20:21], -v[14:15]
	v_fma_f64 v[16:17], v[26:27], v[18:19], v[22:23]
	v_fma_f64 v[14:15], v[28:29], s[0:1], v[14:15]
	s_movk_i32 s0, 0x1f8
	v_cmp_class_f64_e64 s[0:1], v[12:13], s0
	v_add_f64 v[16:17], v[24:25], v[16:17]
	v_add_f64 v[8:9], v[8:9], -v[14:15]
	v_mov_b32_e32 v14, 0x7ff80000
	v_cndmask_b32_e32 v6, v16, v8, vcc
	v_cndmask_b32_e32 v8, v17, v9, vcc
	v_xor_b32_e32 v4, v8, v4
	v_cndmask_b32_e64 v8, 0, v6, s[0:1]
	v_cndmask_b32_e64 v9, v14, v4, s[0:1]
	v_div_scale_f64 v[14:15], s[0:1], v[12:13], v[12:13], v[8:9]
	v_div_scale_f64 v[20:21], vcc, v[8:9], v[12:13], v[8:9]
	v_rcp_f64_e32 v[16:17], v[14:15]
	v_fma_f64 v[18:19], -v[14:15], v[16:17], 1.0
	v_fma_f64 v[16:17], v[16:17], v[18:19], v[16:17]
	v_fma_f64 v[18:19], -v[14:15], v[16:17], 1.0
	v_fma_f64 v[16:17], v[16:17], v[18:19], v[16:17]
	v_mul_f64 v[18:19], v[20:21], v[16:17]
	v_fma_f64 v[14:15], -v[14:15], v[18:19], v[20:21]
	v_div_fmas_f64 v[14:15], v[14:15], v[16:17], v[18:19]
	v_div_fixup_f64 v[8:9], v[14:15], v[12:13], v[8:9]
                                        ; implicit-def: $vgpr12_vgpr13
.LBB5_89:
	s_andn2_saveexec_b64 s[0:1], s[8:9]
	s_cbranch_execz .LBB5_91
; %bb.90:
	v_mul_f64 v[8:9], v[12:13], v[12:13]
	s_mov_b32 s8, 0x13a86d09
	v_mov_b32_e32 v12, 0x67f544e4
	v_mov_b32_e32 v13, 0xbe5ae645
	s_mov_b32 s9, 0x3de61246
	v_fma_f64 v[12:13], v[8:9], s[8:9], v[12:13]
	s_mov_b32 s8, 0xa556c734
	s_mov_b32 s9, 0x3ec71de3
	v_fma_f64 v[12:13], v[8:9], v[12:13], s[8:9]
	s_mov_b32 s8, 0x1a01a01a
	;; [unrolled: 3-line block ×4, first 2 shown]
	s_mov_b32 s9, 0xbfc55555
	v_fma_f64 v[12:13], v[8:9], v[12:13], s[8:9]
	v_fma_f64 v[8:9], v[8:9], v[12:13], 1.0
.LBB5_91:
	s_or_b64 exec, exec, s[0:1]
.LBB5_92:
	s_or_b64 exec, exec, s[2:3]
	global_load_dwordx2 v[14:15], v7, s[6:7]
	s_mov_b32 s2, 0
	s_mov_b32 s3, 0x7ff00000
	v_mov_b32_e32 v6, 0
	v_mov_b32_e32 v12, 0
	;; [unrolled: 1-line block ×4, first 2 shown]
	s_waitcnt vmcnt(0)
	v_cmp_neq_f64_e64 s[0:1], |v[14:15]|, s[2:3]
	s_and_saveexec_b64 s[8:9], s[0:1]
	s_cbranch_execz .LBB5_102
; %bb.93:
	v_cmp_nlt_f64_e64 s[0:1], |v[14:15]|, 0.5
                                        ; implicit-def: $vgpr12_vgpr13
	s_and_saveexec_b64 s[10:11], s[0:1]
	s_xor_b64 s[10:11], exec, s[10:11]
	s_cbranch_execz .LBB5_99
; %bb.94:
	s_mov_b32 s0, 0
	s_mov_b32 s1, 0x41d00000
	v_cmp_nlt_f64_e64 s[0:1], |v[14:15]|, s[0:1]
                                        ; implicit-def: $vgpr4
                                        ; implicit-def: $vgpr12_vgpr13
                                        ; implicit-def: $vgpr16_vgpr17
	s_and_saveexec_b64 s[12:13], s[0:1]
	s_xor_b64 s[0:1], exec, s[12:13]
	s_cbranch_execz .LBB5_96
; %bb.95:
	v_trig_preop_f64 v[12:13], |v[14:15]|, 0
	s_mov_b32 s12, 0
	s_mov_b32 s13, 0x7b000000
	s_movk_i32 s14, 0xff80
	v_ldexp_f64 v[18:19], |v[14:15]|, s14
	v_cmp_ge_f64_e64 vcc, |v[14:15]|, s[12:13]
	v_trig_preop_f64 v[16:17], |v[14:15]|, 1
	v_and_b32_e32 v4, 0x7fffffff, v15
	v_trig_preop_f64 v[26:27], |v[14:15]|, 2
	s_mov_b32 s12, 0
	s_mov_b32 s13, 0x7ff00000
	v_mov_b32_e32 v36, 0
	s_mov_b32 s14, 0x33145c07
	v_cndmask_b32_e32 v19, v4, v19, vcc
	v_cndmask_b32_e32 v18, v14, v18, vcc
	v_mov_b32_e32 v4, 0x40100000
	v_mul_f64 v[20:21], v[12:13], v[18:19]
	s_mov_b32 s15, 0x3c91a626
	v_mul_f64 v[22:23], v[16:17], v[18:19]
	v_mul_f64 v[32:33], v[26:27], v[18:19]
	v_fma_f64 v[12:13], v[12:13], v[18:19], -v[20:21]
	v_fma_f64 v[16:17], v[16:17], v[18:19], -v[22:23]
	;; [unrolled: 1-line block ×3, first 2 shown]
	v_add_f64 v[24:25], v[22:23], v[12:13]
	v_add_f64 v[28:29], v[24:25], -v[22:23]
	v_add_f64 v[34:35], v[20:21], v[24:25]
	v_add_f64 v[30:31], v[24:25], -v[28:29]
	v_add_f64 v[12:13], v[12:13], -v[28:29]
	v_add_f64 v[28:29], v[32:33], v[16:17]
	v_add_f64 v[20:21], v[34:35], -v[20:21]
	v_add_f64 v[22:23], v[22:23], -v[30:31]
	v_ldexp_f64 v[30:31], v[34:35], -2
	v_add_f64 v[38:39], v[28:29], -v[32:33]
	v_add_f64 v[20:21], v[24:25], -v[20:21]
	v_add_f64 v[12:13], v[12:13], v[22:23]
	v_fract_f64_e32 v[22:23], v[30:31]
	v_cmp_neq_f64_e64 vcc, |v[30:31]|, s[12:13]
	v_add_f64 v[16:17], v[16:17], -v[38:39]
	s_mov_b32 s12, 0x54442d18
	s_mov_b32 s13, 0x3ff921fb
	v_add_f64 v[24:25], v[28:29], v[12:13]
	v_ldexp_f64 v[22:23], v[22:23], 2
	v_add_f64 v[30:31], v[20:21], v[24:25]
	v_cndmask_b32_e32 v23, 0, v23, vcc
	v_cndmask_b32_e32 v22, 0, v22, vcc
	v_add_f64 v[40:41], v[24:25], -v[28:29]
	v_add_f64 v[34:35], v[30:31], v[22:23]
	v_add_f64 v[20:21], v[30:31], -v[20:21]
	v_add_f64 v[42:43], v[24:25], -v[40:41]
	;; [unrolled: 1-line block ×3, first 2 shown]
	v_cmp_gt_f64_e32 vcc, 0, v[34:35]
	v_add_f64 v[34:35], v[28:29], -v[38:39]
	v_add_f64 v[20:21], v[24:25], -v[20:21]
	;; [unrolled: 1-line block ×3, first 2 shown]
	v_cndmask_b32_e32 v37, 0, v4, vcc
	v_add_f64 v[22:23], v[22:23], v[36:37]
	v_add_f64 v[34:35], v[32:33], -v[34:35]
	v_add_f64 v[12:13], v[12:13], v[28:29]
	v_add_f64 v[44:45], v[30:31], v[22:23]
	;; [unrolled: 1-line block ×3, first 2 shown]
	v_cvt_i32_f64_e32 v4, v[44:45]
	v_add_f64 v[12:13], v[16:17], v[12:13]
	v_cvt_f64_i32_e32 v[37:38], v4
	v_add_f64 v[22:23], v[22:23], -v[37:38]
	v_add_f64 v[12:13], v[18:19], v[12:13]
	v_add_f64 v[16:17], v[30:31], v[22:23]
	;; [unrolled: 1-line block ×3, first 2 shown]
	v_mov_b32_e32 v20, 0x3ff00000
	v_add_f64 v[18:19], v[16:17], -v[22:23]
	v_cmp_le_f64_e32 vcc, 0.5, v[16:17]
	v_add_f64 v[18:19], v[30:31], -v[18:19]
	v_cndmask_b32_e32 v37, 0, v20, vcc
	v_add_f64 v[16:17], v[16:17], -v[36:37]
	v_addc_co_u32_e32 v4, vcc, 0, v4, vcc
	v_add_f64 v[12:13], v[12:13], v[18:19]
	v_add_f64 v[18:19], v[16:17], v[12:13]
	v_mul_f64 v[20:21], v[18:19], s[12:13]
	v_add_f64 v[16:17], v[18:19], -v[16:17]
	v_fma_f64 v[22:23], v[18:19], s[12:13], -v[20:21]
	v_add_f64 v[12:13], v[12:13], -v[16:17]
	v_fma_f64 v[16:17], v[18:19], s[14:15], v[22:23]
	v_fma_f64 v[16:17], v[12:13], s[12:13], v[16:17]
	v_add_f64 v[12:13], v[20:21], v[16:17]
	v_add_f64 v[18:19], v[12:13], -v[20:21]
	v_add_f64 v[16:17], v[16:17], -v[18:19]
.LBB5_96:
	s_andn2_saveexec_b64 s[0:1], s[0:1]
	s_cbranch_execz .LBB5_98
; %bb.97:
	s_mov_b32 s12, 0x6dc9c883
	s_mov_b32 s13, 0x3fe45f30
	v_mul_f64 v[12:13], |v[14:15]|, s[12:13]
	s_mov_b32 s12, 0x54442d18
	s_mov_b32 s13, 0xbff921fb
	;; [unrolled: 1-line block ×4, first 2 shown]
	v_rndne_f64_e32 v[18:19], v[12:13]
	v_fma_f64 v[12:13], v[18:19], s[12:13], |v[14:15]|
	v_mul_f64 v[16:17], v[18:19], s[14:15]
	s_mov_b32 s12, 0x252049c0
	s_mov_b32 s13, 0xb97b839a
	v_cvt_i32_f64_e32 v4, v[18:19]
	v_fma_f64 v[24:25], v[18:19], s[14:15], v[12:13]
	v_add_f64 v[20:21], v[12:13], v[16:17]
	s_mov_b32 s15, 0x3c91a626
	v_add_f64 v[22:23], v[12:13], -v[20:21]
	v_add_f64 v[20:21], v[20:21], -v[24:25]
	v_add_f64 v[12:13], v[22:23], v[16:17]
	v_fma_f64 v[16:17], v[18:19], s[14:15], v[16:17]
	v_add_f64 v[12:13], v[20:21], v[12:13]
	v_add_f64 v[12:13], v[12:13], -v[16:17]
	v_fma_f64 v[16:17], v[18:19], s[12:13], v[12:13]
	v_add_f64 v[12:13], v[24:25], v[16:17]
	v_add_f64 v[20:21], v[12:13], -v[24:25]
	v_add_f64 v[16:17], v[16:17], -v[20:21]
.LBB5_98:
	s_or_b64 exec, exec, s[0:1]
	v_mul_f64 v[18:19], v[12:13], v[12:13]
	s_mov_b32 s0, 0xf9a43bb8
	v_mov_b32_e32 v21, 0xb42fdfa7
	v_mov_b32_e32 v22, 0xbe5ae600
	s_mov_b32 s1, 0x3de5e0b2
	s_mov_b32 s12, 0x796cde01
	v_mov_b32_e32 v20, 0x9037ab78
	s_mov_b32 s13, 0x3ec71de3
	v_fma_f64 v[22:23], v[18:19], s[0:1], v[21:22]
	s_mov_b32 s0, 0x46cc5e42
	v_mov_b32_e32 v21, 0x3e21eeb6
	s_mov_b32 s1, 0xbda907db
	v_fma_f64 v[20:21], v[18:19], s[0:1], v[20:21]
	v_mul_f64 v[24:25], v[18:19], 0.5
	s_mov_b32 s0, 0xa17f65f6
	s_mov_b32 s14, 0x19e83e5c
	v_fma_f64 v[22:23], v[18:19], v[22:23], s[12:13]
	s_mov_b32 s1, 0xbe927e4f
	s_mov_b32 s15, 0xbf2a01a0
	;; [unrolled: 1-line block ×3, first 2 shown]
	v_fma_f64 v[20:21], v[18:19], v[20:21], s[0:1]
	v_add_f64 v[26:27], -v[24:25], 1.0
	s_mov_b32 s0, 0x11110bb3
	s_mov_b32 s13, 0x3efa01a0
	v_fma_f64 v[22:23], v[18:19], v[22:23], s[14:15]
	s_mov_b32 s1, 0x3f811111
	v_mul_f64 v[28:29], v[16:17], 0.5
	v_mul_f64 v[30:31], v[12:13], -v[18:19]
	v_fma_f64 v[20:21], v[18:19], v[20:21], s[12:13]
	v_add_f64 v[32:33], -v[26:27], 1.0
	v_fma_f64 v[22:23], v[18:19], v[22:23], s[0:1]
	s_mov_b32 s0, 0x16c16967
	s_mov_b32 s1, 0xbf56c16c
	v_fma_f64 v[20:21], v[18:19], v[20:21], s[0:1]
	v_add_f64 v[24:25], v[32:33], -v[24:25]
	s_mov_b32 s1, 0x3fa55555
	s_mov_b32 s0, 0x55555555
	v_fma_f64 v[22:23], v[30:31], v[22:23], v[28:29]
	v_mul_f64 v[28:29], v[18:19], v[18:19]
	v_fma_f64 v[20:21], v[18:19], v[20:21], s[0:1]
	v_fma_f64 v[24:25], v[12:13], -v[16:17], v[24:25]
	s_mov_b32 s1, 0xbfc55555
	v_fma_f64 v[16:17], v[18:19], v[22:23], -v[16:17]
	v_fma_f64 v[18:19], v[28:29], v[20:21], v[24:25]
	v_fma_f64 v[16:17], v[30:31], s[0:1], v[16:17]
	s_movk_i32 s0, 0x1f8
	v_cmp_class_f64_e64 s[0:1], v[14:15], s0
	v_add_f64 v[18:19], v[26:27], v[18:19]
	v_add_f64 v[12:13], v[12:13], -v[16:17]
	v_and_b32_e32 v16, 1, v4
	v_lshlrev_b32_e32 v4, 30, v4
	v_cmp_eq_u32_e32 vcc, 0, v16
	v_xor_b32_e32 v4, v4, v15
	v_and_b32_e32 v4, 0x80000000, v4
	v_mov_b32_e32 v16, 0x7ff80000
	v_cndmask_b32_e32 v13, v19, v13, vcc
	v_cndmask_b32_e32 v12, v18, v12, vcc
	v_xor_b32_e32 v4, v13, v4
	v_cndmask_b32_e64 v12, 0, v12, s[0:1]
	v_cndmask_b32_e64 v13, v16, v4, s[0:1]
	v_div_scale_f64 v[16:17], s[0:1], v[14:15], v[14:15], v[12:13]
	v_div_scale_f64 v[22:23], vcc, v[12:13], v[14:15], v[12:13]
	v_rcp_f64_e32 v[18:19], v[16:17]
	v_fma_f64 v[20:21], -v[16:17], v[18:19], 1.0
	v_fma_f64 v[18:19], v[18:19], v[20:21], v[18:19]
	v_fma_f64 v[20:21], -v[16:17], v[18:19], 1.0
	v_fma_f64 v[18:19], v[18:19], v[20:21], v[18:19]
	v_mul_f64 v[20:21], v[22:23], v[18:19]
	v_fma_f64 v[16:17], -v[16:17], v[20:21], v[22:23]
	v_div_fmas_f64 v[16:17], v[16:17], v[18:19], v[20:21]
	v_div_fixup_f64 v[12:13], v[16:17], v[14:15], v[12:13]
                                        ; implicit-def: $vgpr14_vgpr15
.LBB5_99:
	s_andn2_saveexec_b64 s[0:1], s[10:11]
	s_cbranch_execz .LBB5_101
; %bb.100:
	v_mul_f64 v[12:13], v[14:15], v[14:15]
	s_mov_b32 s10, 0x13a86d09
	v_mov_b32_e32 v14, 0x67f544e4
	v_mov_b32_e32 v15, 0xbe5ae645
	s_mov_b32 s11, 0x3de61246
	v_fma_f64 v[14:15], v[12:13], s[10:11], v[14:15]
	s_mov_b32 s10, 0xa556c734
	s_mov_b32 s11, 0x3ec71de3
	v_fma_f64 v[14:15], v[12:13], v[14:15], s[10:11]
	s_mov_b32 s10, 0x1a01a01a
	;; [unrolled: 3-line block ×4, first 2 shown]
	s_mov_b32 s11, 0xbfc55555
	v_fma_f64 v[14:15], v[12:13], v[14:15], s[10:11]
	v_fma_f64 v[12:13], v[12:13], v[14:15], 1.0
.LBB5_101:
	s_or_b64 exec, exec, s[0:1]
.LBB5_102:
	s_or_b64 exec, exec, s[8:9]
	global_load_dwordx2 v[4:5], v5, s[6:7]
	s_waitcnt vmcnt(0)
	v_cmp_neq_f64_e64 s[0:1], |v[4:5]|, s[2:3]
	s_and_saveexec_b64 s[2:3], s[0:1]
	s_cbranch_execz .LBB5_112
; %bb.103:
	v_cmp_nlt_f64_e64 s[0:1], |v[4:5]|, 0.5
                                        ; implicit-def: $vgpr6_vgpr7
	s_and_saveexec_b64 s[6:7], s[0:1]
	s_xor_b64 s[6:7], exec, s[6:7]
	s_cbranch_execz .LBB5_109
; %bb.104:
	s_mov_b32 s0, 0
	s_mov_b32 s1, 0x41d00000
	v_cmp_nlt_f64_e64 s[0:1], |v[4:5]|, s[0:1]
                                        ; implicit-def: $vgpr16
                                        ; implicit-def: $vgpr6_vgpr7
                                        ; implicit-def: $vgpr14_vgpr15
	s_and_saveexec_b64 s[8:9], s[0:1]
	s_xor_b64 s[8:9], exec, s[8:9]
	s_cbranch_execz .LBB5_106
; %bb.105:
	v_trig_preop_f64 v[6:7], |v[4:5]|, 0
	s_mov_b32 s0, 0
	s_mov_b32 s1, 0x7b000000
	s_movk_i32 s10, 0xff80
	v_ldexp_f64 v[16:17], |v[4:5]|, s10
	v_cmp_ge_f64_e64 vcc, |v[4:5]|, s[0:1]
	v_trig_preop_f64 v[14:15], |v[4:5]|, 1
	v_and_b32_e32 v18, 0x7fffffff, v5
	v_trig_preop_f64 v[24:25], |v[4:5]|, 2
	s_mov_b32 s0, 0
	s_mov_b32 s1, 0x7ff00000
	v_mov_b32_e32 v35, 0x40100000
	v_mov_b32_e32 v34, 0
	v_cndmask_b32_e32 v17, v18, v17, vcc
	v_cndmask_b32_e32 v16, v4, v16, vcc
	s_mov_b32 s10, 0x33145c07
	v_mul_f64 v[18:19], v[6:7], v[16:17]
	s_mov_b32 s11, 0x3c91a626
	v_mul_f64 v[20:21], v[14:15], v[16:17]
	v_mul_f64 v[30:31], v[24:25], v[16:17]
	v_fma_f64 v[6:7], v[6:7], v[16:17], -v[18:19]
	v_fma_f64 v[14:15], v[14:15], v[16:17], -v[20:21]
	;; [unrolled: 1-line block ×3, first 2 shown]
	v_add_f64 v[22:23], v[20:21], v[6:7]
	v_add_f64 v[26:27], v[22:23], -v[20:21]
	v_add_f64 v[32:33], v[18:19], v[22:23]
	v_add_f64 v[28:29], v[22:23], -v[26:27]
	v_add_f64 v[6:7], v[6:7], -v[26:27]
	v_add_f64 v[26:27], v[30:31], v[14:15]
	v_add_f64 v[18:19], v[32:33], -v[18:19]
	v_add_f64 v[20:21], v[20:21], -v[28:29]
	v_ldexp_f64 v[28:29], v[32:33], -2
	v_add_f64 v[36:37], v[26:27], -v[30:31]
	v_add_f64 v[18:19], v[22:23], -v[18:19]
	v_add_f64 v[6:7], v[6:7], v[20:21]
	v_fract_f64_e32 v[20:21], v[28:29]
	v_cmp_neq_f64_e64 vcc, |v[28:29]|, s[0:1]
	v_add_f64 v[14:15], v[14:15], -v[36:37]
	v_add_f64 v[22:23], v[26:27], v[6:7]
	v_ldexp_f64 v[20:21], v[20:21], 2
	v_add_f64 v[28:29], v[18:19], v[22:23]
	v_cndmask_b32_e32 v21, 0, v21, vcc
	v_cndmask_b32_e32 v20, 0, v20, vcc
	v_add_f64 v[38:39], v[22:23], -v[26:27]
	v_add_f64 v[32:33], v[28:29], v[20:21]
	v_add_f64 v[18:19], v[28:29], -v[18:19]
	v_add_f64 v[40:41], v[22:23], -v[38:39]
	;; [unrolled: 1-line block ×3, first 2 shown]
	v_cmp_gt_f64_e32 vcc, 0, v[32:33]
	v_add_f64 v[32:33], v[26:27], -v[36:37]
	v_add_f64 v[18:19], v[22:23], -v[18:19]
	;; [unrolled: 1-line block ×3, first 2 shown]
	v_cndmask_b32_e32 v35, 0, v35, vcc
	v_add_f64 v[20:21], v[20:21], v[34:35]
	v_add_f64 v[32:33], v[30:31], -v[32:33]
	v_add_f64 v[6:7], v[6:7], v[26:27]
	v_add_f64 v[42:43], v[28:29], v[20:21]
	;; [unrolled: 1-line block ×3, first 2 shown]
	v_cvt_i32_f64_e32 v37, v[42:43]
	v_add_f64 v[6:7], v[14:15], v[6:7]
	v_cvt_f64_i32_e32 v[35:36], v37
	v_add_f64 v[20:21], v[20:21], -v[35:36]
	v_add_f64 v[6:7], v[16:17], v[6:7]
	v_add_f64 v[14:15], v[28:29], v[20:21]
	;; [unrolled: 1-line block ×3, first 2 shown]
	v_mov_b32_e32 v19, 0x3ff00000
	v_add_f64 v[16:17], v[14:15], -v[20:21]
	v_cmp_le_f64_e32 vcc, 0.5, v[14:15]
	v_add_f64 v[17:18], v[28:29], -v[16:17]
	v_cndmask_b32_e32 v35, 0, v19, vcc
	v_add_f64 v[14:15], v[14:15], -v[34:35]
	v_addc_co_u32_e64 v16, s[0:1], 0, v37, vcc
	s_mov_b32 s0, 0x54442d18
	s_mov_b32 s1, 0x3ff921fb
	v_add_f64 v[6:7], v[6:7], v[17:18]
	v_add_f64 v[17:18], v[14:15], v[6:7]
	v_mul_f64 v[19:20], v[17:18], s[0:1]
	v_add_f64 v[14:15], v[17:18], -v[14:15]
	v_fma_f64 v[21:22], v[17:18], s[0:1], -v[19:20]
	v_add_f64 v[6:7], v[6:7], -v[14:15]
	v_fma_f64 v[14:15], v[17:18], s[10:11], v[21:22]
	v_fma_f64 v[14:15], v[6:7], s[0:1], v[14:15]
	v_add_f64 v[6:7], v[19:20], v[14:15]
	v_add_f64 v[17:18], v[6:7], -v[19:20]
	v_add_f64 v[14:15], v[14:15], -v[17:18]
.LBB5_106:
	s_andn2_saveexec_b64 s[0:1], s[8:9]
	s_cbranch_execz .LBB5_108
; %bb.107:
	s_mov_b32 s8, 0x6dc9c883
	s_mov_b32 s9, 0x3fe45f30
	v_mul_f64 v[6:7], |v[4:5]|, s[8:9]
	s_mov_b32 s8, 0x54442d18
	s_mov_b32 s9, 0xbff921fb
	;; [unrolled: 1-line block ×4, first 2 shown]
	v_rndne_f64_e32 v[16:17], v[6:7]
	v_fma_f64 v[6:7], v[16:17], s[8:9], |v[4:5]|
	v_mul_f64 v[14:15], v[16:17], s[10:11]
	s_mov_b32 s8, 0x252049c0
	s_mov_b32 s9, 0xb97b839a
	v_fma_f64 v[22:23], v[16:17], s[10:11], v[6:7]
	v_add_f64 v[18:19], v[6:7], v[14:15]
	s_mov_b32 s11, 0x3c91a626
	v_add_f64 v[20:21], v[6:7], -v[18:19]
	v_add_f64 v[18:19], v[18:19], -v[22:23]
	v_add_f64 v[6:7], v[20:21], v[14:15]
	v_fma_f64 v[14:15], v[16:17], s[10:11], v[14:15]
	v_add_f64 v[6:7], v[18:19], v[6:7]
	v_add_f64 v[6:7], v[6:7], -v[14:15]
	v_fma_f64 v[14:15], v[16:17], s[8:9], v[6:7]
	v_cvt_i32_f64_e32 v16, v[16:17]
	v_add_f64 v[6:7], v[22:23], v[14:15]
	v_add_f64 v[18:19], v[6:7], -v[22:23]
	v_add_f64 v[14:15], v[14:15], -v[18:19]
.LBB5_108:
	s_or_b64 exec, exec, s[0:1]
	v_mul_f64 v[17:18], v[6:7], v[6:7]
	s_mov_b32 s0, 0xf9a43bb8
	v_mov_b32_e32 v20, 0xb42fdfa7
	v_mov_b32_e32 v21, 0xbe5ae600
	s_mov_b32 s1, 0x3de5e0b2
	s_mov_b32 s8, 0x796cde01
	v_mov_b32_e32 v19, 0x9037ab78
	s_mov_b32 s9, 0x3ec71de3
	v_fma_f64 v[21:22], v[17:18], s[0:1], v[20:21]
	s_mov_b32 s0, 0x46cc5e42
	v_mov_b32_e32 v20, 0x3e21eeb6
	s_mov_b32 s1, 0xbda907db
	v_fma_f64 v[19:20], v[17:18], s[0:1], v[19:20]
	v_mul_f64 v[23:24], v[17:18], 0.5
	s_mov_b32 s0, 0xa17f65f6
	s_mov_b32 s10, 0x19e83e5c
	v_fma_f64 v[21:22], v[17:18], v[21:22], s[8:9]
	s_mov_b32 s1, 0xbe927e4f
	s_mov_b32 s11, 0xbf2a01a0
	;; [unrolled: 1-line block ×3, first 2 shown]
	v_fma_f64 v[19:20], v[17:18], v[19:20], s[0:1]
	v_add_f64 v[25:26], -v[23:24], 1.0
	s_mov_b32 s0, 0x11110bb3
	s_mov_b32 s9, 0x3efa01a0
	v_fma_f64 v[21:22], v[17:18], v[21:22], s[10:11]
	s_mov_b32 s1, 0x3f811111
	v_mul_f64 v[27:28], v[14:15], 0.5
	v_mul_f64 v[29:30], v[6:7], -v[17:18]
	v_fma_f64 v[19:20], v[17:18], v[19:20], s[8:9]
	v_add_f64 v[31:32], -v[25:26], 1.0
	v_fma_f64 v[21:22], v[17:18], v[21:22], s[0:1]
	s_mov_b32 s0, 0x16c16967
	s_mov_b32 s1, 0xbf56c16c
	v_fma_f64 v[19:20], v[17:18], v[19:20], s[0:1]
	v_add_f64 v[23:24], v[31:32], -v[23:24]
	s_mov_b32 s1, 0x3fa55555
	s_mov_b32 s0, 0x55555555
	v_fma_f64 v[21:22], v[29:30], v[21:22], v[27:28]
	v_mul_f64 v[27:28], v[17:18], v[17:18]
	v_fma_f64 v[19:20], v[17:18], v[19:20], s[0:1]
	v_fma_f64 v[23:24], v[6:7], -v[14:15], v[23:24]
	s_mov_b32 s1, 0xbfc55555
	v_fma_f64 v[14:15], v[17:18], v[21:22], -v[14:15]
	v_fma_f64 v[17:18], v[27:28], v[19:20], v[23:24]
	v_fma_f64 v[14:15], v[29:30], s[0:1], v[14:15]
	s_movk_i32 s0, 0x1f8
	v_cmp_class_f64_e64 s[0:1], v[4:5], s0
	v_add_f64 v[17:18], v[25:26], v[17:18]
	v_add_f64 v[6:7], v[6:7], -v[14:15]
	v_and_b32_e32 v14, 1, v16
	v_cmp_eq_u32_e32 vcc, 0, v14
	v_lshlrev_b32_e32 v14, 30, v16
	v_xor_b32_e32 v14, v14, v5
	v_and_b32_e32 v14, 0x80000000, v14
	v_mov_b32_e32 v15, 0x7ff80000
	v_cndmask_b32_e32 v7, v18, v7, vcc
	v_cndmask_b32_e32 v6, v17, v6, vcc
	v_xor_b32_e32 v7, v7, v14
	v_cndmask_b32_e64 v6, 0, v6, s[0:1]
	v_cndmask_b32_e64 v7, v15, v7, s[0:1]
	v_div_scale_f64 v[14:15], s[0:1], v[4:5], v[4:5], v[6:7]
	v_div_scale_f64 v[20:21], vcc, v[6:7], v[4:5], v[6:7]
	v_rcp_f64_e32 v[16:17], v[14:15]
	v_fma_f64 v[18:19], -v[14:15], v[16:17], 1.0
	v_fma_f64 v[16:17], v[16:17], v[18:19], v[16:17]
	v_fma_f64 v[18:19], -v[14:15], v[16:17], 1.0
	v_fma_f64 v[16:17], v[16:17], v[18:19], v[16:17]
	v_mul_f64 v[18:19], v[20:21], v[16:17]
	v_fma_f64 v[14:15], -v[14:15], v[18:19], v[20:21]
	v_div_fmas_f64 v[14:15], v[14:15], v[16:17], v[18:19]
	v_div_fixup_f64 v[6:7], v[14:15], v[4:5], v[6:7]
                                        ; implicit-def: $vgpr4_vgpr5
.LBB5_109:
	s_andn2_saveexec_b64 s[0:1], s[6:7]
	s_cbranch_execz .LBB5_111
; %bb.110:
	v_mul_f64 v[4:5], v[4:5], v[4:5]
	s_mov_b32 s6, 0x13a86d09
	v_mov_b32_e32 v6, 0x67f544e4
	v_mov_b32_e32 v7, 0xbe5ae645
	s_mov_b32 s7, 0x3de61246
	v_fma_f64 v[6:7], v[4:5], s[6:7], v[6:7]
	s_mov_b32 s6, 0xa556c734
	s_mov_b32 s7, 0x3ec71de3
	v_fma_f64 v[6:7], v[4:5], v[6:7], s[6:7]
	s_mov_b32 s6, 0x1a01a01a
	;; [unrolled: 3-line block ×4, first 2 shown]
	s_mov_b32 s7, 0xbfc55555
	v_fma_f64 v[6:7], v[4:5], v[6:7], s[6:7]
	v_fma_f64 v[6:7], v[4:5], v[6:7], 1.0
.LBB5_111:
	s_or_b64 exec, exec, s[0:1]
.LBB5_112:
	s_or_b64 exec, exec, s[2:3]
	global_store_dwordx2 v0, v[10:11], s[4:5]
	global_store_dwordx2 v1, v[8:9], s[4:5]
	global_store_dwordx2 v2, v[12:13], s[4:5]
	global_store_dwordx2 v3, v[6:7], s[4:5]
	s_endpgm
.LBB5_113:
	v_mov_b32_e32 v0, 0
	v_mov_b32_e32 v2, 0
	s_branch .LBB5_119
.LBB5_114:
	v_mov_b32_e32 v0, 0
	v_mov_b32_e32 v2, 0
	s_branch .LBB5_145
.LBB5_115:
	s_mov_b32 s57, 0
	v_mov_b32_e32 v0, 0
	v_mov_b32_e32 v2, 0
	;; [unrolled: 1-line block ×3, first 2 shown]
.LBB5_116:
	s_and_b32 s4, s58, 3
	s_cmp_eq_u32 s4, 0
	s_cbranch_scc1 .LBB5_119
; %bb.117:
	s_lshl_b32 s0, s57, 3
	s_add_u32 s0, s34, s0
	s_addc_u32 s1, s35, 0
	s_add_u32 s0, s0, 0xc4
	s_addc_u32 s1, s1, 0
	s_mul_i32 s2, s57, 12
	s_add_u32 s2, s34, s2
	s_addc_u32 s3, s35, 0
.LBB5_118:                              ; =>This Inner Loop Header: Depth=1
	s_load_dwordx2 s[6:7], s[2:3], 0x4
	s_load_dword s5, s[2:3], 0xc
	s_load_dwordx2 s[8:9], s[0:1], 0x0
	s_add_u32 s2, s2, 12
	s_addc_u32 s3, s3, 0
	s_waitcnt lgkmcnt(0)
	v_mul_hi_u32 v3, s7, v1
	s_add_u32 s0, s0, 8
	s_addc_u32 s1, s1, 0
	s_add_i32 s4, s4, -1
	v_add_u32_e32 v3, v1, v3
	v_lshrrev_b32_e32 v4, s5, v3
	v_mul_lo_u32 v3, v4, s6
	s_cmp_lg_u32 s4, 0
	v_sub_u32_e32 v3, v1, v3
	v_mad_u64_u32 v[0:1], s[6:7], v3, s8, v[0:1]
	v_mad_u64_u32 v[2:3], s[6:7], v3, s9, v[2:3]
	v_mov_b32_e32 v1, v4
	s_cbranch_scc1 .LBB5_118
.LBB5_119:
	s_cbranch_execnz .LBB5_122
.LBB5_120:
	s_waitcnt lgkmcnt(0)
	v_mul_hi_u32 v0, s25, v7
	s_andn2_b64 vcc, exec, s[42:43]
	v_add_u32_e32 v0, v7, v0
	v_lshrrev_b32_e32 v1, s26, v0
	v_mul_lo_u32 v0, v1, s24
	v_sub_u32_e32 v2, v7, v0
	v_mul_lo_u32 v0, v2, s20
	v_mul_lo_u32 v2, v2, s21
	s_cbranch_vccnz .LBB5_122
; %bb.121:
	v_mul_hi_u32 v3, s40, v1
	v_add_u32_e32 v3, v1, v3
	v_lshrrev_b32_e32 v3, s41, v3
	v_mul_lo_u32 v3, v3, s27
	v_sub_u32_e32 v3, v1, v3
	v_mad_u64_u32 v[0:1], s[0:1], v3, s22, v[0:1]
	v_mad_u64_u32 v[2:3], s[0:1], v3, s23, v[2:3]
.LBB5_122:
	s_waitcnt lgkmcnt(0)
	global_load_dwordx2 v[1:2], v2, s[18:19]
	s_mov_b32 s0, 0
	s_mov_b32 s1, 0x7ff00000
	v_mov_b32_e32 v3, 0
	v_mov_b32_e32 v4, 0
	s_waitcnt vmcnt(0)
	v_cmp_neq_f64_e64 s[0:1], |v[1:2]|, s[0:1]
	s_and_saveexec_b64 s[2:3], s[0:1]
	s_cbranch_execz .LBB5_132
; %bb.123:
	v_cmp_nlt_f64_e64 s[0:1], |v[1:2]|, 0.5
                                        ; implicit-def: $vgpr3_vgpr4
	s_and_saveexec_b64 s[4:5], s[0:1]
	s_xor_b64 s[4:5], exec, s[4:5]
	s_cbranch_execz .LBB5_129
; %bb.124:
	s_mov_b32 s0, 0
	s_mov_b32 s1, 0x41d00000
	v_cmp_nlt_f64_e64 s[0:1], |v[1:2]|, s[0:1]
                                        ; implicit-def: $vgpr8
                                        ; implicit-def: $vgpr3_vgpr4
                                        ; implicit-def: $vgpr5_vgpr6
	s_and_saveexec_b64 s[6:7], s[0:1]
	s_xor_b64 s[6:7], exec, s[6:7]
	s_cbranch_execz .LBB5_126
; %bb.125:
	v_trig_preop_f64 v[3:4], |v[1:2]|, 0
	s_mov_b32 s0, 0
	s_mov_b32 s1, 0x7b000000
	s_movk_i32 s8, 0xff80
	v_ldexp_f64 v[8:9], |v[1:2]|, s8
	v_cmp_ge_f64_e64 vcc, |v[1:2]|, s[0:1]
	v_trig_preop_f64 v[5:6], |v[1:2]|, 1
	v_and_b32_e32 v10, 0x7fffffff, v2
	v_trig_preop_f64 v[16:17], |v[1:2]|, 2
	s_mov_b32 s0, 0
	s_mov_b32 s1, 0x7ff00000
	v_mov_b32_e32 v27, 0x40100000
	v_mov_b32_e32 v26, 0
	v_cndmask_b32_e32 v9, v10, v9, vcc
	v_cndmask_b32_e32 v8, v1, v8, vcc
	s_mov_b32 s8, 0x33145c07
	v_mul_f64 v[10:11], v[3:4], v[8:9]
	s_mov_b32 s9, 0x3c91a626
	v_mul_f64 v[12:13], v[5:6], v[8:9]
	v_mul_f64 v[22:23], v[16:17], v[8:9]
	v_fma_f64 v[3:4], v[3:4], v[8:9], -v[10:11]
	v_fma_f64 v[5:6], v[5:6], v[8:9], -v[12:13]
	;; [unrolled: 1-line block ×3, first 2 shown]
	v_add_f64 v[14:15], v[12:13], v[3:4]
	v_add_f64 v[18:19], v[14:15], -v[12:13]
	v_add_f64 v[24:25], v[10:11], v[14:15]
	v_add_f64 v[20:21], v[14:15], -v[18:19]
	v_add_f64 v[3:4], v[3:4], -v[18:19]
	v_add_f64 v[18:19], v[22:23], v[5:6]
	v_add_f64 v[10:11], v[24:25], -v[10:11]
	v_add_f64 v[12:13], v[12:13], -v[20:21]
	v_ldexp_f64 v[20:21], v[24:25], -2
	v_add_f64 v[28:29], v[18:19], -v[22:23]
	v_add_f64 v[10:11], v[14:15], -v[10:11]
	v_add_f64 v[3:4], v[3:4], v[12:13]
	v_fract_f64_e32 v[12:13], v[20:21]
	v_cmp_neq_f64_e64 vcc, |v[20:21]|, s[0:1]
	v_add_f64 v[5:6], v[5:6], -v[28:29]
	v_add_f64 v[14:15], v[18:19], v[3:4]
	v_ldexp_f64 v[12:13], v[12:13], 2
	v_add_f64 v[20:21], v[10:11], v[14:15]
	v_cndmask_b32_e32 v13, 0, v13, vcc
	v_cndmask_b32_e32 v12, 0, v12, vcc
	v_add_f64 v[30:31], v[14:15], -v[18:19]
	v_add_f64 v[24:25], v[20:21], v[12:13]
	v_add_f64 v[10:11], v[20:21], -v[10:11]
	v_add_f64 v[32:33], v[14:15], -v[30:31]
	;; [unrolled: 1-line block ×3, first 2 shown]
	v_cmp_gt_f64_e32 vcc, 0, v[24:25]
	v_add_f64 v[24:25], v[18:19], -v[28:29]
	v_add_f64 v[10:11], v[14:15], -v[10:11]
	;; [unrolled: 1-line block ×3, first 2 shown]
	v_cndmask_b32_e32 v27, 0, v27, vcc
	v_add_f64 v[12:13], v[12:13], v[26:27]
	v_add_f64 v[24:25], v[22:23], -v[24:25]
	v_add_f64 v[3:4], v[3:4], v[18:19]
	v_add_f64 v[34:35], v[20:21], v[12:13]
	;; [unrolled: 1-line block ×3, first 2 shown]
	v_cvt_i32_f64_e32 v29, v[34:35]
	v_add_f64 v[3:4], v[5:6], v[3:4]
	v_cvt_f64_i32_e32 v[27:28], v29
	v_add_f64 v[12:13], v[12:13], -v[27:28]
	v_add_f64 v[3:4], v[8:9], v[3:4]
	v_add_f64 v[5:6], v[20:21], v[12:13]
	;; [unrolled: 1-line block ×3, first 2 shown]
	v_mov_b32_e32 v11, 0x3ff00000
	v_add_f64 v[8:9], v[5:6], -v[12:13]
	v_cmp_le_f64_e32 vcc, 0.5, v[5:6]
	v_add_f64 v[9:10], v[20:21], -v[8:9]
	v_cndmask_b32_e32 v27, 0, v11, vcc
	v_add_f64 v[5:6], v[5:6], -v[26:27]
	v_addc_co_u32_e64 v8, s[0:1], 0, v29, vcc
	s_mov_b32 s0, 0x54442d18
	s_mov_b32 s1, 0x3ff921fb
	v_add_f64 v[3:4], v[3:4], v[9:10]
	v_add_f64 v[9:10], v[5:6], v[3:4]
	v_mul_f64 v[11:12], v[9:10], s[0:1]
	v_add_f64 v[5:6], v[9:10], -v[5:6]
	v_fma_f64 v[13:14], v[9:10], s[0:1], -v[11:12]
	v_add_f64 v[3:4], v[3:4], -v[5:6]
	v_fma_f64 v[5:6], v[9:10], s[8:9], v[13:14]
	v_fma_f64 v[5:6], v[3:4], s[0:1], v[5:6]
	v_add_f64 v[3:4], v[11:12], v[5:6]
	v_add_f64 v[9:10], v[3:4], -v[11:12]
	v_add_f64 v[5:6], v[5:6], -v[9:10]
.LBB5_126:
	s_andn2_saveexec_b64 s[0:1], s[6:7]
	s_cbranch_execz .LBB5_128
; %bb.127:
	s_mov_b32 s6, 0x6dc9c883
	s_mov_b32 s7, 0x3fe45f30
	v_mul_f64 v[3:4], |v[1:2]|, s[6:7]
	s_mov_b32 s6, 0x54442d18
	s_mov_b32 s7, 0xbff921fb
	;; [unrolled: 1-line block ×4, first 2 shown]
	v_rndne_f64_e32 v[8:9], v[3:4]
	v_fma_f64 v[3:4], v[8:9], s[6:7], |v[1:2]|
	v_mul_f64 v[5:6], v[8:9], s[8:9]
	s_mov_b32 s6, 0x252049c0
	s_mov_b32 s7, 0xb97b839a
	v_fma_f64 v[14:15], v[8:9], s[8:9], v[3:4]
	v_add_f64 v[10:11], v[3:4], v[5:6]
	s_mov_b32 s9, 0x3c91a626
	v_add_f64 v[12:13], v[3:4], -v[10:11]
	v_add_f64 v[10:11], v[10:11], -v[14:15]
	v_add_f64 v[3:4], v[12:13], v[5:6]
	v_fma_f64 v[5:6], v[8:9], s[8:9], v[5:6]
	v_add_f64 v[3:4], v[10:11], v[3:4]
	v_add_f64 v[3:4], v[3:4], -v[5:6]
	v_fma_f64 v[5:6], v[8:9], s[6:7], v[3:4]
	v_cvt_i32_f64_e32 v8, v[8:9]
	v_add_f64 v[3:4], v[14:15], v[5:6]
	v_add_f64 v[10:11], v[3:4], -v[14:15]
	v_add_f64 v[5:6], v[5:6], -v[10:11]
.LBB5_128:
	s_or_b64 exec, exec, s[0:1]
	v_mul_f64 v[9:10], v[3:4], v[3:4]
	s_mov_b32 s0, 0xf9a43bb8
	v_mov_b32_e32 v12, 0xb42fdfa7
	v_mov_b32_e32 v13, 0xbe5ae600
	s_mov_b32 s1, 0x3de5e0b2
	s_mov_b32 s6, 0x796cde01
	v_mov_b32_e32 v11, 0x9037ab78
	s_mov_b32 s7, 0x3ec71de3
	v_fma_f64 v[13:14], v[9:10], s[0:1], v[12:13]
	s_mov_b32 s0, 0x46cc5e42
	v_mov_b32_e32 v12, 0x3e21eeb6
	s_mov_b32 s1, 0xbda907db
	v_fma_f64 v[11:12], v[9:10], s[0:1], v[11:12]
	v_mul_f64 v[15:16], v[9:10], 0.5
	s_mov_b32 s0, 0xa17f65f6
	s_mov_b32 s8, 0x19e83e5c
	v_fma_f64 v[13:14], v[9:10], v[13:14], s[6:7]
	s_mov_b32 s1, 0xbe927e4f
	s_mov_b32 s9, 0xbf2a01a0
	;; [unrolled: 1-line block ×3, first 2 shown]
	v_fma_f64 v[11:12], v[9:10], v[11:12], s[0:1]
	v_add_f64 v[17:18], -v[15:16], 1.0
	s_mov_b32 s0, 0x11110bb3
	s_mov_b32 s7, 0x3efa01a0
	v_fma_f64 v[13:14], v[9:10], v[13:14], s[8:9]
	s_mov_b32 s1, 0x3f811111
	v_mul_f64 v[19:20], v[5:6], 0.5
	v_mul_f64 v[21:22], v[3:4], -v[9:10]
	v_fma_f64 v[11:12], v[9:10], v[11:12], s[6:7]
	v_add_f64 v[23:24], -v[17:18], 1.0
	v_fma_f64 v[13:14], v[9:10], v[13:14], s[0:1]
	s_mov_b32 s0, 0x16c16967
	s_mov_b32 s1, 0xbf56c16c
	v_fma_f64 v[11:12], v[9:10], v[11:12], s[0:1]
	v_add_f64 v[15:16], v[23:24], -v[15:16]
	s_mov_b32 s1, 0x3fa55555
	s_mov_b32 s0, 0x55555555
	v_fma_f64 v[13:14], v[21:22], v[13:14], v[19:20]
	v_mul_f64 v[19:20], v[9:10], v[9:10]
	v_fma_f64 v[11:12], v[9:10], v[11:12], s[0:1]
	v_fma_f64 v[15:16], v[3:4], -v[5:6], v[15:16]
	s_mov_b32 s1, 0xbfc55555
	v_fma_f64 v[5:6], v[9:10], v[13:14], -v[5:6]
	v_fma_f64 v[9:10], v[19:20], v[11:12], v[15:16]
	v_fma_f64 v[5:6], v[21:22], s[0:1], v[5:6]
	s_movk_i32 s0, 0x1f8
	v_cmp_class_f64_e64 s[0:1], v[1:2], s0
	v_add_f64 v[9:10], v[17:18], v[9:10]
	v_add_f64 v[3:4], v[3:4], -v[5:6]
	v_and_b32_e32 v5, 1, v8
	v_cmp_eq_u32_e32 vcc, 0, v5
	v_lshlrev_b32_e32 v5, 30, v8
	v_xor_b32_e32 v5, v5, v2
	v_and_b32_e32 v5, 0x80000000, v5
	v_mov_b32_e32 v6, 0x7ff80000
	v_cndmask_b32_e32 v4, v10, v4, vcc
	v_cndmask_b32_e32 v3, v9, v3, vcc
	v_xor_b32_e32 v4, v4, v5
	v_cndmask_b32_e64 v3, 0, v3, s[0:1]
	v_cndmask_b32_e64 v4, v6, v4, s[0:1]
	v_div_scale_f64 v[5:6], s[0:1], v[1:2], v[1:2], v[3:4]
	v_div_scale_f64 v[12:13], vcc, v[3:4], v[1:2], v[3:4]
	v_rcp_f64_e32 v[8:9], v[5:6]
	v_fma_f64 v[10:11], -v[5:6], v[8:9], 1.0
	v_fma_f64 v[8:9], v[8:9], v[10:11], v[8:9]
	v_fma_f64 v[10:11], -v[5:6], v[8:9], 1.0
	v_fma_f64 v[8:9], v[8:9], v[10:11], v[8:9]
	v_mul_f64 v[10:11], v[12:13], v[8:9]
	v_fma_f64 v[5:6], -v[5:6], v[10:11], v[12:13]
	v_div_fmas_f64 v[5:6], v[5:6], v[8:9], v[10:11]
	v_div_fixup_f64 v[3:4], v[5:6], v[1:2], v[3:4]
                                        ; implicit-def: $vgpr1_vgpr2
.LBB5_129:
	s_andn2_saveexec_b64 s[0:1], s[4:5]
	s_cbranch_execz .LBB5_131
; %bb.130:
	v_mul_f64 v[1:2], v[1:2], v[1:2]
	s_mov_b32 s4, 0x13a86d09
	v_mov_b32_e32 v3, 0x67f544e4
	v_mov_b32_e32 v4, 0xbe5ae645
	s_mov_b32 s5, 0x3de61246
	v_fma_f64 v[3:4], v[1:2], s[4:5], v[3:4]
	s_mov_b32 s4, 0xa556c734
	s_mov_b32 s5, 0x3ec71de3
	v_fma_f64 v[3:4], v[1:2], v[3:4], s[4:5]
	s_mov_b32 s4, 0x1a01a01a
	;; [unrolled: 3-line block ×4, first 2 shown]
	s_mov_b32 s5, 0xbfc55555
	v_fma_f64 v[3:4], v[1:2], v[3:4], s[4:5]
	v_fma_f64 v[3:4], v[1:2], v[3:4], 1.0
.LBB5_131:
	s_or_b64 exec, exec, s[0:1]
.LBB5_132:
	s_or_b64 exec, exec, s[2:3]
	v_add_u32_e32 v7, 0x80, v7
	global_store_dwordx2 v0, v[3:4], s[16:17]
	s_or_b64 exec, exec, s[48:49]
	v_cmp_gt_i32_e32 vcc, s55, v7
	s_and_saveexec_b64 s[48:49], vcc
	s_cbranch_execnz .LBB5_15
.LBB5_133:
	s_or_b64 exec, exec, s[48:49]
	v_cmp_gt_i32_e32 vcc, s55, v7
	s_and_saveexec_b64 s[48:49], vcc
	s_cbranch_execz .LBB5_159
.LBB5_134:
	s_andn2_b64 vcc, exec, s[36:37]
	s_cbranch_vccnz .LBB5_139
; %bb.135:
	s_andn2_b64 vcc, exec, s[46:47]
	s_cbranch_vccnz .LBB5_140
; %bb.136:
	s_add_i32 s58, s56, 1
	s_cmp_eq_u32 s54, 2
	s_cbranch_scc1 .LBB5_162
; %bb.137:
	s_and_b32 s57, s58, 28
	v_mov_b32_e32 v2, 0
	s_mov_b32 s59, 0
	s_mov_b64 s[50:51], s[34:35]
	s_mov_b64 s[52:53], s[44:45]
	v_mov_b32_e32 v0, 0
	v_mov_b32_e32 v1, v7
.LBB5_138:                              ; =>This Inner Loop Header: Depth=1
	s_load_dwordx8 s[8:15], s[50:51], 0x4
	s_load_dwordx4 s[28:31], s[50:51], 0x24
	s_load_dwordx8 s[0:7], s[52:53], 0x0
	s_add_u32 s50, s50, 48
	s_addc_u32 s51, s51, 0
	s_waitcnt lgkmcnt(0)
	v_mul_hi_u32 v3, s9, v1
	s_add_i32 s59, s59, 4
	s_add_u32 s52, s52, 32
	s_addc_u32 s53, s53, 0
	v_add_u32_e32 v3, v1, v3
	v_lshrrev_b32_e32 v3, s10, v3
	v_mul_lo_u32 v4, v3, s8
	v_mul_hi_u32 v5, s12, v3
	s_cmp_eq_u32 s57, s59
	v_sub_u32_e32 v1, v1, v4
	v_add_u32_e32 v4, v3, v5
	v_mul_lo_u32 v5, v1, s0
	v_mul_lo_u32 v6, v1, s1
	v_lshrrev_b32_e32 v1, s13, v4
	v_mul_lo_u32 v4, v1, s11
	v_mul_hi_u32 v8, s15, v1
	v_sub_u32_e32 v3, v3, v4
	v_add_u32_e32 v4, v1, v8
	v_lshrrev_b32_e32 v4, s28, v4
	v_mul_hi_u32 v9, s30, v4
	v_mul_lo_u32 v10, v4, s14
	v_mul_lo_u32 v8, v3, s2
	;; [unrolled: 1-line block ×3, first 2 shown]
	v_sub_u32_e32 v10, v1, v10
	v_add_u32_e32 v1, v4, v9
	v_lshrrev_b32_e32 v1, s31, v1
	v_mul_lo_u32 v9, v1, s29
	v_mul_lo_u32 v11, v10, s4
	;; [unrolled: 1-line block ×3, first 2 shown]
	v_add3_u32 v0, v5, v0, v8
	v_sub_u32_e32 v4, v4, v9
	v_mul_lo_u32 v9, v4, s6
	v_mul_lo_u32 v4, v4, s7
	v_add3_u32 v2, v6, v2, v3
	v_add3_u32 v0, v11, v0, v9
	;; [unrolled: 1-line block ×3, first 2 shown]
	s_cbranch_scc0 .LBB5_138
	s_branch .LBB5_163
.LBB5_139:
                                        ; implicit-def: $vgpr0
                                        ; implicit-def: $vgpr2
	s_branch .LBB5_167
.LBB5_140:
	v_mov_b32_e32 v0, 0
	v_mov_b32_e32 v2, 0
	s_branch .LBB5_166
.LBB5_141:
	s_mov_b32 s57, 0
	v_mov_b32_e32 v0, 0
	v_mov_b32_e32 v2, 0
	;; [unrolled: 1-line block ×3, first 2 shown]
.LBB5_142:
	s_and_b32 s4, s58, 3
	s_cmp_eq_u32 s4, 0
	s_cbranch_scc1 .LBB5_145
; %bb.143:
	s_lshl_b32 s0, s57, 3
	s_add_u32 s0, s34, s0
	s_addc_u32 s1, s35, 0
	s_add_u32 s0, s0, 0xc4
	s_addc_u32 s1, s1, 0
	s_mul_i32 s2, s57, 12
	s_add_u32 s2, s34, s2
	s_addc_u32 s3, s35, 0
.LBB5_144:                              ; =>This Inner Loop Header: Depth=1
	s_load_dwordx2 s[6:7], s[2:3], 0x4
	s_load_dword s5, s[2:3], 0xc
	s_load_dwordx2 s[8:9], s[0:1], 0x0
	s_add_u32 s2, s2, 12
	s_addc_u32 s3, s3, 0
	s_waitcnt lgkmcnt(0)
	v_mul_hi_u32 v3, s7, v1
	s_add_u32 s0, s0, 8
	s_addc_u32 s1, s1, 0
	s_add_i32 s4, s4, -1
	v_add_u32_e32 v3, v1, v3
	v_lshrrev_b32_e32 v4, s5, v3
	v_mul_lo_u32 v3, v4, s6
	s_cmp_lg_u32 s4, 0
	v_sub_u32_e32 v3, v1, v3
	v_mad_u64_u32 v[0:1], s[6:7], v3, s8, v[0:1]
	v_mad_u64_u32 v[2:3], s[6:7], v3, s9, v[2:3]
	v_mov_b32_e32 v1, v4
	s_cbranch_scc1 .LBB5_144
.LBB5_145:
	s_cbranch_execnz .LBB5_148
.LBB5_146:
	s_waitcnt lgkmcnt(0)
	v_mul_hi_u32 v0, s25, v7
	s_andn2_b64 vcc, exec, s[42:43]
	v_add_u32_e32 v0, v7, v0
	v_lshrrev_b32_e32 v1, s26, v0
	v_mul_lo_u32 v0, v1, s24
	v_sub_u32_e32 v2, v7, v0
	v_mul_lo_u32 v0, v2, s20
	v_mul_lo_u32 v2, v2, s21
	s_cbranch_vccnz .LBB5_148
; %bb.147:
	v_mul_hi_u32 v3, s40, v1
	v_add_u32_e32 v3, v1, v3
	v_lshrrev_b32_e32 v3, s41, v3
	v_mul_lo_u32 v3, v3, s27
	v_sub_u32_e32 v3, v1, v3
	v_mad_u64_u32 v[0:1], s[0:1], v3, s22, v[0:1]
	v_mad_u64_u32 v[2:3], s[0:1], v3, s23, v[2:3]
.LBB5_148:
	s_waitcnt lgkmcnt(0)
	global_load_dwordx2 v[1:2], v2, s[18:19]
	s_mov_b32 s0, 0
	s_mov_b32 s1, 0x7ff00000
	v_mov_b32_e32 v3, 0
	v_mov_b32_e32 v4, 0
	s_waitcnt vmcnt(0)
	v_cmp_neq_f64_e64 s[0:1], |v[1:2]|, s[0:1]
	s_and_saveexec_b64 s[2:3], s[0:1]
	s_cbranch_execz .LBB5_158
; %bb.149:
	v_cmp_nlt_f64_e64 s[0:1], |v[1:2]|, 0.5
                                        ; implicit-def: $vgpr3_vgpr4
	s_and_saveexec_b64 s[4:5], s[0:1]
	s_xor_b64 s[4:5], exec, s[4:5]
	s_cbranch_execz .LBB5_155
; %bb.150:
	s_mov_b32 s0, 0
	s_mov_b32 s1, 0x41d00000
	v_cmp_nlt_f64_e64 s[0:1], |v[1:2]|, s[0:1]
                                        ; implicit-def: $vgpr8
                                        ; implicit-def: $vgpr3_vgpr4
                                        ; implicit-def: $vgpr5_vgpr6
	s_and_saveexec_b64 s[6:7], s[0:1]
	s_xor_b64 s[6:7], exec, s[6:7]
	s_cbranch_execz .LBB5_152
; %bb.151:
	v_trig_preop_f64 v[3:4], |v[1:2]|, 0
	s_mov_b32 s0, 0
	s_mov_b32 s1, 0x7b000000
	s_movk_i32 s8, 0xff80
	v_ldexp_f64 v[8:9], |v[1:2]|, s8
	v_cmp_ge_f64_e64 vcc, |v[1:2]|, s[0:1]
	v_trig_preop_f64 v[5:6], |v[1:2]|, 1
	v_and_b32_e32 v10, 0x7fffffff, v2
	v_trig_preop_f64 v[16:17], |v[1:2]|, 2
	s_mov_b32 s0, 0
	s_mov_b32 s1, 0x7ff00000
	v_mov_b32_e32 v27, 0x40100000
	v_mov_b32_e32 v26, 0
	v_cndmask_b32_e32 v9, v10, v9, vcc
	v_cndmask_b32_e32 v8, v1, v8, vcc
	s_mov_b32 s8, 0x33145c07
	v_mul_f64 v[10:11], v[3:4], v[8:9]
	s_mov_b32 s9, 0x3c91a626
	v_mul_f64 v[12:13], v[5:6], v[8:9]
	v_mul_f64 v[22:23], v[16:17], v[8:9]
	v_fma_f64 v[3:4], v[3:4], v[8:9], -v[10:11]
	v_fma_f64 v[5:6], v[5:6], v[8:9], -v[12:13]
	;; [unrolled: 1-line block ×3, first 2 shown]
	v_add_f64 v[14:15], v[12:13], v[3:4]
	v_add_f64 v[18:19], v[14:15], -v[12:13]
	v_add_f64 v[24:25], v[10:11], v[14:15]
	v_add_f64 v[20:21], v[14:15], -v[18:19]
	v_add_f64 v[3:4], v[3:4], -v[18:19]
	v_add_f64 v[18:19], v[22:23], v[5:6]
	v_add_f64 v[10:11], v[24:25], -v[10:11]
	v_add_f64 v[12:13], v[12:13], -v[20:21]
	v_ldexp_f64 v[20:21], v[24:25], -2
	v_add_f64 v[28:29], v[18:19], -v[22:23]
	v_add_f64 v[10:11], v[14:15], -v[10:11]
	v_add_f64 v[3:4], v[3:4], v[12:13]
	v_fract_f64_e32 v[12:13], v[20:21]
	v_cmp_neq_f64_e64 vcc, |v[20:21]|, s[0:1]
	v_add_f64 v[5:6], v[5:6], -v[28:29]
	v_add_f64 v[14:15], v[18:19], v[3:4]
	v_ldexp_f64 v[12:13], v[12:13], 2
	v_add_f64 v[20:21], v[10:11], v[14:15]
	v_cndmask_b32_e32 v13, 0, v13, vcc
	v_cndmask_b32_e32 v12, 0, v12, vcc
	v_add_f64 v[30:31], v[14:15], -v[18:19]
	v_add_f64 v[24:25], v[20:21], v[12:13]
	v_add_f64 v[10:11], v[20:21], -v[10:11]
	v_add_f64 v[32:33], v[14:15], -v[30:31]
	;; [unrolled: 1-line block ×3, first 2 shown]
	v_cmp_gt_f64_e32 vcc, 0, v[24:25]
	v_add_f64 v[24:25], v[18:19], -v[28:29]
	v_add_f64 v[10:11], v[14:15], -v[10:11]
	;; [unrolled: 1-line block ×3, first 2 shown]
	v_cndmask_b32_e32 v27, 0, v27, vcc
	v_add_f64 v[12:13], v[12:13], v[26:27]
	v_add_f64 v[24:25], v[22:23], -v[24:25]
	v_add_f64 v[3:4], v[3:4], v[18:19]
	v_add_f64 v[34:35], v[20:21], v[12:13]
	;; [unrolled: 1-line block ×3, first 2 shown]
	v_cvt_i32_f64_e32 v29, v[34:35]
	v_add_f64 v[3:4], v[5:6], v[3:4]
	v_cvt_f64_i32_e32 v[27:28], v29
	v_add_f64 v[12:13], v[12:13], -v[27:28]
	v_add_f64 v[3:4], v[8:9], v[3:4]
	v_add_f64 v[5:6], v[20:21], v[12:13]
	;; [unrolled: 1-line block ×3, first 2 shown]
	v_mov_b32_e32 v11, 0x3ff00000
	v_add_f64 v[8:9], v[5:6], -v[12:13]
	v_cmp_le_f64_e32 vcc, 0.5, v[5:6]
	v_add_f64 v[9:10], v[20:21], -v[8:9]
	v_cndmask_b32_e32 v27, 0, v11, vcc
	v_add_f64 v[5:6], v[5:6], -v[26:27]
	v_addc_co_u32_e64 v8, s[0:1], 0, v29, vcc
	s_mov_b32 s0, 0x54442d18
	s_mov_b32 s1, 0x3ff921fb
	v_add_f64 v[3:4], v[3:4], v[9:10]
	v_add_f64 v[9:10], v[5:6], v[3:4]
	v_mul_f64 v[11:12], v[9:10], s[0:1]
	v_add_f64 v[5:6], v[9:10], -v[5:6]
	v_fma_f64 v[13:14], v[9:10], s[0:1], -v[11:12]
	v_add_f64 v[3:4], v[3:4], -v[5:6]
	v_fma_f64 v[5:6], v[9:10], s[8:9], v[13:14]
	v_fma_f64 v[5:6], v[3:4], s[0:1], v[5:6]
	v_add_f64 v[3:4], v[11:12], v[5:6]
	v_add_f64 v[9:10], v[3:4], -v[11:12]
	v_add_f64 v[5:6], v[5:6], -v[9:10]
.LBB5_152:
	s_andn2_saveexec_b64 s[0:1], s[6:7]
	s_cbranch_execz .LBB5_154
; %bb.153:
	s_mov_b32 s6, 0x6dc9c883
	s_mov_b32 s7, 0x3fe45f30
	v_mul_f64 v[3:4], |v[1:2]|, s[6:7]
	s_mov_b32 s6, 0x54442d18
	s_mov_b32 s7, 0xbff921fb
	;; [unrolled: 1-line block ×4, first 2 shown]
	v_rndne_f64_e32 v[8:9], v[3:4]
	v_fma_f64 v[3:4], v[8:9], s[6:7], |v[1:2]|
	v_mul_f64 v[5:6], v[8:9], s[8:9]
	s_mov_b32 s6, 0x252049c0
	s_mov_b32 s7, 0xb97b839a
	v_fma_f64 v[14:15], v[8:9], s[8:9], v[3:4]
	v_add_f64 v[10:11], v[3:4], v[5:6]
	s_mov_b32 s9, 0x3c91a626
	v_add_f64 v[12:13], v[3:4], -v[10:11]
	v_add_f64 v[10:11], v[10:11], -v[14:15]
	v_add_f64 v[3:4], v[12:13], v[5:6]
	v_fma_f64 v[5:6], v[8:9], s[8:9], v[5:6]
	v_add_f64 v[3:4], v[10:11], v[3:4]
	v_add_f64 v[3:4], v[3:4], -v[5:6]
	v_fma_f64 v[5:6], v[8:9], s[6:7], v[3:4]
	v_cvt_i32_f64_e32 v8, v[8:9]
	v_add_f64 v[3:4], v[14:15], v[5:6]
	v_add_f64 v[10:11], v[3:4], -v[14:15]
	v_add_f64 v[5:6], v[5:6], -v[10:11]
.LBB5_154:
	s_or_b64 exec, exec, s[0:1]
	v_mul_f64 v[9:10], v[3:4], v[3:4]
	s_mov_b32 s0, 0xf9a43bb8
	v_mov_b32_e32 v12, 0xb42fdfa7
	v_mov_b32_e32 v13, 0xbe5ae600
	s_mov_b32 s1, 0x3de5e0b2
	s_mov_b32 s6, 0x796cde01
	v_mov_b32_e32 v11, 0x9037ab78
	s_mov_b32 s7, 0x3ec71de3
	v_fma_f64 v[13:14], v[9:10], s[0:1], v[12:13]
	s_mov_b32 s0, 0x46cc5e42
	v_mov_b32_e32 v12, 0x3e21eeb6
	s_mov_b32 s1, 0xbda907db
	v_fma_f64 v[11:12], v[9:10], s[0:1], v[11:12]
	v_mul_f64 v[15:16], v[9:10], 0.5
	s_mov_b32 s0, 0xa17f65f6
	s_mov_b32 s8, 0x19e83e5c
	v_fma_f64 v[13:14], v[9:10], v[13:14], s[6:7]
	s_mov_b32 s1, 0xbe927e4f
	s_mov_b32 s9, 0xbf2a01a0
	;; [unrolled: 1-line block ×3, first 2 shown]
	v_fma_f64 v[11:12], v[9:10], v[11:12], s[0:1]
	v_add_f64 v[17:18], -v[15:16], 1.0
	s_mov_b32 s0, 0x11110bb3
	s_mov_b32 s7, 0x3efa01a0
	v_fma_f64 v[13:14], v[9:10], v[13:14], s[8:9]
	s_mov_b32 s1, 0x3f811111
	v_mul_f64 v[19:20], v[5:6], 0.5
	v_mul_f64 v[21:22], v[3:4], -v[9:10]
	v_fma_f64 v[11:12], v[9:10], v[11:12], s[6:7]
	v_add_f64 v[23:24], -v[17:18], 1.0
	v_fma_f64 v[13:14], v[9:10], v[13:14], s[0:1]
	s_mov_b32 s0, 0x16c16967
	s_mov_b32 s1, 0xbf56c16c
	v_fma_f64 v[11:12], v[9:10], v[11:12], s[0:1]
	v_add_f64 v[15:16], v[23:24], -v[15:16]
	s_mov_b32 s1, 0x3fa55555
	s_mov_b32 s0, 0x55555555
	v_fma_f64 v[13:14], v[21:22], v[13:14], v[19:20]
	v_mul_f64 v[19:20], v[9:10], v[9:10]
	v_fma_f64 v[11:12], v[9:10], v[11:12], s[0:1]
	v_fma_f64 v[15:16], v[3:4], -v[5:6], v[15:16]
	s_mov_b32 s1, 0xbfc55555
	v_fma_f64 v[5:6], v[9:10], v[13:14], -v[5:6]
	v_fma_f64 v[9:10], v[19:20], v[11:12], v[15:16]
	v_fma_f64 v[5:6], v[21:22], s[0:1], v[5:6]
	s_movk_i32 s0, 0x1f8
	v_cmp_class_f64_e64 s[0:1], v[1:2], s0
	v_add_f64 v[9:10], v[17:18], v[9:10]
	v_add_f64 v[3:4], v[3:4], -v[5:6]
	v_and_b32_e32 v5, 1, v8
	v_cmp_eq_u32_e32 vcc, 0, v5
	v_lshlrev_b32_e32 v5, 30, v8
	v_xor_b32_e32 v5, v5, v2
	v_and_b32_e32 v5, 0x80000000, v5
	v_mov_b32_e32 v6, 0x7ff80000
	v_cndmask_b32_e32 v4, v10, v4, vcc
	v_cndmask_b32_e32 v3, v9, v3, vcc
	v_xor_b32_e32 v4, v4, v5
	v_cndmask_b32_e64 v3, 0, v3, s[0:1]
	v_cndmask_b32_e64 v4, v6, v4, s[0:1]
	v_div_scale_f64 v[5:6], s[0:1], v[1:2], v[1:2], v[3:4]
	v_div_scale_f64 v[12:13], vcc, v[3:4], v[1:2], v[3:4]
	v_rcp_f64_e32 v[8:9], v[5:6]
	v_fma_f64 v[10:11], -v[5:6], v[8:9], 1.0
	v_fma_f64 v[8:9], v[8:9], v[10:11], v[8:9]
	v_fma_f64 v[10:11], -v[5:6], v[8:9], 1.0
	v_fma_f64 v[8:9], v[8:9], v[10:11], v[8:9]
	v_mul_f64 v[10:11], v[12:13], v[8:9]
	v_fma_f64 v[5:6], -v[5:6], v[10:11], v[12:13]
	v_div_fmas_f64 v[5:6], v[5:6], v[8:9], v[10:11]
	v_div_fixup_f64 v[3:4], v[5:6], v[1:2], v[3:4]
                                        ; implicit-def: $vgpr1_vgpr2
.LBB5_155:
	s_andn2_saveexec_b64 s[0:1], s[4:5]
	s_cbranch_execz .LBB5_157
; %bb.156:
	v_mul_f64 v[1:2], v[1:2], v[1:2]
	s_mov_b32 s4, 0x13a86d09
	v_mov_b32_e32 v3, 0x67f544e4
	v_mov_b32_e32 v4, 0xbe5ae645
	s_mov_b32 s5, 0x3de61246
	v_fma_f64 v[3:4], v[1:2], s[4:5], v[3:4]
	s_mov_b32 s4, 0xa556c734
	s_mov_b32 s5, 0x3ec71de3
	v_fma_f64 v[3:4], v[1:2], v[3:4], s[4:5]
	s_mov_b32 s4, 0x1a01a01a
	;; [unrolled: 3-line block ×4, first 2 shown]
	s_mov_b32 s5, 0xbfc55555
	v_fma_f64 v[3:4], v[1:2], v[3:4], s[4:5]
	v_fma_f64 v[3:4], v[1:2], v[3:4], 1.0
.LBB5_157:
	s_or_b64 exec, exec, s[0:1]
.LBB5_158:
	s_or_b64 exec, exec, s[2:3]
	v_add_u32_e32 v7, 0x80, v7
	global_store_dwordx2 v0, v[3:4], s[16:17]
	s_or_b64 exec, exec, s[48:49]
	v_cmp_gt_i32_e32 vcc, s55, v7
	s_and_saveexec_b64 s[48:49], vcc
	s_cbranch_execnz .LBB5_134
.LBB5_159:
	s_or_b64 exec, exec, s[48:49]
	v_cmp_gt_i32_e32 vcc, s55, v7
	s_and_saveexec_b64 s[48:49], vcc
	s_cbranch_execnz .LBB5_180
.LBB5_160:
	s_or_b64 exec, exec, s[48:49]
                                        ; implicit-def: $vgpr11
                                        ; implicit-def: $vgpr7
	s_andn2_saveexec_b64 s[0:1], s[38:39]
	s_cbranch_execnz .LBB5_8
.LBB5_161:
	s_endpgm
.LBB5_162:
	s_mov_b32 s57, 0
	v_mov_b32_e32 v0, 0
	v_mov_b32_e32 v2, 0
	;; [unrolled: 1-line block ×3, first 2 shown]
.LBB5_163:
	s_and_b32 s4, s58, 3
	s_cmp_eq_u32 s4, 0
	s_cbranch_scc1 .LBB5_166
; %bb.164:
	s_lshl_b32 s0, s57, 3
	s_add_u32 s0, s34, s0
	s_addc_u32 s1, s35, 0
	s_add_u32 s0, s0, 0xc4
	s_addc_u32 s1, s1, 0
	s_mul_i32 s2, s57, 12
	s_add_u32 s2, s34, s2
	s_addc_u32 s3, s35, 0
.LBB5_165:                              ; =>This Inner Loop Header: Depth=1
	s_load_dwordx2 s[6:7], s[2:3], 0x4
	s_load_dword s5, s[2:3], 0xc
	s_load_dwordx2 s[8:9], s[0:1], 0x0
	s_add_u32 s2, s2, 12
	s_addc_u32 s3, s3, 0
	s_waitcnt lgkmcnt(0)
	v_mul_hi_u32 v3, s7, v1
	s_add_u32 s0, s0, 8
	s_addc_u32 s1, s1, 0
	s_add_i32 s4, s4, -1
	v_add_u32_e32 v3, v1, v3
	v_lshrrev_b32_e32 v4, s5, v3
	v_mul_lo_u32 v3, v4, s6
	s_cmp_lg_u32 s4, 0
	v_sub_u32_e32 v3, v1, v3
	v_mad_u64_u32 v[0:1], s[6:7], v3, s8, v[0:1]
	v_mad_u64_u32 v[2:3], s[6:7], v3, s9, v[2:3]
	v_mov_b32_e32 v1, v4
	s_cbranch_scc1 .LBB5_165
.LBB5_166:
	s_cbranch_execnz .LBB5_169
.LBB5_167:
	s_waitcnt lgkmcnt(0)
	v_mul_hi_u32 v0, s25, v7
	s_andn2_b64 vcc, exec, s[42:43]
	v_add_u32_e32 v0, v7, v0
	v_lshrrev_b32_e32 v1, s26, v0
	v_mul_lo_u32 v0, v1, s24
	v_sub_u32_e32 v2, v7, v0
	v_mul_lo_u32 v0, v2, s20
	v_mul_lo_u32 v2, v2, s21
	s_cbranch_vccnz .LBB5_169
; %bb.168:
	v_mul_hi_u32 v3, s40, v1
	v_add_u32_e32 v3, v1, v3
	v_lshrrev_b32_e32 v3, s41, v3
	v_mul_lo_u32 v3, v3, s27
	v_sub_u32_e32 v3, v1, v3
	v_mad_u64_u32 v[0:1], s[0:1], v3, s22, v[0:1]
	v_mad_u64_u32 v[2:3], s[0:1], v3, s23, v[2:3]
.LBB5_169:
	s_waitcnt lgkmcnt(0)
	global_load_dwordx2 v[1:2], v2, s[18:19]
	s_mov_b32 s0, 0
	s_mov_b32 s1, 0x7ff00000
	v_mov_b32_e32 v3, 0
	v_mov_b32_e32 v4, 0
	s_waitcnt vmcnt(0)
	v_cmp_neq_f64_e64 s[0:1], |v[1:2]|, s[0:1]
	s_and_saveexec_b64 s[2:3], s[0:1]
	s_cbranch_execz .LBB5_179
; %bb.170:
	v_cmp_nlt_f64_e64 s[0:1], |v[1:2]|, 0.5
                                        ; implicit-def: $vgpr3_vgpr4
	s_and_saveexec_b64 s[4:5], s[0:1]
	s_xor_b64 s[4:5], exec, s[4:5]
	s_cbranch_execz .LBB5_176
; %bb.171:
	s_mov_b32 s0, 0
	s_mov_b32 s1, 0x41d00000
	v_cmp_nlt_f64_e64 s[0:1], |v[1:2]|, s[0:1]
                                        ; implicit-def: $vgpr8
                                        ; implicit-def: $vgpr3_vgpr4
                                        ; implicit-def: $vgpr5_vgpr6
	s_and_saveexec_b64 s[6:7], s[0:1]
	s_xor_b64 s[6:7], exec, s[6:7]
	s_cbranch_execz .LBB5_173
; %bb.172:
	v_trig_preop_f64 v[3:4], |v[1:2]|, 0
	s_mov_b32 s0, 0
	s_mov_b32 s1, 0x7b000000
	s_movk_i32 s8, 0xff80
	v_ldexp_f64 v[8:9], |v[1:2]|, s8
	v_cmp_ge_f64_e64 vcc, |v[1:2]|, s[0:1]
	v_trig_preop_f64 v[5:6], |v[1:2]|, 1
	v_and_b32_e32 v10, 0x7fffffff, v2
	v_trig_preop_f64 v[16:17], |v[1:2]|, 2
	s_mov_b32 s0, 0
	s_mov_b32 s1, 0x7ff00000
	v_mov_b32_e32 v27, 0x40100000
	v_mov_b32_e32 v26, 0
	v_cndmask_b32_e32 v9, v10, v9, vcc
	v_cndmask_b32_e32 v8, v1, v8, vcc
	s_mov_b32 s8, 0x33145c07
	v_mul_f64 v[10:11], v[3:4], v[8:9]
	s_mov_b32 s9, 0x3c91a626
	v_mul_f64 v[12:13], v[5:6], v[8:9]
	v_mul_f64 v[22:23], v[16:17], v[8:9]
	v_fma_f64 v[3:4], v[3:4], v[8:9], -v[10:11]
	v_fma_f64 v[5:6], v[5:6], v[8:9], -v[12:13]
	;; [unrolled: 1-line block ×3, first 2 shown]
	v_add_f64 v[14:15], v[12:13], v[3:4]
	v_add_f64 v[18:19], v[14:15], -v[12:13]
	v_add_f64 v[24:25], v[10:11], v[14:15]
	v_add_f64 v[20:21], v[14:15], -v[18:19]
	v_add_f64 v[3:4], v[3:4], -v[18:19]
	v_add_f64 v[18:19], v[22:23], v[5:6]
	v_add_f64 v[10:11], v[24:25], -v[10:11]
	v_add_f64 v[12:13], v[12:13], -v[20:21]
	v_ldexp_f64 v[20:21], v[24:25], -2
	v_add_f64 v[28:29], v[18:19], -v[22:23]
	v_add_f64 v[10:11], v[14:15], -v[10:11]
	v_add_f64 v[3:4], v[3:4], v[12:13]
	v_fract_f64_e32 v[12:13], v[20:21]
	v_cmp_neq_f64_e64 vcc, |v[20:21]|, s[0:1]
	v_add_f64 v[5:6], v[5:6], -v[28:29]
	v_add_f64 v[14:15], v[18:19], v[3:4]
	v_ldexp_f64 v[12:13], v[12:13], 2
	v_add_f64 v[20:21], v[10:11], v[14:15]
	v_cndmask_b32_e32 v13, 0, v13, vcc
	v_cndmask_b32_e32 v12, 0, v12, vcc
	v_add_f64 v[30:31], v[14:15], -v[18:19]
	v_add_f64 v[24:25], v[20:21], v[12:13]
	v_add_f64 v[10:11], v[20:21], -v[10:11]
	v_add_f64 v[32:33], v[14:15], -v[30:31]
	v_add_f64 v[3:4], v[3:4], -v[30:31]
	v_cmp_gt_f64_e32 vcc, 0, v[24:25]
	v_add_f64 v[24:25], v[18:19], -v[28:29]
	v_add_f64 v[10:11], v[14:15], -v[10:11]
	;; [unrolled: 1-line block ×3, first 2 shown]
	v_cndmask_b32_e32 v27, 0, v27, vcc
	v_add_f64 v[12:13], v[12:13], v[26:27]
	v_add_f64 v[24:25], v[22:23], -v[24:25]
	v_add_f64 v[3:4], v[3:4], v[18:19]
	v_add_f64 v[34:35], v[20:21], v[12:13]
	;; [unrolled: 1-line block ×3, first 2 shown]
	v_cvt_i32_f64_e32 v29, v[34:35]
	v_add_f64 v[3:4], v[5:6], v[3:4]
	v_cvt_f64_i32_e32 v[27:28], v29
	v_add_f64 v[12:13], v[12:13], -v[27:28]
	v_add_f64 v[3:4], v[8:9], v[3:4]
	v_add_f64 v[5:6], v[20:21], v[12:13]
	;; [unrolled: 1-line block ×3, first 2 shown]
	v_mov_b32_e32 v11, 0x3ff00000
	v_add_f64 v[8:9], v[5:6], -v[12:13]
	v_cmp_le_f64_e32 vcc, 0.5, v[5:6]
	v_add_f64 v[9:10], v[20:21], -v[8:9]
	v_cndmask_b32_e32 v27, 0, v11, vcc
	v_add_f64 v[5:6], v[5:6], -v[26:27]
	v_addc_co_u32_e64 v8, s[0:1], 0, v29, vcc
	s_mov_b32 s0, 0x54442d18
	s_mov_b32 s1, 0x3ff921fb
	v_add_f64 v[3:4], v[3:4], v[9:10]
	v_add_f64 v[9:10], v[5:6], v[3:4]
	v_mul_f64 v[11:12], v[9:10], s[0:1]
	v_add_f64 v[5:6], v[9:10], -v[5:6]
	v_fma_f64 v[13:14], v[9:10], s[0:1], -v[11:12]
	v_add_f64 v[3:4], v[3:4], -v[5:6]
	v_fma_f64 v[5:6], v[9:10], s[8:9], v[13:14]
	v_fma_f64 v[5:6], v[3:4], s[0:1], v[5:6]
	v_add_f64 v[3:4], v[11:12], v[5:6]
	v_add_f64 v[9:10], v[3:4], -v[11:12]
	v_add_f64 v[5:6], v[5:6], -v[9:10]
.LBB5_173:
	s_andn2_saveexec_b64 s[0:1], s[6:7]
	s_cbranch_execz .LBB5_175
; %bb.174:
	s_mov_b32 s6, 0x6dc9c883
	s_mov_b32 s7, 0x3fe45f30
	v_mul_f64 v[3:4], |v[1:2]|, s[6:7]
	s_mov_b32 s6, 0x54442d18
	s_mov_b32 s7, 0xbff921fb
	;; [unrolled: 1-line block ×4, first 2 shown]
	v_rndne_f64_e32 v[8:9], v[3:4]
	v_fma_f64 v[3:4], v[8:9], s[6:7], |v[1:2]|
	v_mul_f64 v[5:6], v[8:9], s[8:9]
	s_mov_b32 s6, 0x252049c0
	s_mov_b32 s7, 0xb97b839a
	v_fma_f64 v[14:15], v[8:9], s[8:9], v[3:4]
	v_add_f64 v[10:11], v[3:4], v[5:6]
	s_mov_b32 s9, 0x3c91a626
	v_add_f64 v[12:13], v[3:4], -v[10:11]
	v_add_f64 v[10:11], v[10:11], -v[14:15]
	v_add_f64 v[3:4], v[12:13], v[5:6]
	v_fma_f64 v[5:6], v[8:9], s[8:9], v[5:6]
	v_add_f64 v[3:4], v[10:11], v[3:4]
	v_add_f64 v[3:4], v[3:4], -v[5:6]
	v_fma_f64 v[5:6], v[8:9], s[6:7], v[3:4]
	v_cvt_i32_f64_e32 v8, v[8:9]
	v_add_f64 v[3:4], v[14:15], v[5:6]
	v_add_f64 v[10:11], v[3:4], -v[14:15]
	v_add_f64 v[5:6], v[5:6], -v[10:11]
.LBB5_175:
	s_or_b64 exec, exec, s[0:1]
	v_mul_f64 v[9:10], v[3:4], v[3:4]
	s_mov_b32 s0, 0xf9a43bb8
	v_mov_b32_e32 v12, 0xb42fdfa7
	v_mov_b32_e32 v13, 0xbe5ae600
	s_mov_b32 s1, 0x3de5e0b2
	s_mov_b32 s6, 0x796cde01
	v_mov_b32_e32 v11, 0x9037ab78
	s_mov_b32 s7, 0x3ec71de3
	v_fma_f64 v[13:14], v[9:10], s[0:1], v[12:13]
	s_mov_b32 s0, 0x46cc5e42
	v_mov_b32_e32 v12, 0x3e21eeb6
	s_mov_b32 s1, 0xbda907db
	v_fma_f64 v[11:12], v[9:10], s[0:1], v[11:12]
	v_mul_f64 v[15:16], v[9:10], 0.5
	s_mov_b32 s0, 0xa17f65f6
	s_mov_b32 s8, 0x19e83e5c
	v_fma_f64 v[13:14], v[9:10], v[13:14], s[6:7]
	s_mov_b32 s1, 0xbe927e4f
	s_mov_b32 s9, 0xbf2a01a0
	;; [unrolled: 1-line block ×3, first 2 shown]
	v_fma_f64 v[11:12], v[9:10], v[11:12], s[0:1]
	v_add_f64 v[17:18], -v[15:16], 1.0
	s_mov_b32 s0, 0x11110bb3
	s_mov_b32 s7, 0x3efa01a0
	v_fma_f64 v[13:14], v[9:10], v[13:14], s[8:9]
	s_mov_b32 s1, 0x3f811111
	v_mul_f64 v[19:20], v[5:6], 0.5
	v_mul_f64 v[21:22], v[3:4], -v[9:10]
	v_fma_f64 v[11:12], v[9:10], v[11:12], s[6:7]
	v_add_f64 v[23:24], -v[17:18], 1.0
	v_fma_f64 v[13:14], v[9:10], v[13:14], s[0:1]
	s_mov_b32 s0, 0x16c16967
	s_mov_b32 s1, 0xbf56c16c
	v_fma_f64 v[11:12], v[9:10], v[11:12], s[0:1]
	v_add_f64 v[15:16], v[23:24], -v[15:16]
	s_mov_b32 s1, 0x3fa55555
	s_mov_b32 s0, 0x55555555
	v_fma_f64 v[13:14], v[21:22], v[13:14], v[19:20]
	v_mul_f64 v[19:20], v[9:10], v[9:10]
	v_fma_f64 v[11:12], v[9:10], v[11:12], s[0:1]
	v_fma_f64 v[15:16], v[3:4], -v[5:6], v[15:16]
	s_mov_b32 s1, 0xbfc55555
	v_fma_f64 v[5:6], v[9:10], v[13:14], -v[5:6]
	v_fma_f64 v[9:10], v[19:20], v[11:12], v[15:16]
	v_fma_f64 v[5:6], v[21:22], s[0:1], v[5:6]
	s_movk_i32 s0, 0x1f8
	v_cmp_class_f64_e64 s[0:1], v[1:2], s0
	v_add_f64 v[9:10], v[17:18], v[9:10]
	v_add_f64 v[3:4], v[3:4], -v[5:6]
	v_and_b32_e32 v5, 1, v8
	v_cmp_eq_u32_e32 vcc, 0, v5
	v_lshlrev_b32_e32 v5, 30, v8
	v_xor_b32_e32 v5, v5, v2
	v_and_b32_e32 v5, 0x80000000, v5
	v_mov_b32_e32 v6, 0x7ff80000
	v_cndmask_b32_e32 v4, v10, v4, vcc
	v_cndmask_b32_e32 v3, v9, v3, vcc
	v_xor_b32_e32 v4, v4, v5
	v_cndmask_b32_e64 v3, 0, v3, s[0:1]
	v_cndmask_b32_e64 v4, v6, v4, s[0:1]
	v_div_scale_f64 v[5:6], s[0:1], v[1:2], v[1:2], v[3:4]
	v_div_scale_f64 v[12:13], vcc, v[3:4], v[1:2], v[3:4]
	v_rcp_f64_e32 v[8:9], v[5:6]
	v_fma_f64 v[10:11], -v[5:6], v[8:9], 1.0
	v_fma_f64 v[8:9], v[8:9], v[10:11], v[8:9]
	v_fma_f64 v[10:11], -v[5:6], v[8:9], 1.0
	v_fma_f64 v[8:9], v[8:9], v[10:11], v[8:9]
	v_mul_f64 v[10:11], v[12:13], v[8:9]
	v_fma_f64 v[5:6], -v[5:6], v[10:11], v[12:13]
	v_div_fmas_f64 v[5:6], v[5:6], v[8:9], v[10:11]
	v_div_fixup_f64 v[3:4], v[5:6], v[1:2], v[3:4]
                                        ; implicit-def: $vgpr1_vgpr2
.LBB5_176:
	s_andn2_saveexec_b64 s[0:1], s[4:5]
	s_cbranch_execz .LBB5_178
; %bb.177:
	v_mul_f64 v[1:2], v[1:2], v[1:2]
	s_mov_b32 s4, 0x13a86d09
	v_mov_b32_e32 v3, 0x67f544e4
	v_mov_b32_e32 v4, 0xbe5ae645
	s_mov_b32 s5, 0x3de61246
	v_fma_f64 v[3:4], v[1:2], s[4:5], v[3:4]
	s_mov_b32 s4, 0xa556c734
	s_mov_b32 s5, 0x3ec71de3
	v_fma_f64 v[3:4], v[1:2], v[3:4], s[4:5]
	s_mov_b32 s4, 0x1a01a01a
	;; [unrolled: 3-line block ×4, first 2 shown]
	s_mov_b32 s5, 0xbfc55555
	v_fma_f64 v[3:4], v[1:2], v[3:4], s[4:5]
	v_fma_f64 v[3:4], v[1:2], v[3:4], 1.0
.LBB5_178:
	s_or_b64 exec, exec, s[0:1]
.LBB5_179:
	s_or_b64 exec, exec, s[2:3]
	v_add_u32_e32 v7, 0x80, v7
	global_store_dwordx2 v0, v[3:4], s[16:17]
	s_or_b64 exec, exec, s[48:49]
	v_cmp_gt_i32_e32 vcc, s55, v7
	s_and_saveexec_b64 s[48:49], vcc
	s_cbranch_execz .LBB5_160
.LBB5_180:
	s_andn2_b64 vcc, exec, s[36:37]
	s_cbranch_vccnz .LBB5_185
; %bb.181:
	s_andn2_b64 vcc, exec, s[46:47]
	s_cbranch_vccnz .LBB5_186
; %bb.182:
	s_add_i32 s56, s56, 1
	s_cmp_eq_u32 s54, 2
	s_cbranch_scc1 .LBB5_187
; %bb.183:
	s_and_b32 s50, s56, 28
	v_mov_b32_e32 v2, 0
	s_mov_b32 s51, 0
	s_mov_b64 s[46:47], s[34:35]
	v_mov_b32_e32 v0, 0
	v_mov_b32_e32 v1, v7
.LBB5_184:                              ; =>This Inner Loop Header: Depth=1
	s_load_dwordx8 s[8:15], s[46:47], 0x4
	s_load_dwordx4 s[28:31], s[46:47], 0x24
	s_load_dwordx8 s[0:7], s[44:45], 0x0
	s_add_u32 s46, s46, 48
	s_addc_u32 s47, s47, 0
	s_waitcnt lgkmcnt(0)
	v_mul_hi_u32 v3, s9, v1
	s_add_i32 s51, s51, 4
	s_add_u32 s44, s44, 32
	s_addc_u32 s45, s45, 0
	v_add_u32_e32 v3, v1, v3
	v_lshrrev_b32_e32 v3, s10, v3
	v_mul_lo_u32 v4, v3, s8
	v_mul_hi_u32 v5, s12, v3
	s_cmp_eq_u32 s50, s51
	v_sub_u32_e32 v1, v1, v4
	v_add_u32_e32 v4, v3, v5
	v_mul_lo_u32 v5, v1, s0
	v_mul_lo_u32 v6, v1, s1
	v_lshrrev_b32_e32 v1, s13, v4
	v_mul_lo_u32 v4, v1, s11
	v_mul_hi_u32 v8, s15, v1
	v_sub_u32_e32 v3, v3, v4
	v_add_u32_e32 v4, v1, v8
	v_lshrrev_b32_e32 v4, s28, v4
	v_mul_hi_u32 v9, s30, v4
	v_mul_lo_u32 v10, v4, s14
	v_mul_lo_u32 v8, v3, s2
	;; [unrolled: 1-line block ×3, first 2 shown]
	v_sub_u32_e32 v10, v1, v10
	v_add_u32_e32 v1, v4, v9
	v_lshrrev_b32_e32 v1, s31, v1
	v_mul_lo_u32 v9, v1, s29
	v_mul_lo_u32 v11, v10, s4
	;; [unrolled: 1-line block ×3, first 2 shown]
	v_add3_u32 v0, v5, v0, v8
	v_sub_u32_e32 v4, v4, v9
	v_mul_lo_u32 v9, v4, s6
	v_mul_lo_u32 v4, v4, s7
	v_add3_u32 v2, v6, v2, v3
	v_add3_u32 v0, v11, v0, v9
	;; [unrolled: 1-line block ×3, first 2 shown]
	s_cbranch_scc0 .LBB5_184
	s_branch .LBB5_188
.LBB5_185:
                                        ; implicit-def: $vgpr0
                                        ; implicit-def: $vgpr2
	s_branch .LBB5_192
.LBB5_186:
	v_mov_b32_e32 v0, 0
	v_mov_b32_e32 v2, 0
	s_branch .LBB5_191
.LBB5_187:
	s_mov_b32 s50, 0
	v_mov_b32_e32 v0, 0
	v_mov_b32_e32 v2, 0
	;; [unrolled: 1-line block ×3, first 2 shown]
.LBB5_188:
	s_and_b32 s4, s56, 3
	s_cmp_eq_u32 s4, 0
	s_cbranch_scc1 .LBB5_191
; %bb.189:
	s_lshl_b32 s0, s50, 3
	s_add_u32 s0, s34, s0
	s_addc_u32 s1, s35, 0
	s_add_u32 s0, s0, 0xc4
	s_addc_u32 s1, s1, 0
	s_mul_i32 s2, s50, 12
	s_add_u32 s2, s34, s2
	s_addc_u32 s3, s35, 0
.LBB5_190:                              ; =>This Inner Loop Header: Depth=1
	s_load_dwordx2 s[6:7], s[2:3], 0x4
	s_load_dword s5, s[2:3], 0xc
	s_load_dwordx2 s[8:9], s[0:1], 0x0
	s_add_u32 s2, s2, 12
	s_addc_u32 s3, s3, 0
	s_waitcnt lgkmcnt(0)
	v_mul_hi_u32 v3, s7, v1
	s_add_u32 s0, s0, 8
	s_addc_u32 s1, s1, 0
	s_add_i32 s4, s4, -1
	v_add_u32_e32 v3, v1, v3
	v_lshrrev_b32_e32 v4, s5, v3
	v_mul_lo_u32 v3, v4, s6
	s_cmp_lg_u32 s4, 0
	v_sub_u32_e32 v3, v1, v3
	v_mad_u64_u32 v[0:1], s[6:7], v3, s8, v[0:1]
	v_mad_u64_u32 v[2:3], s[6:7], v3, s9, v[2:3]
	v_mov_b32_e32 v1, v4
	s_cbranch_scc1 .LBB5_190
.LBB5_191:
	s_cbranch_execnz .LBB5_194
.LBB5_192:
	s_waitcnt lgkmcnt(0)
	v_mul_hi_u32 v0, s25, v7
	s_andn2_b64 vcc, exec, s[42:43]
	v_add_u32_e32 v0, v7, v0
	v_lshrrev_b32_e32 v1, s26, v0
	v_mul_lo_u32 v0, v1, s24
	v_sub_u32_e32 v2, v7, v0
	v_mul_lo_u32 v0, v2, s20
	v_mul_lo_u32 v2, v2, s21
	s_cbranch_vccnz .LBB5_194
; %bb.193:
	v_mul_hi_u32 v3, s40, v1
	v_add_u32_e32 v3, v1, v3
	v_lshrrev_b32_e32 v3, s41, v3
	v_mul_lo_u32 v3, v3, s27
	v_sub_u32_e32 v3, v1, v3
	v_mad_u64_u32 v[0:1], s[0:1], v3, s22, v[0:1]
	v_mad_u64_u32 v[2:3], s[0:1], v3, s23, v[2:3]
.LBB5_194:
	s_waitcnt lgkmcnt(0)
	global_load_dwordx2 v[1:2], v2, s[18:19]
	s_mov_b32 s0, 0
	s_mov_b32 s1, 0x7ff00000
	v_mov_b32_e32 v3, 0
	v_mov_b32_e32 v4, 0
	s_waitcnt vmcnt(0)
	v_cmp_neq_f64_e64 s[0:1], |v[1:2]|, s[0:1]
	s_and_saveexec_b64 s[2:3], s[0:1]
	s_cbranch_execz .LBB5_204
; %bb.195:
	v_cmp_nlt_f64_e64 s[0:1], |v[1:2]|, 0.5
                                        ; implicit-def: $vgpr3_vgpr4
	s_and_saveexec_b64 s[4:5], s[0:1]
	s_xor_b64 s[4:5], exec, s[4:5]
	s_cbranch_execz .LBB5_201
; %bb.196:
	s_mov_b32 s0, 0
	s_mov_b32 s1, 0x41d00000
	v_cmp_nlt_f64_e64 s[0:1], |v[1:2]|, s[0:1]
                                        ; implicit-def: $vgpr7
                                        ; implicit-def: $vgpr3_vgpr4
                                        ; implicit-def: $vgpr5_vgpr6
	s_and_saveexec_b64 s[6:7], s[0:1]
	s_xor_b64 s[6:7], exec, s[6:7]
	s_cbranch_execz .LBB5_198
; %bb.197:
	v_trig_preop_f64 v[3:4], |v[1:2]|, 0
	s_mov_b32 s0, 0
	s_mov_b32 s1, 0x7b000000
	s_movk_i32 s8, 0xff80
	v_ldexp_f64 v[7:8], |v[1:2]|, s8
	v_cmp_ge_f64_e64 vcc, |v[1:2]|, s[0:1]
	v_trig_preop_f64 v[5:6], |v[1:2]|, 1
	v_and_b32_e32 v9, 0x7fffffff, v2
	v_trig_preop_f64 v[15:16], |v[1:2]|, 2
	s_mov_b32 s0, 0
	s_mov_b32 s1, 0x7ff00000
	v_mov_b32_e32 v26, 0x40100000
	v_mov_b32_e32 v25, 0
	v_cndmask_b32_e32 v8, v9, v8, vcc
	v_cndmask_b32_e32 v7, v1, v7, vcc
	s_mov_b32 s8, 0x33145c07
	v_mul_f64 v[9:10], v[3:4], v[7:8]
	s_mov_b32 s9, 0x3c91a626
	v_mul_f64 v[11:12], v[5:6], v[7:8]
	v_mul_f64 v[21:22], v[15:16], v[7:8]
	v_fma_f64 v[3:4], v[3:4], v[7:8], -v[9:10]
	v_fma_f64 v[5:6], v[5:6], v[7:8], -v[11:12]
	;; [unrolled: 1-line block ×3, first 2 shown]
	v_add_f64 v[13:14], v[11:12], v[3:4]
	v_add_f64 v[17:18], v[13:14], -v[11:12]
	v_add_f64 v[23:24], v[9:10], v[13:14]
	v_add_f64 v[19:20], v[13:14], -v[17:18]
	v_add_f64 v[3:4], v[3:4], -v[17:18]
	v_add_f64 v[17:18], v[21:22], v[5:6]
	v_add_f64 v[9:10], v[23:24], -v[9:10]
	v_add_f64 v[11:12], v[11:12], -v[19:20]
	v_ldexp_f64 v[19:20], v[23:24], -2
	v_add_f64 v[27:28], v[17:18], -v[21:22]
	v_add_f64 v[9:10], v[13:14], -v[9:10]
	v_add_f64 v[3:4], v[3:4], v[11:12]
	v_fract_f64_e32 v[11:12], v[19:20]
	v_cmp_neq_f64_e64 vcc, |v[19:20]|, s[0:1]
	v_add_f64 v[5:6], v[5:6], -v[27:28]
	v_add_f64 v[13:14], v[17:18], v[3:4]
	v_ldexp_f64 v[11:12], v[11:12], 2
	v_add_f64 v[19:20], v[9:10], v[13:14]
	v_cndmask_b32_e32 v12, 0, v12, vcc
	v_cndmask_b32_e32 v11, 0, v11, vcc
	v_add_f64 v[29:30], v[13:14], -v[17:18]
	v_add_f64 v[23:24], v[19:20], v[11:12]
	v_add_f64 v[9:10], v[19:20], -v[9:10]
	v_add_f64 v[31:32], v[13:14], -v[29:30]
	;; [unrolled: 1-line block ×3, first 2 shown]
	v_cmp_gt_f64_e32 vcc, 0, v[23:24]
	v_add_f64 v[23:24], v[17:18], -v[27:28]
	v_add_f64 v[9:10], v[13:14], -v[9:10]
	;; [unrolled: 1-line block ×3, first 2 shown]
	v_cndmask_b32_e32 v26, 0, v26, vcc
	v_add_f64 v[11:12], v[11:12], v[25:26]
	v_add_f64 v[23:24], v[21:22], -v[23:24]
	v_add_f64 v[3:4], v[3:4], v[17:18]
	v_add_f64 v[33:34], v[19:20], v[11:12]
	;; [unrolled: 1-line block ×3, first 2 shown]
	v_cvt_i32_f64_e32 v28, v[33:34]
	v_add_f64 v[3:4], v[5:6], v[3:4]
	v_cvt_f64_i32_e32 v[26:27], v28
	v_add_f64 v[11:12], v[11:12], -v[26:27]
	v_add_f64 v[3:4], v[7:8], v[3:4]
	v_add_f64 v[5:6], v[19:20], v[11:12]
	;; [unrolled: 1-line block ×3, first 2 shown]
	v_mov_b32_e32 v10, 0x3ff00000
	v_add_f64 v[7:8], v[5:6], -v[11:12]
	v_cmp_le_f64_e32 vcc, 0.5, v[5:6]
	v_add_f64 v[8:9], v[19:20], -v[7:8]
	v_cndmask_b32_e32 v26, 0, v10, vcc
	v_add_f64 v[5:6], v[5:6], -v[25:26]
	v_addc_co_u32_e64 v7, s[0:1], 0, v28, vcc
	s_mov_b32 s0, 0x54442d18
	s_mov_b32 s1, 0x3ff921fb
	v_add_f64 v[3:4], v[3:4], v[8:9]
	v_add_f64 v[8:9], v[5:6], v[3:4]
	v_mul_f64 v[10:11], v[8:9], s[0:1]
	v_add_f64 v[5:6], v[8:9], -v[5:6]
	v_fma_f64 v[12:13], v[8:9], s[0:1], -v[10:11]
	v_add_f64 v[3:4], v[3:4], -v[5:6]
	v_fma_f64 v[5:6], v[8:9], s[8:9], v[12:13]
	v_fma_f64 v[5:6], v[3:4], s[0:1], v[5:6]
	v_add_f64 v[3:4], v[10:11], v[5:6]
	v_add_f64 v[8:9], v[3:4], -v[10:11]
	v_add_f64 v[5:6], v[5:6], -v[8:9]
.LBB5_198:
	s_andn2_saveexec_b64 s[0:1], s[6:7]
	s_cbranch_execz .LBB5_200
; %bb.199:
	s_mov_b32 s6, 0x6dc9c883
	s_mov_b32 s7, 0x3fe45f30
	v_mul_f64 v[3:4], |v[1:2]|, s[6:7]
	s_mov_b32 s6, 0x54442d18
	s_mov_b32 s7, 0xbff921fb
	;; [unrolled: 1-line block ×4, first 2 shown]
	v_rndne_f64_e32 v[7:8], v[3:4]
	v_fma_f64 v[3:4], v[7:8], s[6:7], |v[1:2]|
	v_mul_f64 v[5:6], v[7:8], s[8:9]
	s_mov_b32 s6, 0x252049c0
	s_mov_b32 s7, 0xb97b839a
	v_fma_f64 v[13:14], v[7:8], s[8:9], v[3:4]
	v_add_f64 v[9:10], v[3:4], v[5:6]
	s_mov_b32 s9, 0x3c91a626
	v_add_f64 v[11:12], v[3:4], -v[9:10]
	v_add_f64 v[9:10], v[9:10], -v[13:14]
	v_add_f64 v[3:4], v[11:12], v[5:6]
	v_fma_f64 v[5:6], v[7:8], s[8:9], v[5:6]
	v_add_f64 v[3:4], v[9:10], v[3:4]
	v_add_f64 v[3:4], v[3:4], -v[5:6]
	v_fma_f64 v[5:6], v[7:8], s[6:7], v[3:4]
	v_cvt_i32_f64_e32 v7, v[7:8]
	v_add_f64 v[3:4], v[13:14], v[5:6]
	v_add_f64 v[9:10], v[3:4], -v[13:14]
	v_add_f64 v[5:6], v[5:6], -v[9:10]
.LBB5_200:
	s_or_b64 exec, exec, s[0:1]
	v_mul_f64 v[8:9], v[3:4], v[3:4]
	s_mov_b32 s0, 0xf9a43bb8
	v_mov_b32_e32 v11, 0xb42fdfa7
	v_mov_b32_e32 v12, 0xbe5ae600
	s_mov_b32 s1, 0x3de5e0b2
	s_mov_b32 s6, 0x796cde01
	v_mov_b32_e32 v10, 0x9037ab78
	s_mov_b32 s7, 0x3ec71de3
	v_fma_f64 v[12:13], v[8:9], s[0:1], v[11:12]
	s_mov_b32 s0, 0x46cc5e42
	v_mov_b32_e32 v11, 0x3e21eeb6
	s_mov_b32 s1, 0xbda907db
	v_fma_f64 v[10:11], v[8:9], s[0:1], v[10:11]
	v_mul_f64 v[14:15], v[8:9], 0.5
	s_mov_b32 s0, 0xa17f65f6
	s_mov_b32 s8, 0x19e83e5c
	v_fma_f64 v[12:13], v[8:9], v[12:13], s[6:7]
	s_mov_b32 s1, 0xbe927e4f
	s_mov_b32 s9, 0xbf2a01a0
	s_mov_b32 s6, 0x19f4ec90
	v_fma_f64 v[10:11], v[8:9], v[10:11], s[0:1]
	v_add_f64 v[16:17], -v[14:15], 1.0
	s_mov_b32 s0, 0x11110bb3
	s_mov_b32 s7, 0x3efa01a0
	v_fma_f64 v[12:13], v[8:9], v[12:13], s[8:9]
	s_mov_b32 s1, 0x3f811111
	v_mul_f64 v[18:19], v[5:6], 0.5
	v_mul_f64 v[20:21], v[3:4], -v[8:9]
	v_fma_f64 v[10:11], v[8:9], v[10:11], s[6:7]
	v_add_f64 v[22:23], -v[16:17], 1.0
	v_fma_f64 v[12:13], v[8:9], v[12:13], s[0:1]
	s_mov_b32 s0, 0x16c16967
	s_mov_b32 s1, 0xbf56c16c
	v_fma_f64 v[10:11], v[8:9], v[10:11], s[0:1]
	v_add_f64 v[14:15], v[22:23], -v[14:15]
	s_mov_b32 s1, 0x3fa55555
	s_mov_b32 s0, 0x55555555
	v_fma_f64 v[12:13], v[20:21], v[12:13], v[18:19]
	v_mul_f64 v[18:19], v[8:9], v[8:9]
	v_fma_f64 v[10:11], v[8:9], v[10:11], s[0:1]
	v_fma_f64 v[14:15], v[3:4], -v[5:6], v[14:15]
	s_mov_b32 s1, 0xbfc55555
	v_fma_f64 v[5:6], v[8:9], v[12:13], -v[5:6]
	v_fma_f64 v[8:9], v[18:19], v[10:11], v[14:15]
	v_fma_f64 v[5:6], v[20:21], s[0:1], v[5:6]
	s_movk_i32 s0, 0x1f8
	v_cmp_class_f64_e64 s[0:1], v[1:2], s0
	v_add_f64 v[8:9], v[16:17], v[8:9]
	v_add_f64 v[3:4], v[3:4], -v[5:6]
	v_and_b32_e32 v5, 1, v7
	v_cmp_eq_u32_e32 vcc, 0, v5
	v_lshlrev_b32_e32 v5, 30, v7
	v_xor_b32_e32 v5, v5, v2
	v_and_b32_e32 v5, 0x80000000, v5
	v_mov_b32_e32 v6, 0x7ff80000
	v_cndmask_b32_e32 v4, v9, v4, vcc
	v_cndmask_b32_e32 v3, v8, v3, vcc
	v_xor_b32_e32 v4, v4, v5
	v_cndmask_b32_e64 v3, 0, v3, s[0:1]
	v_cndmask_b32_e64 v4, v6, v4, s[0:1]
	v_div_scale_f64 v[5:6], s[0:1], v[1:2], v[1:2], v[3:4]
	v_div_scale_f64 v[11:12], vcc, v[3:4], v[1:2], v[3:4]
	v_rcp_f64_e32 v[7:8], v[5:6]
	v_fma_f64 v[9:10], -v[5:6], v[7:8], 1.0
	v_fma_f64 v[7:8], v[7:8], v[9:10], v[7:8]
	v_fma_f64 v[9:10], -v[5:6], v[7:8], 1.0
	v_fma_f64 v[7:8], v[7:8], v[9:10], v[7:8]
	v_mul_f64 v[9:10], v[11:12], v[7:8]
	v_fma_f64 v[5:6], -v[5:6], v[9:10], v[11:12]
	v_div_fmas_f64 v[5:6], v[5:6], v[7:8], v[9:10]
	v_div_fixup_f64 v[3:4], v[5:6], v[1:2], v[3:4]
                                        ; implicit-def: $vgpr1_vgpr2
.LBB5_201:
	s_andn2_saveexec_b64 s[0:1], s[4:5]
	s_cbranch_execz .LBB5_203
; %bb.202:
	v_mul_f64 v[1:2], v[1:2], v[1:2]
	s_mov_b32 s4, 0x13a86d09
	v_mov_b32_e32 v3, 0x67f544e4
	v_mov_b32_e32 v4, 0xbe5ae645
	s_mov_b32 s5, 0x3de61246
	v_fma_f64 v[3:4], v[1:2], s[4:5], v[3:4]
	s_mov_b32 s4, 0xa556c734
	s_mov_b32 s5, 0x3ec71de3
	v_fma_f64 v[3:4], v[1:2], v[3:4], s[4:5]
	s_mov_b32 s4, 0x1a01a01a
	;; [unrolled: 3-line block ×4, first 2 shown]
	s_mov_b32 s5, 0xbfc55555
	v_fma_f64 v[3:4], v[1:2], v[3:4], s[4:5]
	v_fma_f64 v[3:4], v[1:2], v[3:4], 1.0
.LBB5_203:
	s_or_b64 exec, exec, s[0:1]
.LBB5_204:
	s_or_b64 exec, exec, s[2:3]
	global_store_dwordx2 v0, v[3:4], s[16:17]
	s_or_b64 exec, exec, s[48:49]
                                        ; implicit-def: $vgpr11
                                        ; implicit-def: $vgpr7
	s_andn2_saveexec_b64 s[0:1], s[38:39]
	s_cbranch_execz .LBB5_161
	s_branch .LBB5_8
	.section	.rodata,"a",@progbits
	.p2align	6, 0x0
	.amdhsa_kernel _ZN2at6native32elementwise_kernel_manual_unrollILi128ELi4EZNS0_22gpu_kernel_impl_nocastIZZZNS0_12_GLOBAL__N_131spherical_bessel_j0_kernel_cudaERNS_18TensorIteratorBaseEENKUlvE_clEvENKUlvE_clEvEUldE_EEvS5_RKT_EUlibE_EEviT1_
		.amdhsa_group_segment_fixed_size 0
		.amdhsa_private_segment_fixed_size 0
		.amdhsa_kernarg_size 360
		.amdhsa_user_sgpr_count 6
		.amdhsa_user_sgpr_private_segment_buffer 1
		.amdhsa_user_sgpr_dispatch_ptr 0
		.amdhsa_user_sgpr_queue_ptr 0
		.amdhsa_user_sgpr_kernarg_segment_ptr 1
		.amdhsa_user_sgpr_dispatch_id 0
		.amdhsa_user_sgpr_flat_scratch_init 0
		.amdhsa_user_sgpr_private_segment_size 0
		.amdhsa_uses_dynamic_stack 0
		.amdhsa_system_sgpr_private_segment_wavefront_offset 0
		.amdhsa_system_sgpr_workgroup_id_x 1
		.amdhsa_system_sgpr_workgroup_id_y 0
		.amdhsa_system_sgpr_workgroup_id_z 0
		.amdhsa_system_sgpr_workgroup_info 0
		.amdhsa_system_vgpr_workitem_id 0
		.amdhsa_next_free_vgpr 46
		.amdhsa_next_free_sgpr 60
		.amdhsa_reserve_vcc 1
		.amdhsa_reserve_flat_scratch 0
		.amdhsa_float_round_mode_32 0
		.amdhsa_float_round_mode_16_64 0
		.amdhsa_float_denorm_mode_32 3
		.amdhsa_float_denorm_mode_16_64 3
		.amdhsa_dx10_clamp 1
		.amdhsa_ieee_mode 1
		.amdhsa_fp16_overflow 0
		.amdhsa_exception_fp_ieee_invalid_op 0
		.amdhsa_exception_fp_denorm_src 0
		.amdhsa_exception_fp_ieee_div_zero 0
		.amdhsa_exception_fp_ieee_overflow 0
		.amdhsa_exception_fp_ieee_underflow 0
		.amdhsa_exception_fp_ieee_inexact 0
		.amdhsa_exception_int_div_zero 0
	.end_amdhsa_kernel
	.section	.text._ZN2at6native32elementwise_kernel_manual_unrollILi128ELi4EZNS0_22gpu_kernel_impl_nocastIZZZNS0_12_GLOBAL__N_131spherical_bessel_j0_kernel_cudaERNS_18TensorIteratorBaseEENKUlvE_clEvENKUlvE_clEvEUldE_EEvS5_RKT_EUlibE_EEviT1_,"axG",@progbits,_ZN2at6native32elementwise_kernel_manual_unrollILi128ELi4EZNS0_22gpu_kernel_impl_nocastIZZZNS0_12_GLOBAL__N_131spherical_bessel_j0_kernel_cudaERNS_18TensorIteratorBaseEENKUlvE_clEvENKUlvE_clEvEUldE_EEvS5_RKT_EUlibE_EEviT1_,comdat
.Lfunc_end5:
	.size	_ZN2at6native32elementwise_kernel_manual_unrollILi128ELi4EZNS0_22gpu_kernel_impl_nocastIZZZNS0_12_GLOBAL__N_131spherical_bessel_j0_kernel_cudaERNS_18TensorIteratorBaseEENKUlvE_clEvENKUlvE_clEvEUldE_EEvS5_RKT_EUlibE_EEviT1_, .Lfunc_end5-_ZN2at6native32elementwise_kernel_manual_unrollILi128ELi4EZNS0_22gpu_kernel_impl_nocastIZZZNS0_12_GLOBAL__N_131spherical_bessel_j0_kernel_cudaERNS_18TensorIteratorBaseEENKUlvE_clEvENKUlvE_clEvEUldE_EEvS5_RKT_EUlibE_EEviT1_
                                        ; -- End function
	.set _ZN2at6native32elementwise_kernel_manual_unrollILi128ELi4EZNS0_22gpu_kernel_impl_nocastIZZZNS0_12_GLOBAL__N_131spherical_bessel_j0_kernel_cudaERNS_18TensorIteratorBaseEENKUlvE_clEvENKUlvE_clEvEUldE_EEvS5_RKT_EUlibE_EEviT1_.num_vgpr, 46
	.set _ZN2at6native32elementwise_kernel_manual_unrollILi128ELi4EZNS0_22gpu_kernel_impl_nocastIZZZNS0_12_GLOBAL__N_131spherical_bessel_j0_kernel_cudaERNS_18TensorIteratorBaseEENKUlvE_clEvENKUlvE_clEvEUldE_EEvS5_RKT_EUlibE_EEviT1_.num_agpr, 0
	.set _ZN2at6native32elementwise_kernel_manual_unrollILi128ELi4EZNS0_22gpu_kernel_impl_nocastIZZZNS0_12_GLOBAL__N_131spherical_bessel_j0_kernel_cudaERNS_18TensorIteratorBaseEENKUlvE_clEvENKUlvE_clEvEUldE_EEvS5_RKT_EUlibE_EEviT1_.numbered_sgpr, 60
	.set _ZN2at6native32elementwise_kernel_manual_unrollILi128ELi4EZNS0_22gpu_kernel_impl_nocastIZZZNS0_12_GLOBAL__N_131spherical_bessel_j0_kernel_cudaERNS_18TensorIteratorBaseEENKUlvE_clEvENKUlvE_clEvEUldE_EEvS5_RKT_EUlibE_EEviT1_.num_named_barrier, 0
	.set _ZN2at6native32elementwise_kernel_manual_unrollILi128ELi4EZNS0_22gpu_kernel_impl_nocastIZZZNS0_12_GLOBAL__N_131spherical_bessel_j0_kernel_cudaERNS_18TensorIteratorBaseEENKUlvE_clEvENKUlvE_clEvEUldE_EEvS5_RKT_EUlibE_EEviT1_.private_seg_size, 0
	.set _ZN2at6native32elementwise_kernel_manual_unrollILi128ELi4EZNS0_22gpu_kernel_impl_nocastIZZZNS0_12_GLOBAL__N_131spherical_bessel_j0_kernel_cudaERNS_18TensorIteratorBaseEENKUlvE_clEvENKUlvE_clEvEUldE_EEvS5_RKT_EUlibE_EEviT1_.uses_vcc, 1
	.set _ZN2at6native32elementwise_kernel_manual_unrollILi128ELi4EZNS0_22gpu_kernel_impl_nocastIZZZNS0_12_GLOBAL__N_131spherical_bessel_j0_kernel_cudaERNS_18TensorIteratorBaseEENKUlvE_clEvENKUlvE_clEvEUldE_EEvS5_RKT_EUlibE_EEviT1_.uses_flat_scratch, 0
	.set _ZN2at6native32elementwise_kernel_manual_unrollILi128ELi4EZNS0_22gpu_kernel_impl_nocastIZZZNS0_12_GLOBAL__N_131spherical_bessel_j0_kernel_cudaERNS_18TensorIteratorBaseEENKUlvE_clEvENKUlvE_clEvEUldE_EEvS5_RKT_EUlibE_EEviT1_.has_dyn_sized_stack, 0
	.set _ZN2at6native32elementwise_kernel_manual_unrollILi128ELi4EZNS0_22gpu_kernel_impl_nocastIZZZNS0_12_GLOBAL__N_131spherical_bessel_j0_kernel_cudaERNS_18TensorIteratorBaseEENKUlvE_clEvENKUlvE_clEvEUldE_EEvS5_RKT_EUlibE_EEviT1_.has_recursion, 0
	.set _ZN2at6native32elementwise_kernel_manual_unrollILi128ELi4EZNS0_22gpu_kernel_impl_nocastIZZZNS0_12_GLOBAL__N_131spherical_bessel_j0_kernel_cudaERNS_18TensorIteratorBaseEENKUlvE_clEvENKUlvE_clEvEUldE_EEvS5_RKT_EUlibE_EEviT1_.has_indirect_call, 0
	.section	.AMDGPU.csdata,"",@progbits
; Kernel info:
; codeLenInByte = 18608
; TotalNumSgprs: 64
; NumVgprs: 46
; ScratchSize: 0
; MemoryBound: 0
; FloatMode: 240
; IeeeMode: 1
; LDSByteSize: 0 bytes/workgroup (compile time only)
; SGPRBlocks: 7
; VGPRBlocks: 11
; NumSGPRsForWavesPerEU: 64
; NumVGPRsForWavesPerEU: 46
; Occupancy: 5
; WaveLimiterHint : 1
; COMPUTE_PGM_RSRC2:SCRATCH_EN: 0
; COMPUTE_PGM_RSRC2:USER_SGPR: 6
; COMPUTE_PGM_RSRC2:TRAP_HANDLER: 0
; COMPUTE_PGM_RSRC2:TGID_X_EN: 1
; COMPUTE_PGM_RSRC2:TGID_Y_EN: 0
; COMPUTE_PGM_RSRC2:TGID_Z_EN: 0
; COMPUTE_PGM_RSRC2:TIDIG_COMP_CNT: 0
	.section	.text._ZN2at6native32elementwise_kernel_manual_unrollILi128ELi4EZNS0_15gpu_kernel_implIZZZNS0_12_GLOBAL__N_131spherical_bessel_j0_kernel_cudaERNS_18TensorIteratorBaseEENKUlvE_clEvENKUlvE_clEvEUldE_EEvS5_RKT_EUlibE_EEviT1_,"axG",@progbits,_ZN2at6native32elementwise_kernel_manual_unrollILi128ELi4EZNS0_15gpu_kernel_implIZZZNS0_12_GLOBAL__N_131spherical_bessel_j0_kernel_cudaERNS_18TensorIteratorBaseEENKUlvE_clEvENKUlvE_clEvEUldE_EEvS5_RKT_EUlibE_EEviT1_,comdat
	.globl	_ZN2at6native32elementwise_kernel_manual_unrollILi128ELi4EZNS0_15gpu_kernel_implIZZZNS0_12_GLOBAL__N_131spherical_bessel_j0_kernel_cudaERNS_18TensorIteratorBaseEENKUlvE_clEvENKUlvE_clEvEUldE_EEvS5_RKT_EUlibE_EEviT1_ ; -- Begin function _ZN2at6native32elementwise_kernel_manual_unrollILi128ELi4EZNS0_15gpu_kernel_implIZZZNS0_12_GLOBAL__N_131spherical_bessel_j0_kernel_cudaERNS_18TensorIteratorBaseEENKUlvE_clEvENKUlvE_clEvEUldE_EEvS5_RKT_EUlibE_EEviT1_
	.p2align	8
	.type	_ZN2at6native32elementwise_kernel_manual_unrollILi128ELi4EZNS0_15gpu_kernel_implIZZZNS0_12_GLOBAL__N_131spherical_bessel_j0_kernel_cudaERNS_18TensorIteratorBaseEENKUlvE_clEvENKUlvE_clEvEUldE_EEvS5_RKT_EUlibE_EEviT1_,@function
_ZN2at6native32elementwise_kernel_manual_unrollILi128ELi4EZNS0_15gpu_kernel_implIZZZNS0_12_GLOBAL__N_131spherical_bessel_j0_kernel_cudaERNS_18TensorIteratorBaseEENKUlvE_clEvENKUlvE_clEvEUldE_EEvS5_RKT_EUlibE_EEviT1_: ; @_ZN2at6native32elementwise_kernel_manual_unrollILi128ELi4EZNS0_15gpu_kernel_implIZZZNS0_12_GLOBAL__N_131spherical_bessel_j0_kernel_cudaERNS_18TensorIteratorBaseEENKUlvE_clEvENKUlvE_clEvEUldE_EEvS5_RKT_EUlibE_EEviT1_
; %bb.0:
	v_mov_b32_e32 v1, 0
	global_load_ushort v1, v1, s[4:5] offset:33
	s_load_dwordx4 s[8:11], s[4:5], 0x8
	s_load_dwordx2 s[2:3], s[4:5], 0x18
	s_load_dword s38, s[4:5], 0x0
	v_lshl_or_b32 v14, s6, 9, v0
	v_or_b32_e32 v0, 0x180, v14
	s_mov_b64 s[12:13], 0
	s_mov_b64 s[6:7], 0
	s_waitcnt lgkmcnt(0)
	v_cmp_le_i32_e32 vcc, s38, v0
	s_waitcnt vmcnt(0)
	v_readfirstlane_b32 s33, v1
	s_and_b32 s0, 0xffff, s33
	s_lshr_b32 s42, s0, 8
	s_and_saveexec_b64 s[0:1], vcc
	s_xor_b64 s[4:5], exec, s[0:1]
	s_cbranch_execz .LBB6_1067
; %bb.1:
	v_cmp_gt_i32_e32 vcc, s38, v14
	s_mov_b64 s[18:19], -1
	s_mov_b64 s[20:21], 0
	s_mov_b64 s[14:15], 0
	s_and_saveexec_b64 s[16:17], vcc
	s_cbranch_execz .LBB6_262
; %bb.2:
	v_mul_lo_u32 v0, v14, s3
	v_mov_b32_e32 v1, s11
	s_and_b32 s22, 0xffff, s42
	s_cmp_lt_i32 s22, 11
	v_ashrrev_i32_e32 v2, 31, v0
	v_add_co_u32_e32 v0, vcc, s10, v0
	v_addc_co_u32_e32 v1, vcc, v1, v2, vcc
	s_cbranch_scc1 .LBB6_9
; %bb.3:
	s_cmp_gt_i32 s22, 25
	s_cbranch_scc0 .LBB6_28
; %bb.4:
	s_cmp_gt_i32 s22, 28
	s_cbranch_scc0 .LBB6_32
	;; [unrolled: 3-line block ×4, first 2 shown]
; %bb.7:
	s_cmp_eq_u32 s22, 46
	s_cbranch_scc0 .LBB6_38
; %bb.8:
	global_load_dword v2, v[0:1], off
	s_mov_b64 s[0:1], -1
	s_waitcnt vmcnt(0)
	v_lshlrev_b32_e32 v2, 16, v2
	v_cvt_f64_f32_e32 v[2:3], v2
	s_branch .LBB6_40
.LBB6_9:
                                        ; implicit-def: $vgpr2_vgpr3
	s_mov_b64 s[0:1], 0
	s_cbranch_execnz .LBB6_213
.LBB6_10:
	s_andn2_b64 vcc, exec, s[0:1]
	s_cbranch_vccnz .LBB6_260
.LBB6_11:
	s_mov_b32 s0, 0
	s_mov_b32 s1, 0x7ff00000
	s_waitcnt vmcnt(0)
	v_cmp_neq_f64_e64 s[0:1], |v[2:3]|, s[0:1]
	v_mov_b32_e32 v0, 0
	v_mov_b32_e32 v1, 0
	s_and_saveexec_b64 s[6:7], s[0:1]
	s_cbranch_execz .LBB6_21
; %bb.12:
	v_cmp_nlt_f64_e64 s[0:1], |v[2:3]|, 0.5
                                        ; implicit-def: $vgpr0_vgpr1
	s_and_saveexec_b64 s[18:19], s[0:1]
	s_xor_b64 s[18:19], exec, s[18:19]
	s_cbranch_execz .LBB6_18
; %bb.13:
	s_mov_b32 s0, 0
	s_mov_b32 s1, 0x41d00000
	v_cmp_nlt_f64_e64 s[0:1], |v[2:3]|, s[0:1]
                                        ; implicit-def: $vgpr6
                                        ; implicit-def: $vgpr0_vgpr1
                                        ; implicit-def: $vgpr4_vgpr5
	s_and_saveexec_b64 s[22:23], s[0:1]
	s_xor_b64 s[22:23], exec, s[22:23]
	s_cbranch_execz .LBB6_15
; %bb.14:
	v_trig_preop_f64 v[0:1], |v[2:3]|, 0
	s_mov_b32 s0, 0
	s_mov_b32 s1, 0x7b000000
	s_movk_i32 s24, 0xff80
	v_ldexp_f64 v[6:7], |v[2:3]|, s24
	v_cmp_ge_f64_e64 vcc, |v[2:3]|, s[0:1]
	v_trig_preop_f64 v[4:5], |v[2:3]|, 1
	v_and_b32_e32 v8, 0x7fffffff, v3
	v_trig_preop_f64 v[15:16], |v[2:3]|, 2
	s_mov_b32 s0, 0
	s_mov_b32 s1, 0x7ff00000
	v_mov_b32_e32 v26, 0x40100000
	v_mov_b32_e32 v25, 0
	v_cndmask_b32_e32 v7, v8, v7, vcc
	v_cndmask_b32_e32 v6, v2, v6, vcc
	s_mov_b32 s24, 0x33145c07
	v_mul_f64 v[8:9], v[0:1], v[6:7]
	s_mov_b32 s25, 0x3c91a626
	v_mul_f64 v[10:11], v[4:5], v[6:7]
	v_mul_f64 v[21:22], v[15:16], v[6:7]
	v_fma_f64 v[0:1], v[0:1], v[6:7], -v[8:9]
	v_fma_f64 v[4:5], v[4:5], v[6:7], -v[10:11]
	;; [unrolled: 1-line block ×3, first 2 shown]
	v_add_f64 v[12:13], v[10:11], v[0:1]
	v_add_f64 v[17:18], v[12:13], -v[10:11]
	v_add_f64 v[23:24], v[8:9], v[12:13]
	v_add_f64 v[19:20], v[12:13], -v[17:18]
	v_add_f64 v[0:1], v[0:1], -v[17:18]
	v_add_f64 v[17:18], v[21:22], v[4:5]
	v_add_f64 v[8:9], v[23:24], -v[8:9]
	v_add_f64 v[10:11], v[10:11], -v[19:20]
	v_ldexp_f64 v[19:20], v[23:24], -2
	v_add_f64 v[27:28], v[17:18], -v[21:22]
	v_add_f64 v[8:9], v[12:13], -v[8:9]
	v_add_f64 v[0:1], v[0:1], v[10:11]
	v_fract_f64_e32 v[10:11], v[19:20]
	v_cmp_neq_f64_e64 vcc, |v[19:20]|, s[0:1]
	v_add_f64 v[4:5], v[4:5], -v[27:28]
	v_add_f64 v[12:13], v[17:18], v[0:1]
	v_ldexp_f64 v[10:11], v[10:11], 2
	v_add_f64 v[19:20], v[8:9], v[12:13]
	v_cndmask_b32_e32 v11, 0, v11, vcc
	v_cndmask_b32_e32 v10, 0, v10, vcc
	v_add_f64 v[29:30], v[12:13], -v[17:18]
	v_add_f64 v[23:24], v[19:20], v[10:11]
	v_add_f64 v[8:9], v[19:20], -v[8:9]
	v_add_f64 v[31:32], v[12:13], -v[29:30]
	;; [unrolled: 1-line block ×3, first 2 shown]
	v_cmp_gt_f64_e32 vcc, 0, v[23:24]
	v_add_f64 v[23:24], v[17:18], -v[27:28]
	v_add_f64 v[8:9], v[12:13], -v[8:9]
	;; [unrolled: 1-line block ×3, first 2 shown]
	v_cndmask_b32_e32 v26, 0, v26, vcc
	v_add_f64 v[10:11], v[10:11], v[25:26]
	v_add_f64 v[23:24], v[21:22], -v[23:24]
	v_add_f64 v[0:1], v[0:1], v[17:18]
	v_add_f64 v[33:34], v[19:20], v[10:11]
	;; [unrolled: 1-line block ×3, first 2 shown]
	v_cvt_i32_f64_e32 v28, v[33:34]
	v_add_f64 v[0:1], v[4:5], v[0:1]
	v_cvt_f64_i32_e32 v[26:27], v28
	v_add_f64 v[10:11], v[10:11], -v[26:27]
	v_add_f64 v[0:1], v[6:7], v[0:1]
	v_add_f64 v[4:5], v[19:20], v[10:11]
	;; [unrolled: 1-line block ×3, first 2 shown]
	v_mov_b32_e32 v9, 0x3ff00000
	v_add_f64 v[6:7], v[4:5], -v[10:11]
	v_cmp_le_f64_e32 vcc, 0.5, v[4:5]
	v_add_f64 v[7:8], v[19:20], -v[6:7]
	v_cndmask_b32_e32 v26, 0, v9, vcc
	v_add_f64 v[4:5], v[4:5], -v[25:26]
	v_addc_co_u32_e64 v6, s[0:1], 0, v28, vcc
	s_mov_b32 s0, 0x54442d18
	s_mov_b32 s1, 0x3ff921fb
	v_add_f64 v[0:1], v[0:1], v[7:8]
	v_add_f64 v[7:8], v[4:5], v[0:1]
	v_mul_f64 v[9:10], v[7:8], s[0:1]
	v_add_f64 v[4:5], v[7:8], -v[4:5]
	v_fma_f64 v[11:12], v[7:8], s[0:1], -v[9:10]
	v_add_f64 v[0:1], v[0:1], -v[4:5]
	v_fma_f64 v[4:5], v[7:8], s[24:25], v[11:12]
	v_fma_f64 v[4:5], v[0:1], s[0:1], v[4:5]
	v_add_f64 v[0:1], v[9:10], v[4:5]
	v_add_f64 v[7:8], v[0:1], -v[9:10]
	v_add_f64 v[4:5], v[4:5], -v[7:8]
.LBB6_15:
	s_andn2_saveexec_b64 s[0:1], s[22:23]
	s_cbranch_execz .LBB6_17
; %bb.16:
	s_mov_b32 s22, 0x6dc9c883
	s_mov_b32 s23, 0x3fe45f30
	v_mul_f64 v[0:1], |v[2:3]|, s[22:23]
	s_mov_b32 s22, 0x54442d18
	s_mov_b32 s23, 0xbff921fb
	;; [unrolled: 1-line block ×4, first 2 shown]
	v_rndne_f64_e32 v[6:7], v[0:1]
	v_fma_f64 v[0:1], v[6:7], s[22:23], |v[2:3]|
	v_mul_f64 v[4:5], v[6:7], s[24:25]
	s_mov_b32 s22, 0x252049c0
	s_mov_b32 s23, 0xb97b839a
	v_fma_f64 v[12:13], v[6:7], s[24:25], v[0:1]
	v_add_f64 v[8:9], v[0:1], v[4:5]
	s_mov_b32 s25, 0x3c91a626
	v_add_f64 v[10:11], v[0:1], -v[8:9]
	v_add_f64 v[8:9], v[8:9], -v[12:13]
	v_add_f64 v[0:1], v[10:11], v[4:5]
	v_fma_f64 v[4:5], v[6:7], s[24:25], v[4:5]
	v_add_f64 v[0:1], v[8:9], v[0:1]
	v_add_f64 v[0:1], v[0:1], -v[4:5]
	v_fma_f64 v[4:5], v[6:7], s[22:23], v[0:1]
	v_cvt_i32_f64_e32 v6, v[6:7]
	v_add_f64 v[0:1], v[12:13], v[4:5]
	v_add_f64 v[8:9], v[0:1], -v[12:13]
	v_add_f64 v[4:5], v[4:5], -v[8:9]
.LBB6_17:
	s_or_b64 exec, exec, s[0:1]
	v_mul_f64 v[7:8], v[0:1], v[0:1]
	s_mov_b32 s0, 0xf9a43bb8
	v_mov_b32_e32 v10, 0xb42fdfa7
	v_mov_b32_e32 v11, 0xbe5ae600
	s_mov_b32 s1, 0x3de5e0b2
	s_mov_b32 s22, 0x796cde01
	v_mov_b32_e32 v9, 0x9037ab78
	s_mov_b32 s23, 0x3ec71de3
	v_fma_f64 v[11:12], v[7:8], s[0:1], v[10:11]
	s_mov_b32 s0, 0x46cc5e42
	v_mov_b32_e32 v10, 0x3e21eeb6
	s_mov_b32 s1, 0xbda907db
	v_fma_f64 v[9:10], v[7:8], s[0:1], v[9:10]
	v_mul_f64 v[15:16], v[7:8], 0.5
	s_mov_b32 s0, 0xa17f65f6
	s_mov_b32 s24, 0x19e83e5c
	v_fma_f64 v[11:12], v[7:8], v[11:12], s[22:23]
	s_mov_b32 s1, 0xbe927e4f
	s_mov_b32 s25, 0xbf2a01a0
	;; [unrolled: 1-line block ×3, first 2 shown]
	v_fma_f64 v[9:10], v[7:8], v[9:10], s[0:1]
	v_add_f64 v[17:18], -v[15:16], 1.0
	s_mov_b32 s0, 0x11110bb3
	s_mov_b32 s23, 0x3efa01a0
	v_fma_f64 v[11:12], v[7:8], v[11:12], s[24:25]
	s_mov_b32 s1, 0x3f811111
	v_mul_f64 v[19:20], v[4:5], 0.5
	v_mul_f64 v[21:22], v[0:1], -v[7:8]
	v_fma_f64 v[9:10], v[7:8], v[9:10], s[22:23]
	v_add_f64 v[23:24], -v[17:18], 1.0
	v_fma_f64 v[11:12], v[7:8], v[11:12], s[0:1]
	s_mov_b32 s0, 0x16c16967
	s_mov_b32 s1, 0xbf56c16c
	v_fma_f64 v[9:10], v[7:8], v[9:10], s[0:1]
	v_add_f64 v[15:16], v[23:24], -v[15:16]
	s_mov_b32 s1, 0x3fa55555
	s_mov_b32 s0, 0x55555555
	v_fma_f64 v[11:12], v[21:22], v[11:12], v[19:20]
	v_mul_f64 v[19:20], v[7:8], v[7:8]
	v_fma_f64 v[9:10], v[7:8], v[9:10], s[0:1]
	v_fma_f64 v[15:16], v[0:1], -v[4:5], v[15:16]
	s_mov_b32 s1, 0xbfc55555
	v_fma_f64 v[4:5], v[7:8], v[11:12], -v[4:5]
	v_fma_f64 v[7:8], v[19:20], v[9:10], v[15:16]
	v_fma_f64 v[4:5], v[21:22], s[0:1], v[4:5]
	s_movk_i32 s0, 0x1f8
	v_cmp_class_f64_e64 s[0:1], v[2:3], s0
	v_add_f64 v[7:8], v[17:18], v[7:8]
	v_add_f64 v[0:1], v[0:1], -v[4:5]
	v_and_b32_e32 v4, 1, v6
	v_cmp_eq_u32_e32 vcc, 0, v4
	v_lshlrev_b32_e32 v4, 30, v6
	v_xor_b32_e32 v4, v4, v3
	v_and_b32_e32 v4, 0x80000000, v4
	v_mov_b32_e32 v5, 0x7ff80000
	v_cndmask_b32_e32 v1, v8, v1, vcc
	v_cndmask_b32_e32 v0, v7, v0, vcc
	v_xor_b32_e32 v1, v1, v4
	v_cndmask_b32_e64 v0, 0, v0, s[0:1]
	v_cndmask_b32_e64 v1, v5, v1, s[0:1]
	v_div_scale_f64 v[4:5], s[0:1], v[2:3], v[2:3], v[0:1]
	v_div_scale_f64 v[10:11], vcc, v[0:1], v[2:3], v[0:1]
	v_rcp_f64_e32 v[6:7], v[4:5]
	v_fma_f64 v[8:9], -v[4:5], v[6:7], 1.0
	v_fma_f64 v[6:7], v[6:7], v[8:9], v[6:7]
	v_fma_f64 v[8:9], -v[4:5], v[6:7], 1.0
	v_fma_f64 v[6:7], v[6:7], v[8:9], v[6:7]
	v_mul_f64 v[8:9], v[10:11], v[6:7]
	v_fma_f64 v[4:5], -v[4:5], v[8:9], v[10:11]
	v_div_fmas_f64 v[4:5], v[4:5], v[6:7], v[8:9]
	v_div_fixup_f64 v[0:1], v[4:5], v[2:3], v[0:1]
                                        ; implicit-def: $vgpr2_vgpr3
.LBB6_18:
	s_andn2_saveexec_b64 s[0:1], s[18:19]
	s_cbranch_execz .LBB6_20
; %bb.19:
	v_mul_f64 v[0:1], v[2:3], v[2:3]
	s_mov_b32 s18, 0x13a86d09
	v_mov_b32_e32 v2, 0x67f544e4
	v_mov_b32_e32 v3, 0xbe5ae645
	s_mov_b32 s19, 0x3de61246
	v_fma_f64 v[2:3], v[0:1], s[18:19], v[2:3]
	s_mov_b32 s18, 0xa556c734
	s_mov_b32 s19, 0x3ec71de3
	v_fma_f64 v[2:3], v[0:1], v[2:3], s[18:19]
	s_mov_b32 s18, 0x1a01a01a
	;; [unrolled: 3-line block ×4, first 2 shown]
	s_mov_b32 s19, 0xbfc55555
	v_fma_f64 v[2:3], v[0:1], v[2:3], s[18:19]
	v_fma_f64 v[0:1], v[0:1], v[2:3], 1.0
.LBB6_20:
	s_or_b64 exec, exec, s[0:1]
.LBB6_21:
	s_or_b64 exec, exec, s[6:7]
	v_mul_lo_u32 v2, v14, s2
	v_mov_b32_e32 v3, s9
	s_and_b32 s24, s33, 0xff
	s_cmp_lt_i32 s24, 11
	v_ashrrev_i32_e32 v5, 31, v2
	v_add_co_u32_e32 v4, vcc, s8, v2
	v_addc_co_u32_e32 v5, vcc, v3, v5, vcc
	s_cbranch_scc1 .LBB6_29
; %bb.22:
	s_and_b32 s25, 0xffff, s24
	s_cmp_gt_i32 s25, 25
	s_cbranch_scc0 .LBB6_33
; %bb.23:
	s_cmp_gt_i32 s25, 28
	s_cbranch_scc0 .LBB6_35
; %bb.24:
	;; [unrolled: 3-line block ×4, first 2 shown]
	s_mov_b64 s[18:19], 0
	s_mov_b64 s[0:1], -1
	s_cmp_eq_u32 s25, 46
	s_mov_b64 s[6:7], 0
	s_cbranch_scc0 .LBB6_44
; %bb.27:
	v_cvt_f32_f64_e32 v2, v[0:1]
	s_movk_i32 s0, 0x7fff
	v_mov_b32_e32 v3, 0x7fc0
	s_mov_b64 s[6:7], -1
	v_bfe_u32 v6, v2, 16, 1
	v_cmp_o_f32_e32 vcc, v2, v2
	v_add3_u32 v2, v2, v6, s0
	v_cndmask_b32_sdwa v2, v3, v2, vcc dst_sel:DWORD dst_unused:UNUSED_PAD src0_sel:DWORD src1_sel:WORD_1
	global_store_dword v[4:5], v2, off
	s_mov_b64 s[0:1], 0
	s_branch .LBB6_44
.LBB6_28:
	s_mov_b64 s[0:1], 0
                                        ; implicit-def: $vgpr2_vgpr3
	s_cbranch_execnz .LBB6_180
	s_branch .LBB6_212
.LBB6_29:
	s_mov_b64 s[0:1], 0
	s_mov_b64 s[6:7], 0
	s_cbranch_execnz .LBB6_113
.LBB6_30:
	s_andn2_b64 vcc, exec, s[6:7]
	s_cbranch_vccnz .LBB6_151
.LBB6_31:
	v_add_u32_e32 v14, 0x80, v14
	s_mov_b64 s[18:19], -1
	s_branch .LBB6_261
.LBB6_32:
	s_mov_b64 s[6:7], -1
	s_mov_b64 s[0:1], 0
                                        ; implicit-def: $vgpr2_vgpr3
	s_branch .LBB6_159
.LBB6_33:
	s_mov_b64 s[18:19], -1
	s_mov_b64 s[0:1], 0
	s_mov_b64 s[6:7], 0
	s_branch .LBB6_71
.LBB6_34:
	s_mov_b64 s[6:7], -1
	s_mov_b64 s[0:1], 0
                                        ; implicit-def: $vgpr2_vgpr3
	s_branch .LBB6_154
.LBB6_35:
	s_mov_b64 s[18:19], -1
	s_mov_b64 s[0:1], 0
	s_mov_b64 s[6:7], 0
	s_branch .LBB6_54
.LBB6_36:
	s_mov_b64 s[6:7], -1
	s_branch .LBB6_39
.LBB6_37:
	s_mov_b64 s[18:19], -1
	s_mov_b64 s[0:1], 0
	s_mov_b64 s[6:7], 0
	s_branch .LBB6_50
.LBB6_38:
	s_mov_b64 s[14:15], -1
.LBB6_39:
	s_mov_b64 s[0:1], 0
                                        ; implicit-def: $vgpr2_vgpr3
.LBB6_40:
	s_and_b64 vcc, exec, s[6:7]
	s_cbranch_vccz .LBB6_153
; %bb.41:
	s_cmp_eq_u32 s22, 44
	s_cbranch_scc0 .LBB6_152
; %bb.42:
	global_load_ubyte v4, v[0:1], off
	s_movk_i32 s6, 0xff
	v_bfrev_b32_e32 v5, 4
	v_mov_b32_e32 v6, 0x7ff80000
	v_bfrev_b32_e32 v7, 28
	s_mov_b64 s[0:1], -1
	s_mov_b64 s[14:15], 0
	s_waitcnt vmcnt(0)
	v_lshlrev_b32_e32 v2, 23, v4
	v_cvt_f64_f32_e32 v[2:3], v2
	v_cmp_ne_u32_e32 vcc, s6, v4
	v_cndmask_b32_e32 v2, v5, v2, vcc
	v_cndmask_b32_e32 v3, v6, v3, vcc
	v_cmp_ne_u32_e32 vcc, 0, v4
	v_cndmask_b32_e32 v3, v7, v3, vcc
	v_cndmask_b32_e32 v2, 0, v2, vcc
	s_branch .LBB6_153
.LBB6_43:
	s_mov_b64 s[18:19], -1
	s_mov_b64 s[0:1], 0
	s_mov_b64 s[6:7], 0
.LBB6_44:
	s_and_b64 vcc, exec, s[18:19]
	s_cbranch_vccz .LBB6_49
; %bb.45:
	s_cmp_eq_u32 s25, 44
	s_mov_b64 s[0:1], -1
	s_cbranch_scc0 .LBB6_49
; %bb.46:
	v_cvt_f32_f64_e32 v2, v[0:1]
	s_movk_i32 s0, 0xff
	v_mov_b32_e32 v6, 0xff
	v_bfe_u32 v3, v2, 23, 8
	v_cmp_ne_u32_e32 vcc, s0, v3
	s_and_saveexec_b64 s[6:7], vcc
; %bb.47:
	s_mov_b32 s0, 0x3fffff
	v_lshrrev_b32_e32 v6, 23, v2
	v_and_b32_e32 v7, 0x400000, v2
	v_and_or_b32 v2, v2, s0, v3
	v_cmp_ne_u32_e32 vcc, 0, v7
	v_cmp_ne_u32_e64 s[0:1], 0, v2
	s_and_b64 s[0:1], vcc, s[0:1]
	v_cndmask_b32_e64 v2, 0, 1, s[0:1]
	v_add_u32_e32 v6, v6, v2
; %bb.48:
	s_or_b64 exec, exec, s[6:7]
	s_mov_b64 s[6:7], -1
	s_mov_b64 s[0:1], 0
	global_store_byte v[4:5], v6, off
.LBB6_49:
	s_mov_b64 s[18:19], 0
.LBB6_50:
	s_and_b64 vcc, exec, s[18:19]
	s_cbranch_vccz .LBB6_53
; %bb.51:
	s_cmp_eq_u32 s25, 29
	s_mov_b64 s[0:1], -1
	s_cbranch_scc0 .LBB6_53
; %bb.52:
	v_trunc_f64_e32 v[2:3], v[0:1]
	s_movk_i32 s0, 0xffe0
	s_mov_b64 s[6:7], -1
	s_mov_b64 s[18:19], 0
	v_ldexp_f64 v[6:7], v[2:3], s0
	s_mov_b32 s0, 0
	s_mov_b32 s1, 0xc1f00000
	v_floor_f64_e32 v[6:7], v[6:7]
	v_fma_f64 v[2:3], v[6:7], s[0:1], v[2:3]
	v_cvt_u32_f64_e32 v7, v[6:7]
	s_mov_b64 s[0:1], 0
	v_cvt_u32_f64_e32 v6, v[2:3]
	global_store_dwordx2 v[4:5], v[6:7], off
	s_branch .LBB6_54
.LBB6_53:
	s_mov_b64 s[18:19], 0
.LBB6_54:
	s_and_b64 vcc, exec, s[18:19]
	s_cbranch_vccz .LBB6_70
; %bb.55:
	s_cmp_lt_i32 s25, 27
	s_mov_b64 s[6:7], -1
	s_cbranch_scc1 .LBB6_61
; %bb.56:
	v_cvt_u32_f64_e32 v2, v[0:1]
	s_cmp_gt_i32 s25, 27
	s_cbranch_scc0 .LBB6_58
; %bb.57:
	s_mov_b64 s[6:7], 0
	global_store_dword v[4:5], v2, off
.LBB6_58:
	s_andn2_b64 vcc, exec, s[6:7]
	s_cbranch_vccnz .LBB6_60
; %bb.59:
	global_store_short v[4:5], v2, off
.LBB6_60:
	s_mov_b64 s[6:7], 0
.LBB6_61:
	s_andn2_b64 vcc, exec, s[6:7]
	s_cbranch_vccnz .LBB6_69
; %bb.62:
	v_cvt_f32_f64_e32 v2, v[0:1]
	s_mov_b32 s6, 0x43800000
	v_mov_b32_e32 v6, 0x80
	v_and_b32_e32 v3, 0x7fffffff, v2
	v_cmp_gt_u32_e32 vcc, s6, v3
	s_and_saveexec_b64 s[6:7], vcc
	s_cbranch_execz .LBB6_68
; %bb.63:
	s_mov_b32 s18, 0x3bffffff
	v_cmp_lt_u32_e32 vcc, s18, v3
	s_mov_b64 s[18:19], 0
                                        ; implicit-def: $vgpr3
	s_and_saveexec_b64 s[22:23], vcc
	s_xor_b64 s[22:23], exec, s[22:23]
	s_cbranch_execz .LBB6_299
; %bb.64:
	v_bfe_u32 v3, v2, 20, 1
	s_mov_b32 s26, 0x487ffff
	v_add3_u32 v3, v2, v3, s26
	s_mov_b64 s[18:19], exec
	v_lshrrev_b32_e32 v3, 20, v3
	s_andn2_saveexec_b64 s[22:23], s[22:23]
	s_cbranch_execnz .LBB6_300
.LBB6_65:
	s_or_b64 exec, exec, s[22:23]
	v_mov_b32_e32 v6, 0
	s_and_saveexec_b64 s[22:23], s[18:19]
.LBB6_66:
	v_lshrrev_b32_e32 v2, 24, v2
	s_movk_i32 s18, 0x80
	v_and_or_b32 v6, v2, s18, v3
.LBB6_67:
	s_or_b64 exec, exec, s[22:23]
.LBB6_68:
	s_or_b64 exec, exec, s[6:7]
	global_store_byte v[4:5], v6, off
.LBB6_69:
	s_mov_b64 s[6:7], -1
.LBB6_70:
	s_mov_b64 s[18:19], 0
.LBB6_71:
	s_and_b64 vcc, exec, s[18:19]
	s_cbranch_vccz .LBB6_112
; %bb.72:
	s_cmp_gt_i32 s25, 22
	s_mov_b64 s[18:19], -1
	s_cbranch_scc0 .LBB6_104
; %bb.73:
	s_cmp_lt_i32 s25, 24
	s_mov_b64 s[6:7], -1
	s_cbranch_scc1 .LBB6_93
; %bb.74:
	s_cmp_gt_i32 s25, 24
	s_cbranch_scc0 .LBB6_82
; %bb.75:
	v_cvt_f32_f64_e32 v2, v[0:1]
	s_mov_b32 s6, 0x47800000
	v_mov_b32_e32 v6, 0x80
	v_and_b32_e32 v3, 0x7fffffff, v2
	v_cmp_gt_u32_e32 vcc, s6, v3
	s_and_saveexec_b64 s[6:7], vcc
	s_cbranch_execz .LBB6_81
; %bb.76:
	s_mov_b32 s18, 0x37ffffff
	v_cmp_lt_u32_e32 vcc, s18, v3
	s_mov_b64 s[18:19], 0
                                        ; implicit-def: $vgpr3
	s_and_saveexec_b64 s[22:23], vcc
	s_xor_b64 s[22:23], exec, s[22:23]
	s_cbranch_execz .LBB6_303
; %bb.77:
	v_bfe_u32 v3, v2, 21, 1
	s_mov_b32 s26, 0x88fffff
	v_add3_u32 v3, v2, v3, s26
	s_mov_b64 s[18:19], exec
	v_lshrrev_b32_e32 v3, 21, v3
	s_andn2_saveexec_b64 s[22:23], s[22:23]
	s_cbranch_execnz .LBB6_304
.LBB6_78:
	s_or_b64 exec, exec, s[22:23]
	v_mov_b32_e32 v6, 0
	s_and_saveexec_b64 s[22:23], s[18:19]
.LBB6_79:
	v_lshrrev_b32_e32 v2, 24, v2
	s_movk_i32 s18, 0x80
	v_and_or_b32 v6, v2, s18, v3
.LBB6_80:
	s_or_b64 exec, exec, s[22:23]
.LBB6_81:
	s_or_b64 exec, exec, s[6:7]
	s_mov_b64 s[6:7], 0
	global_store_byte v[4:5], v6, off
.LBB6_82:
	s_and_b64 vcc, exec, s[6:7]
	s_cbranch_vccz .LBB6_92
; %bb.83:
	v_cvt_f32_f64_e32 v2, v[0:1]
	s_mov_b32 s6, 0x43f00000
                                        ; implicit-def: $vgpr3
	v_and_b32_e32 v6, 0x7fffffff, v2
	v_cmp_gt_u32_e32 vcc, s6, v6
	s_and_saveexec_b64 s[6:7], vcc
	s_xor_b64 s[6:7], exec, s[6:7]
	s_cbranch_execz .LBB6_89
; %bb.84:
	s_mov_b32 s18, 0x3c7fffff
	v_cmp_lt_u32_e32 vcc, s18, v6
                                        ; implicit-def: $vgpr3
	s_and_saveexec_b64 s[18:19], vcc
	s_xor_b64 s[18:19], exec, s[18:19]
; %bb.85:
	v_bfe_u32 v3, v2, 20, 1
	s_mov_b32 s22, 0x407ffff
	v_add3_u32 v3, v2, v3, s22
	v_lshrrev_b32_e32 v6, 20, v3
	v_and_b32_e32 v3, 0xff00000, v3
	s_mov_b32 s22, 0x7f00000
	v_mov_b32_e32 v7, 0x7e
	v_cmp_ne_u32_e32 vcc, s22, v3
	v_cndmask_b32_e32 v3, v7, v6, vcc
; %bb.86:
	s_andn2_saveexec_b64 s[18:19], s[18:19]
; %bb.87:
	s_mov_b32 s22, 0x46800000
	v_add_f32_e64 v3, |v2|, s22
; %bb.88:
	s_or_b64 exec, exec, s[18:19]
                                        ; implicit-def: $vgpr6
.LBB6_89:
	s_andn2_saveexec_b64 s[6:7], s[6:7]
; %bb.90:
	s_mov_b32 s18, 0x7f800000
	v_mov_b32_e32 v3, 0x7e
	v_mov_b32_e32 v7, 0x7f
	v_cmp_lt_u32_e32 vcc, s18, v6
	v_cndmask_b32_e32 v3, v3, v7, vcc
; %bb.91:
	s_or_b64 exec, exec, s[6:7]
	v_lshrrev_b32_e32 v2, 24, v2
	s_movk_i32 s6, 0x80
	v_and_or_b32 v2, v2, s6, v3
	global_store_byte v[4:5], v2, off
.LBB6_92:
	s_mov_b64 s[6:7], 0
.LBB6_93:
	s_andn2_b64 vcc, exec, s[6:7]
	s_cbranch_vccnz .LBB6_103
; %bb.94:
	v_cvt_f32_f64_e32 v2, v[0:1]
	s_mov_b32 s6, 0x47800000
                                        ; implicit-def: $vgpr3
	v_and_b32_e32 v6, 0x7fffffff, v2
	v_cmp_gt_u32_e32 vcc, s6, v6
	s_and_saveexec_b64 s[6:7], vcc
	s_xor_b64 s[6:7], exec, s[6:7]
	s_cbranch_execz .LBB6_100
; %bb.95:
	s_mov_b32 s18, 0x387fffff
	v_cmp_lt_u32_e32 vcc, s18, v6
                                        ; implicit-def: $vgpr3
	s_and_saveexec_b64 s[18:19], vcc
	s_xor_b64 s[18:19], exec, s[18:19]
; %bb.96:
	v_bfe_u32 v3, v2, 21, 1
	s_mov_b32 s22, 0x80fffff
	v_add3_u32 v3, v2, v3, s22
	v_lshrrev_b32_e32 v3, 21, v3
; %bb.97:
	s_andn2_saveexec_b64 s[18:19], s[18:19]
; %bb.98:
	s_mov_b32 s22, 0x43000000
	v_add_f32_e64 v3, |v2|, s22
; %bb.99:
	s_or_b64 exec, exec, s[18:19]
                                        ; implicit-def: $vgpr6
.LBB6_100:
	s_andn2_saveexec_b64 s[6:7], s[6:7]
; %bb.101:
	s_mov_b32 s18, 0x7f800000
	v_mov_b32_e32 v3, 0x7c
	v_mov_b32_e32 v7, 0x7f
	v_cmp_lt_u32_e32 vcc, s18, v6
	v_cndmask_b32_e32 v3, v3, v7, vcc
; %bb.102:
	s_or_b64 exec, exec, s[6:7]
	v_lshrrev_b32_e32 v2, 24, v2
	s_movk_i32 s6, 0x80
	v_and_or_b32 v2, v2, s6, v3
	global_store_byte v[4:5], v2, off
.LBB6_103:
	s_mov_b64 s[18:19], 0
	s_mov_b64 s[6:7], -1
.LBB6_104:
	s_andn2_b64 vcc, exec, s[18:19]
	s_cbranch_vccnz .LBB6_112
; %bb.105:
	s_cmp_gt_i32 s25, 14
	s_mov_b64 s[18:19], -1
	s_cbranch_scc0 .LBB6_109
; %bb.106:
	s_cmp_eq_u32 s25, 15
	s_mov_b64 s[0:1], -1
	s_cbranch_scc0 .LBB6_108
; %bb.107:
	v_cvt_f32_f64_e32 v2, v[0:1]
	s_movk_i32 s0, 0x7fff
	v_mov_b32_e32 v3, 0x7fc0
	s_mov_b64 s[6:7], -1
	v_bfe_u32 v6, v2, 16, 1
	v_cmp_o_f32_e32 vcc, v2, v2
	v_add3_u32 v2, v2, v6, s0
	v_cndmask_b32_sdwa v2, v3, v2, vcc dst_sel:DWORD dst_unused:UNUSED_PAD src0_sel:DWORD src1_sel:WORD_1
	global_store_short v[4:5], v2, off
	s_mov_b64 s[0:1], 0
.LBB6_108:
	s_mov_b64 s[18:19], 0
.LBB6_109:
	s_and_b64 vcc, exec, s[18:19]
	s_cbranch_vccz .LBB6_112
; %bb.110:
	s_cmp_eq_u32 s25, 11
	s_mov_b64 s[0:1], -1
	s_cbranch_scc0 .LBB6_112
; %bb.111:
	v_cmp_neq_f64_e32 vcc, 0, v[0:1]
	s_mov_b64 s[0:1], 0
	s_mov_b64 s[6:7], -1
	v_cndmask_b32_e64 v2, 0, 1, vcc
	global_store_byte v[4:5], v2, off
.LBB6_112:
	s_branch .LBB6_30
.LBB6_113:
	s_and_b32 s18, 0xffff, s24
	s_cmp_lt_i32 s18, 5
	s_mov_b64 s[6:7], -1
	s_cbranch_scc1 .LBB6_134
; %bb.114:
	s_cmp_lt_i32 s18, 8
	s_cbranch_scc1 .LBB6_124
; %bb.115:
	s_cmp_lt_i32 s18, 9
	s_cbranch_scc1 .LBB6_121
; %bb.116:
	s_cmp_gt_i32 s18, 9
	s_cbranch_scc0 .LBB6_118
; %bb.117:
	v_mov_b32_e32 v2, 0
	v_mov_b32_e32 v3, v2
	global_store_dwordx4 v[4:5], v[0:3], off
	s_mov_b64 s[6:7], 0
.LBB6_118:
	s_andn2_b64 vcc, exec, s[6:7]
	s_cbranch_vccnz .LBB6_120
; %bb.119:
	v_cvt_f32_f64_e32 v2, v[0:1]
	v_mov_b32_e32 v3, 0
	global_store_dwordx2 v[4:5], v[2:3], off
.LBB6_120:
	s_mov_b64 s[6:7], 0
.LBB6_121:
	s_andn2_b64 vcc, exec, s[6:7]
	s_cbranch_vccnz .LBB6_123
; %bb.122:
	s_movk_i32 s6, 0x1ff
	v_and_or_b32 v2, v1, s6, v0
	v_cmp_ne_u32_e32 vcc, 0, v2
	v_cndmask_b32_e64 v2, 0, 1, vcc
	v_lshrrev_b32_e32 v3, 8, v1
	s_movk_i32 s6, 0xffe
	v_bfe_u32 v6, v1, 20, 11
	v_and_or_b32 v2, v3, s6, v2
	v_sub_u32_e32 v7, 0x3f1, v6
	v_or_b32_e32 v3, 0x1000, v2
	v_med3_i32 v7, v7, 0, 13
	v_lshrrev_b32_e32 v8, v7, v3
	v_lshlrev_b32_e32 v7, v7, v8
	v_cmp_ne_u32_e32 vcc, v7, v3
	v_cndmask_b32_e64 v3, 0, 1, vcc
	v_add_u32_e32 v6, 0xfffffc10, v6
	v_or_b32_e32 v3, v8, v3
	v_lshl_or_b32 v7, v6, 12, v2
	v_cmp_gt_i32_e32 vcc, 1, v6
	v_cndmask_b32_e32 v3, v7, v3, vcc
	v_and_b32_e32 v7, 7, v3
	v_cmp_lt_i32_e32 vcc, 5, v7
	v_cndmask_b32_e64 v8, 0, 1, vcc
	v_cmp_eq_u32_e32 vcc, 3, v7
	v_cndmask_b32_e64 v7, 0, 1, vcc
	v_or_b32_e32 v7, v7, v8
	v_lshrrev_b32_e32 v3, 2, v3
	v_add_u32_e32 v3, v3, v7
	v_mov_b32_e32 v7, 0x7c00
	v_cmp_gt_i32_e32 vcc, 31, v6
	v_cndmask_b32_e32 v3, v7, v3, vcc
	v_mov_b32_e32 v8, 0x7e00
	v_cmp_ne_u32_e32 vcc, 0, v2
	s_movk_i32 s6, 0x40f
	v_cndmask_b32_e32 v2, v7, v8, vcc
	v_cmp_eq_u32_e32 vcc, s6, v6
	v_cndmask_b32_e32 v2, v3, v2, vcc
	v_lshrrev_b32_e32 v3, 16, v1
	s_mov_b32 s6, 0x8000
	v_and_or_b32 v2, v3, s6, v2
	v_and_b32_e32 v2, 0xffff, v2
	global_store_dword v[4:5], v2, off
.LBB6_123:
	s_mov_b64 s[6:7], 0
.LBB6_124:
	s_andn2_b64 vcc, exec, s[6:7]
	s_cbranch_vccnz .LBB6_133
; %bb.125:
	s_cmp_lt_i32 s18, 6
	s_mov_b64 s[6:7], -1
	s_cbranch_scc1 .LBB6_131
; %bb.126:
	s_cmp_gt_i32 s18, 6
	s_cbranch_scc0 .LBB6_128
; %bb.127:
	global_store_dwordx2 v[4:5], v[0:1], off
	s_mov_b64 s[6:7], 0
.LBB6_128:
	s_andn2_b64 vcc, exec, s[6:7]
	s_cbranch_vccnz .LBB6_130
; %bb.129:
	v_cvt_f32_f64_e32 v2, v[0:1]
	global_store_dword v[4:5], v2, off
.LBB6_130:
	s_mov_b64 s[6:7], 0
.LBB6_131:
	s_andn2_b64 vcc, exec, s[6:7]
	s_cbranch_vccnz .LBB6_133
; %bb.132:
	s_movk_i32 s6, 0x1ff
	v_and_or_b32 v2, v1, s6, v0
	v_cmp_ne_u32_e32 vcc, 0, v2
	v_cndmask_b32_e64 v2, 0, 1, vcc
	v_lshrrev_b32_e32 v3, 8, v1
	s_movk_i32 s6, 0xffe
	v_bfe_u32 v6, v1, 20, 11
	v_and_or_b32 v2, v3, s6, v2
	v_sub_u32_e32 v7, 0x3f1, v6
	v_or_b32_e32 v3, 0x1000, v2
	v_med3_i32 v7, v7, 0, 13
	v_lshrrev_b32_e32 v8, v7, v3
	v_lshlrev_b32_e32 v7, v7, v8
	v_cmp_ne_u32_e32 vcc, v7, v3
	v_cndmask_b32_e64 v3, 0, 1, vcc
	v_add_u32_e32 v6, 0xfffffc10, v6
	v_or_b32_e32 v3, v8, v3
	v_lshl_or_b32 v7, v6, 12, v2
	v_cmp_gt_i32_e32 vcc, 1, v6
	v_cndmask_b32_e32 v3, v7, v3, vcc
	v_and_b32_e32 v7, 7, v3
	v_cmp_lt_i32_e32 vcc, 5, v7
	v_cndmask_b32_e64 v8, 0, 1, vcc
	v_cmp_eq_u32_e32 vcc, 3, v7
	v_cndmask_b32_e64 v7, 0, 1, vcc
	v_or_b32_e32 v7, v7, v8
	v_lshrrev_b32_e32 v3, 2, v3
	v_add_u32_e32 v3, v3, v7
	v_mov_b32_e32 v7, 0x7c00
	v_cmp_gt_i32_e32 vcc, 31, v6
	v_cndmask_b32_e32 v3, v7, v3, vcc
	v_mov_b32_e32 v8, 0x7e00
	v_cmp_ne_u32_e32 vcc, 0, v2
	s_movk_i32 s6, 0x40f
	v_cndmask_b32_e32 v2, v7, v8, vcc
	v_cmp_eq_u32_e32 vcc, s6, v6
	v_cndmask_b32_e32 v2, v3, v2, vcc
	v_lshrrev_b32_e32 v3, 16, v1
	s_mov_b32 s6, 0x8000
	v_and_or_b32 v2, v3, s6, v2
	global_store_short v[4:5], v2, off
.LBB6_133:
	s_mov_b64 s[6:7], 0
.LBB6_134:
	s_andn2_b64 vcc, exec, s[6:7]
	s_cbranch_vccnz .LBB6_150
; %bb.135:
	s_cmp_lt_i32 s18, 2
	s_mov_b64 s[6:7], -1
	s_cbranch_scc1 .LBB6_145
; %bb.136:
	s_cmp_lt_i32 s18, 3
	s_cbranch_scc1 .LBB6_142
; %bb.137:
	s_cmp_gt_i32 s18, 3
	s_cbranch_scc0 .LBB6_139
; %bb.138:
	v_trunc_f64_e32 v[2:3], v[0:1]
	s_movk_i32 s6, 0xffe0
	v_ldexp_f64 v[6:7], v[2:3], s6
	s_mov_b32 s6, 0
	s_mov_b32 s7, 0xc1f00000
	v_floor_f64_e32 v[6:7], v[6:7]
	v_fma_f64 v[2:3], v[6:7], s[6:7], v[2:3]
	v_cvt_i32_f64_e32 v7, v[6:7]
	s_mov_b64 s[6:7], 0
	v_cvt_u32_f64_e32 v6, v[2:3]
	global_store_dwordx2 v[4:5], v[6:7], off
.LBB6_139:
	s_andn2_b64 vcc, exec, s[6:7]
	s_cbranch_vccnz .LBB6_141
; %bb.140:
	v_cvt_i32_f64_e32 v2, v[0:1]
	global_store_dword v[4:5], v2, off
.LBB6_141:
	s_mov_b64 s[6:7], 0
.LBB6_142:
	s_andn2_b64 vcc, exec, s[6:7]
	s_cbranch_vccnz .LBB6_144
; %bb.143:
	v_cvt_i32_f64_e32 v2, v[0:1]
	global_store_short v[4:5], v2, off
.LBB6_144:
	s_mov_b64 s[6:7], 0
.LBB6_145:
	s_andn2_b64 vcc, exec, s[6:7]
	s_cbranch_vccnz .LBB6_150
; %bb.146:
	s_cmp_gt_i32 s18, 0
	s_mov_b64 s[6:7], -1
	s_cbranch_scc0 .LBB6_148
; %bb.147:
	v_cvt_i32_f64_e32 v2, v[0:1]
	s_mov_b64 s[6:7], 0
	global_store_byte v[4:5], v2, off
.LBB6_148:
	s_andn2_b64 vcc, exec, s[6:7]
	s_cbranch_vccnz .LBB6_150
; %bb.149:
	v_trunc_f64_e32 v[0:1], v[0:1]
	s_movk_i32 s6, 0xffe0
	v_ldexp_f64 v[2:3], v[0:1], s6
	s_mov_b32 s6, 0
	s_mov_b32 s7, 0xc1f00000
	v_floor_f64_e32 v[2:3], v[2:3]
	v_fma_f64 v[0:1], v[2:3], s[6:7], v[0:1]
	v_cvt_u32_f64_e32 v0, v[0:1]
	global_store_byte v[4:5], v0, off
.LBB6_150:
	s_branch .LBB6_31
.LBB6_151:
	s_mov_b64 s[18:19], 0
                                        ; implicit-def: $vgpr14
	s_branch .LBB6_261
.LBB6_152:
	s_mov_b64 s[14:15], -1
                                        ; implicit-def: $vgpr2_vgpr3
.LBB6_153:
	s_mov_b64 s[6:7], 0
.LBB6_154:
	s_and_b64 vcc, exec, s[6:7]
	s_cbranch_vccz .LBB6_158
; %bb.155:
	s_cmp_eq_u32 s22, 29
	s_cbranch_scc0 .LBB6_157
; %bb.156:
	global_load_dwordx2 v[2:3], v[0:1], off
	s_mov_b64 s[0:1], -1
	s_mov_b64 s[14:15], 0
	s_mov_b64 s[6:7], 0
	s_waitcnt vmcnt(0)
	v_cvt_f64_u32_e32 v[3:4], v3
	v_cvt_f64_u32_e32 v[5:6], v2
	v_ldexp_f64 v[3:4], v[3:4], 32
	v_add_f64 v[2:3], v[3:4], v[5:6]
	s_branch .LBB6_159
.LBB6_157:
	s_mov_b64 s[14:15], -1
                                        ; implicit-def: $vgpr2_vgpr3
.LBB6_158:
	s_mov_b64 s[6:7], 0
.LBB6_159:
	s_and_b64 vcc, exec, s[6:7]
	s_cbranch_vccz .LBB6_179
; %bb.160:
	s_cmp_lt_i32 s22, 27
	s_cbranch_scc1 .LBB6_163
; %bb.161:
	s_cmp_gt_i32 s22, 27
	s_cbranch_scc0 .LBB6_164
; %bb.162:
	global_load_dword v2, v[0:1], off
	s_mov_b64 s[0:1], 0
	s_waitcnt vmcnt(0)
	v_cvt_f64_u32_e32 v[2:3], v2
	s_branch .LBB6_165
.LBB6_163:
	s_mov_b64 s[0:1], -1
                                        ; implicit-def: $vgpr2_vgpr3
	s_branch .LBB6_168
.LBB6_164:
	s_mov_b64 s[0:1], -1
                                        ; implicit-def: $vgpr2_vgpr3
.LBB6_165:
	s_andn2_b64 vcc, exec, s[0:1]
	s_cbranch_vccnz .LBB6_167
; %bb.166:
	global_load_ushort v2, v[0:1], off
	s_waitcnt vmcnt(0)
	v_cvt_f64_u32_e32 v[2:3], v2
.LBB6_167:
	s_mov_b64 s[0:1], 0
.LBB6_168:
	s_andn2_b64 vcc, exec, s[0:1]
	s_cbranch_vccnz .LBB6_178
; %bb.169:
	global_load_ubyte v4, v[0:1], off
	s_movk_i32 s0, 0x7f
	s_waitcnt vmcnt(0)
	v_cmp_lt_i16_e32 vcc, s0, v4
	s_mov_b64 s[0:1], 0
	s_and_saveexec_b64 s[6:7], vcc
	s_xor_b64 s[6:7], exec, s[6:7]
	s_cbranch_execz .LBB6_173
; %bb.170:
	s_movk_i32 s0, 0x80
	v_cmp_eq_u16_e32 vcc, s0, v4
	s_mov_b64 s[0:1], -1
	s_and_saveexec_b64 s[18:19], vcc
; %bb.171:
	s_xor_b64 s[0:1], exec, -1
; %bb.172:
	s_or_b64 exec, exec, s[18:19]
	s_and_b64 s[0:1], s[0:1], exec
.LBB6_173:
	s_or_saveexec_b64 s[6:7], s[6:7]
	v_bfrev_b32_e32 v2, 4
	v_mov_b32_e32 v3, 0x7ff80000
	s_xor_b64 exec, exec, s[6:7]
; %bb.174:
	v_cmp_ne_u16_e32 vcc, 0, v4
	v_mov_b32_e32 v2, 0
	s_andn2_b64 s[0:1], s[0:1], exec
	s_and_b64 s[18:19], vcc, exec
	v_mov_b32_e32 v3, 0
	s_or_b64 s[0:1], s[0:1], s[18:19]
; %bb.175:
	s_or_b64 exec, exec, s[6:7]
	s_and_saveexec_b64 s[6:7], s[0:1]
	s_cbranch_execz .LBB6_177
; %bb.176:
	v_and_b32_e32 v3, 0xffff, v4
	v_lshlrev_b32_e32 v2, 24, v4
	v_and_b32_e32 v4, 7, v3
	v_ffbh_u32_e32 v6, v4
	v_min_u32_e32 v6, 32, v6
	v_subrev_u32_e32 v7, 28, v6
	v_bfe_u32 v5, v3, 3, 4
	v_lshlrev_b32_e32 v3, v7, v3
	v_sub_u32_e32 v6, 29, v6
	v_and_b32_e32 v3, 7, v3
	v_cmp_eq_u32_e32 vcc, 0, v5
	v_cndmask_b32_e32 v5, v5, v6, vcc
	v_cndmask_b32_e32 v3, v4, v3, vcc
	v_mov_b32_e32 v4, 0x3b800000
	v_lshlrev_b32_e32 v3, 20, v3
	v_and_b32_e32 v2, 0x80000000, v2
	v_lshl_add_u32 v4, v5, 23, v4
	v_or3_b32 v2, v2, v4, v3
	v_cvt_f64_f32_e32 v[2:3], v2
.LBB6_177:
	s_or_b64 exec, exec, s[6:7]
.LBB6_178:
	s_mov_b64 s[0:1], -1
.LBB6_179:
	s_branch .LBB6_212
.LBB6_180:
	s_cmp_gt_i32 s22, 22
	s_cbranch_scc0 .LBB6_192
; %bb.181:
	s_cmp_lt_i32 s22, 24
	s_cbranch_scc1 .LBB6_193
; %bb.182:
	s_cmp_gt_i32 s22, 24
	s_cbranch_scc0 .LBB6_194
; %bb.183:
	global_load_ubyte v4, v[0:1], off
	s_movk_i32 s0, 0x7f
	s_waitcnt vmcnt(0)
	v_cmp_lt_i16_e32 vcc, s0, v4
	s_mov_b64 s[0:1], 0
	s_and_saveexec_b64 s[6:7], vcc
	s_xor_b64 s[6:7], exec, s[6:7]
	s_cbranch_execz .LBB6_187
; %bb.184:
	s_movk_i32 s0, 0x80
	v_cmp_eq_u16_e32 vcc, s0, v4
	s_mov_b64 s[0:1], -1
	s_and_saveexec_b64 s[18:19], vcc
; %bb.185:
	s_xor_b64 s[0:1], exec, -1
; %bb.186:
	s_or_b64 exec, exec, s[18:19]
	s_and_b64 s[0:1], s[0:1], exec
.LBB6_187:
	s_or_saveexec_b64 s[6:7], s[6:7]
	v_bfrev_b32_e32 v2, 4
	v_mov_b32_e32 v3, 0x7ff80000
	s_xor_b64 exec, exec, s[6:7]
; %bb.188:
	v_cmp_ne_u16_e32 vcc, 0, v4
	v_mov_b32_e32 v2, 0
	s_andn2_b64 s[0:1], s[0:1], exec
	s_and_b64 s[18:19], vcc, exec
	v_mov_b32_e32 v3, 0
	s_or_b64 s[0:1], s[0:1], s[18:19]
; %bb.189:
	s_or_b64 exec, exec, s[6:7]
	s_and_saveexec_b64 s[6:7], s[0:1]
	s_cbranch_execz .LBB6_191
; %bb.190:
	v_and_b32_e32 v3, 0xffff, v4
	v_lshlrev_b32_e32 v2, 24, v4
	v_and_b32_e32 v4, 3, v3
	v_ffbh_u32_e32 v6, v4
	v_min_u32_e32 v6, 32, v6
	v_subrev_u32_e32 v7, 29, v6
	v_bfe_u32 v5, v3, 2, 5
	v_lshlrev_b32_e32 v3, v7, v3
	v_sub_u32_e32 v6, 30, v6
	v_and_b32_e32 v3, 3, v3
	v_cmp_eq_u32_e32 vcc, 0, v5
	v_cndmask_b32_e32 v5, v5, v6, vcc
	v_cndmask_b32_e32 v3, v4, v3, vcc
	v_mov_b32_e32 v4, 0x37800000
	v_lshlrev_b32_e32 v3, 21, v3
	v_and_b32_e32 v2, 0x80000000, v2
	v_lshl_add_u32 v4, v5, 23, v4
	v_or3_b32 v2, v2, v4, v3
	v_cvt_f64_f32_e32 v[2:3], v2
.LBB6_191:
	s_or_b64 exec, exec, s[6:7]
	s_mov_b64 s[0:1], 0
	s_branch .LBB6_195
.LBB6_192:
	s_mov_b64 s[6:7], -1
                                        ; implicit-def: $vgpr2_vgpr3
	s_branch .LBB6_201
.LBB6_193:
	s_mov_b64 s[0:1], -1
                                        ; implicit-def: $vgpr2_vgpr3
	s_branch .LBB6_198
.LBB6_194:
	s_mov_b64 s[0:1], -1
                                        ; implicit-def: $vgpr2_vgpr3
.LBB6_195:
	s_and_b64 vcc, exec, s[0:1]
	s_cbranch_vccz .LBB6_197
; %bb.196:
	global_load_ubyte v2, v[0:1], off
	s_mov_b32 s0, 0x7f800000
	s_waitcnt vmcnt(0)
	v_lshlrev_b32_e32 v2, 24, v2
	v_and_b32_e32 v3, 0x7f000000, v2
	v_ffbh_u32_e32 v4, v3
	v_min_u32_e32 v4, 32, v4
	v_sub_u32_e64 v4, v4, 4 clamp
	v_lshlrev_b32_e32 v6, v4, v3
	v_lshlrev_b32_e32 v4, 23, v4
	v_lshrrev_b32_e32 v6, 4, v6
	v_add_u32_e32 v5, 0x1000000, v3
	v_sub_u32_e32 v4, v6, v4
	v_ashrrev_i32_e32 v5, 8, v5
	v_add_u32_e32 v4, 0x3c000000, v4
	v_and_or_b32 v4, v5, s0, v4
	v_cmp_ne_u32_e32 vcc, 0, v3
	v_cndmask_b32_e32 v3, 0, v4, vcc
	s_brev_b32 s0, 1
	v_and_or_b32 v2, v2, s0, v3
	v_cvt_f64_f32_e32 v[2:3], v2
.LBB6_197:
	s_mov_b64 s[0:1], 0
.LBB6_198:
	s_andn2_b64 vcc, exec, s[0:1]
	s_cbranch_vccnz .LBB6_200
; %bb.199:
	global_load_ubyte v2, v[0:1], off
	s_movk_i32 s0, 0x7f00
	s_brev_b32 s1, 16
	s_waitcnt vmcnt(0)
	v_lshlrev_b16_e32 v3, 8, v2
	v_lshlrev_b32_e32 v2, 25, v2
	v_lshrrev_b32_e32 v4, 4, v2
	v_and_or_b32 v5, v3, s0, 0.5
	v_or_b32_e32 v4, 0x70000000, v4
	v_add_f32_e32 v5, -0.5, v5
	v_mul_f32_e32 v4, 0x7800000, v4
	v_cmp_gt_u32_e32 vcc, s1, v2
	v_bfe_i32 v3, v3, 0, 16
	v_cndmask_b32_e32 v2, v4, v5, vcc
	s_brev_b32 s0, 1
	v_and_or_b32 v2, v3, s0, v2
	v_cvt_f64_f32_e32 v[2:3], v2
.LBB6_200:
	s_mov_b64 s[6:7], 0
	s_mov_b64 s[0:1], -1
.LBB6_201:
	s_andn2_b64 vcc, exec, s[6:7]
	s_cbranch_vccnz .LBB6_212
; %bb.202:
	s_cmp_gt_i32 s22, 14
	s_cbranch_scc0 .LBB6_205
; %bb.203:
	s_cmp_eq_u32 s22, 15
	s_cbranch_scc0 .LBB6_206
; %bb.204:
	global_load_ushort v2, v[0:1], off
	s_mov_b64 s[0:1], -1
	s_mov_b64 s[14:15], 0
	s_waitcnt vmcnt(0)
	v_lshlrev_b32_e32 v2, 16, v2
	v_cvt_f64_f32_e32 v[2:3], v2
	s_branch .LBB6_207
.LBB6_205:
	s_mov_b64 s[6:7], -1
                                        ; implicit-def: $vgpr2_vgpr3
	s_branch .LBB6_208
.LBB6_206:
	s_mov_b64 s[14:15], -1
                                        ; implicit-def: $vgpr2_vgpr3
.LBB6_207:
	s_mov_b64 s[6:7], 0
.LBB6_208:
	s_and_b64 vcc, exec, s[6:7]
	s_cbranch_vccz .LBB6_212
; %bb.209:
	s_cmp_eq_u32 s22, 11
	s_cbranch_scc0 .LBB6_211
; %bb.210:
	global_load_ubyte v3, v[0:1], off
	v_mov_b32_e32 v4, 0x3ff00000
	v_mov_b32_e32 v2, 0
	s_mov_b64 s[0:1], -1
	s_mov_b64 s[14:15], 0
	s_waitcnt vmcnt(0)
	v_cmp_ne_u16_e32 vcc, 0, v3
	v_cndmask_b32_e32 v3, 0, v4, vcc
	s_branch .LBB6_212
.LBB6_211:
	s_mov_b64 s[14:15], -1
                                        ; implicit-def: $vgpr2_vgpr3
.LBB6_212:
	s_branch .LBB6_10
.LBB6_213:
	s_cmp_lt_i32 s22, 5
	s_cbranch_scc1 .LBB6_218
; %bb.214:
	s_cmp_lt_i32 s22, 8
	s_cbranch_scc1 .LBB6_219
; %bb.215:
	;; [unrolled: 3-line block ×3, first 2 shown]
	s_cmp_gt_i32 s22, 9
	s_cbranch_scc0 .LBB6_221
; %bb.217:
	global_load_dwordx2 v[2:3], v[0:1], off
	s_mov_b64 s[0:1], 0
	s_branch .LBB6_222
.LBB6_218:
                                        ; implicit-def: $vgpr2_vgpr3
	s_branch .LBB6_240
.LBB6_219:
	s_mov_b64 s[0:1], -1
                                        ; implicit-def: $vgpr2_vgpr3
	s_branch .LBB6_228
.LBB6_220:
	s_mov_b64 s[0:1], -1
                                        ; implicit-def: $vgpr2_vgpr3
	s_branch .LBB6_225
.LBB6_221:
	s_mov_b64 s[0:1], -1
                                        ; implicit-def: $vgpr2_vgpr3
.LBB6_222:
	s_andn2_b64 vcc, exec, s[0:1]
	s_cbranch_vccnz .LBB6_224
; %bb.223:
	global_load_dword v2, v[0:1], off
	s_waitcnt vmcnt(0)
	v_cvt_f64_f32_e32 v[2:3], v2
.LBB6_224:
	s_mov_b64 s[0:1], 0
.LBB6_225:
	s_andn2_b64 vcc, exec, s[0:1]
	s_cbranch_vccnz .LBB6_227
; %bb.226:
	global_load_dword v2, v[0:1], off
	s_waitcnt vmcnt(0)
	v_cvt_f32_f16_e32 v2, v2
	v_cvt_f64_f32_e32 v[2:3], v2
.LBB6_227:
	s_mov_b64 s[0:1], 0
.LBB6_228:
	s_andn2_b64 vcc, exec, s[0:1]
	s_cbranch_vccnz .LBB6_239
; %bb.229:
	s_cmp_lt_i32 s22, 6
	s_cbranch_scc1 .LBB6_232
; %bb.230:
	s_cmp_gt_i32 s22, 6
	s_cbranch_scc0 .LBB6_233
; %bb.231:
	global_load_dwordx2 v[2:3], v[0:1], off
	s_mov_b64 s[0:1], 0
	s_branch .LBB6_234
.LBB6_232:
	s_mov_b64 s[0:1], -1
                                        ; implicit-def: $vgpr2_vgpr3
	s_branch .LBB6_237
.LBB6_233:
	s_mov_b64 s[0:1], -1
                                        ; implicit-def: $vgpr2_vgpr3
.LBB6_234:
	s_andn2_b64 vcc, exec, s[0:1]
	s_cbranch_vccnz .LBB6_236
; %bb.235:
	global_load_dword v2, v[0:1], off
	s_waitcnt vmcnt(0)
	v_cvt_f64_f32_e32 v[2:3], v2
.LBB6_236:
	s_mov_b64 s[0:1], 0
.LBB6_237:
	s_andn2_b64 vcc, exec, s[0:1]
	s_cbranch_vccnz .LBB6_239
; %bb.238:
	global_load_ushort v2, v[0:1], off
	s_waitcnt vmcnt(0)
	v_cvt_f32_f16_e32 v2, v2
	v_cvt_f64_f32_e32 v[2:3], v2
.LBB6_239:
	s_cbranch_execnz .LBB6_259
.LBB6_240:
	s_cmp_lt_i32 s22, 2
	s_cbranch_scc1 .LBB6_244
; %bb.241:
	s_cmp_lt_i32 s22, 3
	s_cbranch_scc1 .LBB6_245
; %bb.242:
	s_cmp_gt_i32 s22, 3
	s_cbranch_scc0 .LBB6_246
; %bb.243:
	global_load_dwordx2 v[2:3], v[0:1], off
	s_mov_b64 s[0:1], 0
	s_waitcnt vmcnt(0)
	v_cvt_f64_i32_e32 v[3:4], v3
	v_cvt_f64_u32_e32 v[5:6], v2
	v_ldexp_f64 v[3:4], v[3:4], 32
	v_add_f64 v[2:3], v[3:4], v[5:6]
	s_branch .LBB6_247
.LBB6_244:
	s_mov_b64 s[0:1], -1
                                        ; implicit-def: $vgpr2_vgpr3
	s_branch .LBB6_253
.LBB6_245:
	s_mov_b64 s[0:1], -1
                                        ; implicit-def: $vgpr2_vgpr3
	s_branch .LBB6_250
.LBB6_246:
	s_mov_b64 s[0:1], -1
                                        ; implicit-def: $vgpr2_vgpr3
.LBB6_247:
	s_andn2_b64 vcc, exec, s[0:1]
	s_cbranch_vccnz .LBB6_249
; %bb.248:
	global_load_dword v2, v[0:1], off
	s_waitcnt vmcnt(0)
	v_cvt_f64_i32_e32 v[2:3], v2
.LBB6_249:
	s_mov_b64 s[0:1], 0
.LBB6_250:
	s_andn2_b64 vcc, exec, s[0:1]
	s_cbranch_vccnz .LBB6_252
; %bb.251:
	global_load_sshort v2, v[0:1], off
	s_waitcnt vmcnt(0)
	v_cvt_f64_i32_e32 v[2:3], v2
.LBB6_252:
	s_mov_b64 s[0:1], 0
.LBB6_253:
	s_andn2_b64 vcc, exec, s[0:1]
	s_cbranch_vccnz .LBB6_259
; %bb.254:
	s_cmp_gt_i32 s22, 0
	s_cbranch_scc0 .LBB6_256
; %bb.255:
	global_load_sbyte v2, v[0:1], off
	s_mov_b64 s[0:1], 0
	s_waitcnt vmcnt(0)
	v_cvt_f64_i32_e32 v[2:3], v2
	s_branch .LBB6_257
.LBB6_256:
	s_mov_b64 s[0:1], -1
                                        ; implicit-def: $vgpr2_vgpr3
.LBB6_257:
	s_andn2_b64 vcc, exec, s[0:1]
	s_cbranch_vccnz .LBB6_259
; %bb.258:
	global_load_ubyte v0, v[0:1], off
	s_waitcnt vmcnt(0)
	v_cvt_f64_u32_e32 v[2:3], v0
.LBB6_259:
	s_branch .LBB6_11
.LBB6_260:
	s_mov_b64 s[0:1], 0
                                        ; implicit-def: $vgpr14
	s_mov_b64 s[18:19], 0
.LBB6_261:
	s_and_b64 s[6:7], s[0:1], exec
	s_and_b64 s[14:15], s[14:15], exec
	s_orn2_b64 s[18:19], s[18:19], exec
.LBB6_262:
	s_or_b64 exec, exec, s[16:17]
	s_mov_b64 s[22:23], 0
	s_mov_b64 s[0:1], 0
                                        ; implicit-def: $vgpr0_vgpr1
                                        ; implicit-def: $vgpr2_vgpr3
	s_and_saveexec_b64 s[16:17], s[18:19]
	s_cbranch_execz .LBB6_271
; %bb.263:
	v_cmp_gt_i32_e32 vcc, s38, v14
	s_mov_b64 s[0:1], -1
	s_mov_b64 s[18:19], s[14:15]
	s_mov_b64 s[20:21], s[6:7]
	s_and_saveexec_b64 s[22:23], vcc
	s_cbranch_execz .LBB6_533
; %bb.264:
	v_mul_lo_u32 v0, v14, s3
	v_mov_b32_e32 v1, s11
	s_and_b32 s26, 0xffff, s42
	s_cmp_lt_i32 s26, 11
	s_waitcnt vmcnt(0)
	v_ashrrev_i32_e32 v2, 31, v0
	v_add_co_u32_e32 v0, vcc, s10, v0
	v_addc_co_u32_e32 v1, vcc, v1, v2, vcc
	s_cbranch_scc1 .LBB6_274
; %bb.265:
	s_cmp_gt_i32 s26, 25
	s_cbranch_scc0 .LBB6_293
; %bb.266:
	s_cmp_gt_i32 s26, 28
	s_cbranch_scc0 .LBB6_295
	;; [unrolled: 3-line block ×4, first 2 shown]
; %bb.269:
	s_cmp_eq_u32 s26, 46
	s_mov_b64 s[20:21], 0
	s_cbranch_scc0 .LBB6_305
; %bb.270:
	global_load_dword v2, v[0:1], off
	s_mov_b64 s[18:19], 0
	s_waitcnt vmcnt(0)
	v_lshlrev_b32_e32 v2, 16, v2
	v_cvt_f64_f32_e32 v[2:3], v2
	s_branch .LBB6_306
.LBB6_271:
	s_or_b64 exec, exec, s[16:17]
	s_mov_b64 s[16:17], 0
	s_and_saveexec_b64 s[18:19], s[14:15]
	s_cbranch_execnz .LBB6_889
.LBB6_272:
	s_or_b64 exec, exec, s[18:19]
	s_and_saveexec_b64 s[14:15], s[20:21]
	s_xor_b64 s[14:15], exec, s[14:15]
	s_cbranch_execz .LBB6_890
.LBB6_273:
	global_load_ubyte v3, v[0:1], off
	v_mov_b32_e32 v4, 0x3ff00000
	s_waitcnt vmcnt(1)
	v_mov_b32_e32 v2, 0
	s_or_b64 s[0:1], s[0:1], exec
	s_waitcnt vmcnt(0)
	v_cmp_ne_u16_e32 vcc, 0, v3
	v_cndmask_b32_e32 v3, 0, v4, vcc
	s_or_b64 exec, exec, s[14:15]
	s_and_saveexec_b64 s[14:15], s[22:23]
	s_cbranch_execz .LBB6_936
	s_branch .LBB6_891
.LBB6_274:
	s_mov_b64 s[0:1], 0
                                        ; implicit-def: $vgpr2_vgpr3
	s_mov_b64 s[18:19], s[14:15]
	s_cbranch_execnz .LBB6_483
.LBB6_275:
	s_andn2_b64 vcc, exec, s[0:1]
	s_cbranch_vccnz .LBB6_531
.LBB6_276:
	s_mov_b32 s0, 0
	s_mov_b32 s1, 0x7ff00000
	s_waitcnt vmcnt(0)
	v_cmp_neq_f64_e64 s[0:1], |v[2:3]|, s[0:1]
	v_mov_b32_e32 v0, 0
	v_mov_b32_e32 v1, 0
	s_and_saveexec_b64 s[20:21], s[0:1]
	s_cbranch_execz .LBB6_286
; %bb.277:
	v_cmp_nlt_f64_e64 s[0:1], |v[2:3]|, 0.5
                                        ; implicit-def: $vgpr0_vgpr1
	s_and_saveexec_b64 s[24:25], s[0:1]
	s_xor_b64 s[24:25], exec, s[24:25]
	s_cbranch_execz .LBB6_283
; %bb.278:
	s_mov_b32 s0, 0
	s_mov_b32 s1, 0x41d00000
	v_cmp_nlt_f64_e64 s[0:1], |v[2:3]|, s[0:1]
                                        ; implicit-def: $vgpr6
                                        ; implicit-def: $vgpr0_vgpr1
                                        ; implicit-def: $vgpr4_vgpr5
	s_and_saveexec_b64 s[26:27], s[0:1]
	s_xor_b64 s[26:27], exec, s[26:27]
	s_cbranch_execz .LBB6_280
; %bb.279:
	v_trig_preop_f64 v[0:1], |v[2:3]|, 0
	s_mov_b32 s0, 0
	s_mov_b32 s1, 0x7b000000
	s_movk_i32 s28, 0xff80
	v_ldexp_f64 v[6:7], |v[2:3]|, s28
	v_cmp_ge_f64_e64 vcc, |v[2:3]|, s[0:1]
	v_trig_preop_f64 v[4:5], |v[2:3]|, 1
	v_and_b32_e32 v8, 0x7fffffff, v3
	v_trig_preop_f64 v[15:16], |v[2:3]|, 2
	s_mov_b32 s0, 0
	s_mov_b32 s1, 0x7ff00000
	v_mov_b32_e32 v26, 0x40100000
	v_mov_b32_e32 v25, 0
	v_cndmask_b32_e32 v7, v8, v7, vcc
	v_cndmask_b32_e32 v6, v2, v6, vcc
	s_mov_b32 s28, 0x33145c07
	v_mul_f64 v[8:9], v[0:1], v[6:7]
	s_mov_b32 s29, 0x3c91a626
	v_mul_f64 v[10:11], v[4:5], v[6:7]
	v_mul_f64 v[21:22], v[15:16], v[6:7]
	v_fma_f64 v[0:1], v[0:1], v[6:7], -v[8:9]
	v_fma_f64 v[4:5], v[4:5], v[6:7], -v[10:11]
	;; [unrolled: 1-line block ×3, first 2 shown]
	v_add_f64 v[12:13], v[10:11], v[0:1]
	v_add_f64 v[17:18], v[12:13], -v[10:11]
	v_add_f64 v[23:24], v[8:9], v[12:13]
	v_add_f64 v[19:20], v[12:13], -v[17:18]
	v_add_f64 v[0:1], v[0:1], -v[17:18]
	v_add_f64 v[17:18], v[21:22], v[4:5]
	v_add_f64 v[8:9], v[23:24], -v[8:9]
	v_add_f64 v[10:11], v[10:11], -v[19:20]
	v_ldexp_f64 v[19:20], v[23:24], -2
	v_add_f64 v[27:28], v[17:18], -v[21:22]
	v_add_f64 v[8:9], v[12:13], -v[8:9]
	v_add_f64 v[0:1], v[0:1], v[10:11]
	v_fract_f64_e32 v[10:11], v[19:20]
	v_cmp_neq_f64_e64 vcc, |v[19:20]|, s[0:1]
	v_add_f64 v[4:5], v[4:5], -v[27:28]
	v_add_f64 v[12:13], v[17:18], v[0:1]
	v_ldexp_f64 v[10:11], v[10:11], 2
	v_add_f64 v[19:20], v[8:9], v[12:13]
	v_cndmask_b32_e32 v11, 0, v11, vcc
	v_cndmask_b32_e32 v10, 0, v10, vcc
	v_add_f64 v[29:30], v[12:13], -v[17:18]
	v_add_f64 v[23:24], v[19:20], v[10:11]
	v_add_f64 v[8:9], v[19:20], -v[8:9]
	v_add_f64 v[31:32], v[12:13], -v[29:30]
	;; [unrolled: 1-line block ×3, first 2 shown]
	v_cmp_gt_f64_e32 vcc, 0, v[23:24]
	v_add_f64 v[23:24], v[17:18], -v[27:28]
	v_add_f64 v[8:9], v[12:13], -v[8:9]
	;; [unrolled: 1-line block ×3, first 2 shown]
	v_cndmask_b32_e32 v26, 0, v26, vcc
	v_add_f64 v[10:11], v[10:11], v[25:26]
	v_add_f64 v[23:24], v[21:22], -v[23:24]
	v_add_f64 v[0:1], v[0:1], v[17:18]
	v_add_f64 v[33:34], v[19:20], v[10:11]
	;; [unrolled: 1-line block ×3, first 2 shown]
	v_cvt_i32_f64_e32 v28, v[33:34]
	v_add_f64 v[0:1], v[4:5], v[0:1]
	v_cvt_f64_i32_e32 v[26:27], v28
	v_add_f64 v[10:11], v[10:11], -v[26:27]
	v_add_f64 v[0:1], v[6:7], v[0:1]
	v_add_f64 v[4:5], v[19:20], v[10:11]
	;; [unrolled: 1-line block ×3, first 2 shown]
	v_mov_b32_e32 v9, 0x3ff00000
	v_add_f64 v[6:7], v[4:5], -v[10:11]
	v_cmp_le_f64_e32 vcc, 0.5, v[4:5]
	v_add_f64 v[7:8], v[19:20], -v[6:7]
	v_cndmask_b32_e32 v26, 0, v9, vcc
	v_add_f64 v[4:5], v[4:5], -v[25:26]
	v_addc_co_u32_e64 v6, s[0:1], 0, v28, vcc
	s_mov_b32 s0, 0x54442d18
	s_mov_b32 s1, 0x3ff921fb
	v_add_f64 v[0:1], v[0:1], v[7:8]
	v_add_f64 v[7:8], v[4:5], v[0:1]
	v_mul_f64 v[9:10], v[7:8], s[0:1]
	v_add_f64 v[4:5], v[7:8], -v[4:5]
	v_fma_f64 v[11:12], v[7:8], s[0:1], -v[9:10]
	v_add_f64 v[0:1], v[0:1], -v[4:5]
	v_fma_f64 v[4:5], v[7:8], s[28:29], v[11:12]
	v_fma_f64 v[4:5], v[0:1], s[0:1], v[4:5]
	v_add_f64 v[0:1], v[9:10], v[4:5]
	v_add_f64 v[7:8], v[0:1], -v[9:10]
	v_add_f64 v[4:5], v[4:5], -v[7:8]
.LBB6_280:
	s_andn2_saveexec_b64 s[0:1], s[26:27]
	s_cbranch_execz .LBB6_282
; %bb.281:
	s_mov_b32 s26, 0x6dc9c883
	s_mov_b32 s27, 0x3fe45f30
	v_mul_f64 v[0:1], |v[2:3]|, s[26:27]
	s_mov_b32 s26, 0x54442d18
	s_mov_b32 s27, 0xbff921fb
	s_mov_b32 s29, 0xbc91a626
	s_mov_b32 s28, 0x33145c00
	v_rndne_f64_e32 v[6:7], v[0:1]
	v_fma_f64 v[0:1], v[6:7], s[26:27], |v[2:3]|
	v_mul_f64 v[4:5], v[6:7], s[28:29]
	s_mov_b32 s26, 0x252049c0
	s_mov_b32 s27, 0xb97b839a
	v_fma_f64 v[12:13], v[6:7], s[28:29], v[0:1]
	v_add_f64 v[8:9], v[0:1], v[4:5]
	s_mov_b32 s29, 0x3c91a626
	v_add_f64 v[10:11], v[0:1], -v[8:9]
	v_add_f64 v[8:9], v[8:9], -v[12:13]
	v_add_f64 v[0:1], v[10:11], v[4:5]
	v_fma_f64 v[4:5], v[6:7], s[28:29], v[4:5]
	v_add_f64 v[0:1], v[8:9], v[0:1]
	v_add_f64 v[0:1], v[0:1], -v[4:5]
	v_fma_f64 v[4:5], v[6:7], s[26:27], v[0:1]
	v_cvt_i32_f64_e32 v6, v[6:7]
	v_add_f64 v[0:1], v[12:13], v[4:5]
	v_add_f64 v[8:9], v[0:1], -v[12:13]
	v_add_f64 v[4:5], v[4:5], -v[8:9]
.LBB6_282:
	s_or_b64 exec, exec, s[0:1]
	v_mul_f64 v[7:8], v[0:1], v[0:1]
	s_mov_b32 s0, 0xf9a43bb8
	v_mov_b32_e32 v10, 0xb42fdfa7
	v_mov_b32_e32 v11, 0xbe5ae600
	s_mov_b32 s1, 0x3de5e0b2
	s_mov_b32 s26, 0x796cde01
	v_mov_b32_e32 v9, 0x9037ab78
	s_mov_b32 s27, 0x3ec71de3
	v_fma_f64 v[11:12], v[7:8], s[0:1], v[10:11]
	s_mov_b32 s0, 0x46cc5e42
	v_mov_b32_e32 v10, 0x3e21eeb6
	s_mov_b32 s1, 0xbda907db
	v_fma_f64 v[9:10], v[7:8], s[0:1], v[9:10]
	v_mul_f64 v[15:16], v[7:8], 0.5
	s_mov_b32 s0, 0xa17f65f6
	s_mov_b32 s28, 0x19e83e5c
	v_fma_f64 v[11:12], v[7:8], v[11:12], s[26:27]
	s_mov_b32 s1, 0xbe927e4f
	s_mov_b32 s29, 0xbf2a01a0
	s_mov_b32 s26, 0x19f4ec90
	v_fma_f64 v[9:10], v[7:8], v[9:10], s[0:1]
	v_add_f64 v[17:18], -v[15:16], 1.0
	s_mov_b32 s0, 0x11110bb3
	s_mov_b32 s27, 0x3efa01a0
	v_fma_f64 v[11:12], v[7:8], v[11:12], s[28:29]
	s_mov_b32 s1, 0x3f811111
	v_mul_f64 v[19:20], v[4:5], 0.5
	v_mul_f64 v[21:22], v[0:1], -v[7:8]
	v_fma_f64 v[9:10], v[7:8], v[9:10], s[26:27]
	v_add_f64 v[23:24], -v[17:18], 1.0
	v_fma_f64 v[11:12], v[7:8], v[11:12], s[0:1]
	s_mov_b32 s0, 0x16c16967
	s_mov_b32 s1, 0xbf56c16c
	v_fma_f64 v[9:10], v[7:8], v[9:10], s[0:1]
	v_add_f64 v[15:16], v[23:24], -v[15:16]
	s_mov_b32 s1, 0x3fa55555
	s_mov_b32 s0, 0x55555555
	v_fma_f64 v[11:12], v[21:22], v[11:12], v[19:20]
	v_mul_f64 v[19:20], v[7:8], v[7:8]
	v_fma_f64 v[9:10], v[7:8], v[9:10], s[0:1]
	v_fma_f64 v[15:16], v[0:1], -v[4:5], v[15:16]
	s_mov_b32 s1, 0xbfc55555
	v_fma_f64 v[4:5], v[7:8], v[11:12], -v[4:5]
	v_fma_f64 v[7:8], v[19:20], v[9:10], v[15:16]
	v_fma_f64 v[4:5], v[21:22], s[0:1], v[4:5]
	s_movk_i32 s0, 0x1f8
	v_cmp_class_f64_e64 s[0:1], v[2:3], s0
	v_add_f64 v[7:8], v[17:18], v[7:8]
	v_add_f64 v[0:1], v[0:1], -v[4:5]
	v_and_b32_e32 v4, 1, v6
	v_cmp_eq_u32_e32 vcc, 0, v4
	v_lshlrev_b32_e32 v4, 30, v6
	v_xor_b32_e32 v4, v4, v3
	v_and_b32_e32 v4, 0x80000000, v4
	v_mov_b32_e32 v5, 0x7ff80000
	v_cndmask_b32_e32 v1, v8, v1, vcc
	v_cndmask_b32_e32 v0, v7, v0, vcc
	v_xor_b32_e32 v1, v1, v4
	v_cndmask_b32_e64 v0, 0, v0, s[0:1]
	v_cndmask_b32_e64 v1, v5, v1, s[0:1]
	v_div_scale_f64 v[4:5], s[0:1], v[2:3], v[2:3], v[0:1]
	v_div_scale_f64 v[10:11], vcc, v[0:1], v[2:3], v[0:1]
	v_rcp_f64_e32 v[6:7], v[4:5]
	v_fma_f64 v[8:9], -v[4:5], v[6:7], 1.0
	v_fma_f64 v[6:7], v[6:7], v[8:9], v[6:7]
	v_fma_f64 v[8:9], -v[4:5], v[6:7], 1.0
	v_fma_f64 v[6:7], v[6:7], v[8:9], v[6:7]
	v_mul_f64 v[8:9], v[10:11], v[6:7]
	v_fma_f64 v[4:5], -v[4:5], v[8:9], v[10:11]
	v_div_fmas_f64 v[4:5], v[4:5], v[6:7], v[8:9]
	v_div_fixup_f64 v[0:1], v[4:5], v[2:3], v[0:1]
                                        ; implicit-def: $vgpr2_vgpr3
.LBB6_283:
	s_andn2_saveexec_b64 s[0:1], s[24:25]
	s_cbranch_execz .LBB6_285
; %bb.284:
	v_mul_f64 v[0:1], v[2:3], v[2:3]
	s_mov_b32 s24, 0x13a86d09
	v_mov_b32_e32 v2, 0x67f544e4
	v_mov_b32_e32 v3, 0xbe5ae645
	s_mov_b32 s25, 0x3de61246
	v_fma_f64 v[2:3], v[0:1], s[24:25], v[2:3]
	s_mov_b32 s24, 0xa556c734
	s_mov_b32 s25, 0x3ec71de3
	v_fma_f64 v[2:3], v[0:1], v[2:3], s[24:25]
	s_mov_b32 s24, 0x1a01a01a
	;; [unrolled: 3-line block ×4, first 2 shown]
	s_mov_b32 s25, 0xbfc55555
	v_fma_f64 v[2:3], v[0:1], v[2:3], s[24:25]
	v_fma_f64 v[0:1], v[0:1], v[2:3], 1.0
.LBB6_285:
	s_or_b64 exec, exec, s[0:1]
.LBB6_286:
	s_or_b64 exec, exec, s[20:21]
	v_mul_lo_u32 v2, v14, s2
	v_mov_b32_e32 v3, s9
	s_and_b32 s28, s33, 0xff
	s_cmp_lt_i32 s28, 11
	v_ashrrev_i32_e32 v5, 31, v2
	v_add_co_u32_e32 v4, vcc, s8, v2
	v_addc_co_u32_e32 v5, vcc, v3, v5, vcc
	s_cbranch_scc1 .LBB6_294
; %bb.287:
	s_and_b32 s29, 0xffff, s28
	s_cmp_gt_i32 s29, 25
	s_cbranch_scc0 .LBB6_296
; %bb.288:
	s_cmp_gt_i32 s29, 28
	s_cbranch_scc0 .LBB6_298
; %bb.289:
	;; [unrolled: 3-line block ×4, first 2 shown]
	s_mov_b64 s[24:25], 0
	s_mov_b64 s[0:1], -1
	s_cmp_eq_u32 s29, 46
	s_mov_b64 s[20:21], 0
	s_cbranch_scc0 .LBB6_310
; %bb.292:
	v_cvt_f32_f64_e32 v2, v[0:1]
	s_movk_i32 s0, 0x7fff
	v_mov_b32_e32 v3, 0x7fc0
	s_mov_b64 s[20:21], -1
	v_bfe_u32 v6, v2, 16, 1
	v_cmp_o_f32_e32 vcc, v2, v2
	v_add3_u32 v2, v2, v6, s0
	v_cndmask_b32_sdwa v2, v3, v2, vcc dst_sel:DWORD dst_unused:UNUSED_PAD src0_sel:DWORD src1_sel:WORD_1
	global_store_dword v[4:5], v2, off
	s_mov_b64 s[0:1], 0
	s_branch .LBB6_310
.LBB6_293:
	s_mov_b64 s[20:21], -1
	s_mov_b64 s[0:1], 0
	s_mov_b64 s[18:19], s[14:15]
                                        ; implicit-def: $vgpr2_vgpr3
	s_branch .LBB6_449
.LBB6_294:
	s_mov_b64 s[24:25], -1
	s_mov_b64 s[20:21], 0
	s_mov_b64 s[0:1], s[6:7]
	s_branch .LBB6_379
.LBB6_295:
	s_mov_b64 s[20:21], -1
	s_mov_b64 s[0:1], 0
	s_mov_b64 s[18:19], s[14:15]
                                        ; implicit-def: $vgpr2_vgpr3
	s_branch .LBB6_428
.LBB6_296:
	s_mov_b64 s[24:25], -1
	s_mov_b64 s[20:21], 0
	s_mov_b64 s[0:1], s[6:7]
	s_branch .LBB6_337
.LBB6_297:
	s_mov_b64 s[20:21], -1
	s_mov_b64 s[0:1], 0
	s_mov_b64 s[18:19], s[14:15]
                                        ; implicit-def: $vgpr2_vgpr3
	s_branch .LBB6_423
.LBB6_298:
	s_mov_b64 s[24:25], -1
	s_mov_b64 s[20:21], 0
	s_mov_b64 s[0:1], s[6:7]
	s_branch .LBB6_320
.LBB6_299:
	s_andn2_saveexec_b64 s[22:23], s[22:23]
	s_cbranch_execz .LBB6_65
.LBB6_300:
	s_mov_b32 s26, 0x46000000
	v_add_f32_e64 v3, |v2|, s26
	v_and_b32_e32 v3, 0xff, v3
	v_cmp_ne_u32_e32 vcc, 0, v3
	s_andn2_b64 s[18:19], s[18:19], exec
	s_and_b64 s[26:27], vcc, exec
	s_or_b64 s[18:19], s[18:19], s[26:27]
	s_or_b64 exec, exec, s[22:23]
	v_mov_b32_e32 v6, 0
	s_and_saveexec_b64 s[22:23], s[18:19]
	s_cbranch_execnz .LBB6_66
	s_branch .LBB6_67
.LBB6_301:
	s_mov_b64 s[20:21], -1
	s_mov_b64 s[0:1], 0
	s_mov_b64 s[18:19], s[14:15]
                                        ; implicit-def: $vgpr2_vgpr3
	s_branch .LBB6_306
.LBB6_302:
	s_mov_b64 s[24:25], -1
	s_mov_b64 s[20:21], 0
	s_mov_b64 s[0:1], s[6:7]
	s_branch .LBB6_316
.LBB6_303:
	s_andn2_saveexec_b64 s[22:23], s[22:23]
	s_cbranch_execz .LBB6_78
.LBB6_304:
	s_mov_b32 s26, 0x42800000
	v_add_f32_e64 v3, |v2|, s26
	v_and_b32_e32 v3, 0xff, v3
	v_cmp_ne_u32_e32 vcc, 0, v3
	s_andn2_b64 s[18:19], s[18:19], exec
	s_and_b64 s[26:27], vcc, exec
	s_or_b64 s[18:19], s[18:19], s[26:27]
	s_or_b64 exec, exec, s[22:23]
	v_mov_b32_e32 v6, 0
	s_and_saveexec_b64 s[22:23], s[18:19]
	s_cbranch_execnz .LBB6_79
	s_branch .LBB6_80
.LBB6_305:
	s_mov_b64 s[18:19], -1
                                        ; implicit-def: $vgpr2_vgpr3
	s_mov_b64 s[0:1], 0
.LBB6_306:
	s_and_b64 vcc, exec, s[20:21]
	s_cbranch_vccz .LBB6_422
; %bb.307:
	s_cmp_eq_u32 s26, 44
	s_cbranch_scc0 .LBB6_421
; %bb.308:
	global_load_ubyte v4, v[0:1], off
	s_movk_i32 s18, 0xff
	v_bfrev_b32_e32 v5, 4
	v_mov_b32_e32 v6, 0x7ff80000
	v_bfrev_b32_e32 v7, 28
	s_mov_b64 s[0:1], -1
	s_waitcnt vmcnt(0)
	v_lshlrev_b32_e32 v2, 23, v4
	v_cvt_f64_f32_e32 v[2:3], v2
	v_cmp_ne_u32_e32 vcc, s18, v4
	s_mov_b64 s[18:19], 0
	v_cndmask_b32_e32 v2, v5, v2, vcc
	v_cndmask_b32_e32 v3, v6, v3, vcc
	v_cmp_ne_u32_e32 vcc, 0, v4
	v_cndmask_b32_e32 v3, v7, v3, vcc
	v_cndmask_b32_e32 v2, 0, v2, vcc
	s_branch .LBB6_422
.LBB6_309:
	s_mov_b64 s[24:25], -1
	s_mov_b64 s[20:21], 0
	s_mov_b64 s[0:1], s[6:7]
.LBB6_310:
	s_and_b64 vcc, exec, s[24:25]
	s_cbranch_vccz .LBB6_315
; %bb.311:
	s_cmp_eq_u32 s29, 44
	s_mov_b64 s[0:1], -1
	s_cbranch_scc0 .LBB6_315
; %bb.312:
	v_cvt_f32_f64_e32 v2, v[0:1]
	s_movk_i32 s0, 0xff
	v_mov_b32_e32 v6, 0xff
	v_bfe_u32 v3, v2, 23, 8
	v_cmp_ne_u32_e32 vcc, s0, v3
	s_and_saveexec_b64 s[20:21], vcc
; %bb.313:
	s_mov_b32 s0, 0x3fffff
	v_lshrrev_b32_e32 v6, 23, v2
	v_and_b32_e32 v7, 0x400000, v2
	v_and_or_b32 v2, v2, s0, v3
	v_cmp_ne_u32_e32 vcc, 0, v7
	v_cmp_ne_u32_e64 s[0:1], 0, v2
	s_and_b64 s[0:1], vcc, s[0:1]
	v_cndmask_b32_e64 v2, 0, 1, s[0:1]
	v_add_u32_e32 v6, v6, v2
; %bb.314:
	s_or_b64 exec, exec, s[20:21]
	s_mov_b64 s[20:21], -1
	s_mov_b64 s[0:1], 0
	global_store_byte v[4:5], v6, off
.LBB6_315:
	s_mov_b64 s[24:25], 0
.LBB6_316:
	s_and_b64 vcc, exec, s[24:25]
	s_cbranch_vccz .LBB6_319
; %bb.317:
	s_cmp_eq_u32 s29, 29
	s_mov_b64 s[0:1], -1
	s_cbranch_scc0 .LBB6_319
; %bb.318:
	v_trunc_f64_e32 v[2:3], v[0:1]
	s_movk_i32 s0, 0xffe0
	s_mov_b64 s[20:21], -1
	s_mov_b64 s[24:25], 0
	v_ldexp_f64 v[6:7], v[2:3], s0
	s_mov_b32 s0, 0
	s_mov_b32 s1, 0xc1f00000
	v_floor_f64_e32 v[6:7], v[6:7]
	v_fma_f64 v[2:3], v[6:7], s[0:1], v[2:3]
	v_cvt_u32_f64_e32 v7, v[6:7]
	s_mov_b64 s[0:1], 0
	v_cvt_u32_f64_e32 v6, v[2:3]
	global_store_dwordx2 v[4:5], v[6:7], off
	s_branch .LBB6_320
.LBB6_319:
	s_mov_b64 s[24:25], 0
.LBB6_320:
	s_and_b64 vcc, exec, s[24:25]
	s_cbranch_vccz .LBB6_336
; %bb.321:
	s_cmp_lt_i32 s29, 27
	s_mov_b64 s[20:21], -1
	s_cbranch_scc1 .LBB6_327
; %bb.322:
	v_cvt_u32_f64_e32 v2, v[0:1]
	s_cmp_gt_i32 s29, 27
	s_cbranch_scc0 .LBB6_324
; %bb.323:
	s_mov_b64 s[20:21], 0
	global_store_dword v[4:5], v2, off
.LBB6_324:
	s_andn2_b64 vcc, exec, s[20:21]
	s_cbranch_vccnz .LBB6_326
; %bb.325:
	global_store_short v[4:5], v2, off
.LBB6_326:
	s_mov_b64 s[20:21], 0
.LBB6_327:
	s_andn2_b64 vcc, exec, s[20:21]
	s_cbranch_vccnz .LBB6_335
; %bb.328:
	v_cvt_f32_f64_e32 v2, v[0:1]
	s_mov_b32 s20, 0x43800000
	v_mov_b32_e32 v6, 0x80
	v_and_b32_e32 v3, 0x7fffffff, v2
	v_cmp_gt_u32_e32 vcc, s20, v3
	s_and_saveexec_b64 s[20:21], vcc
	s_cbranch_execz .LBB6_334
; %bb.329:
	s_mov_b32 s24, 0x3bffffff
	v_cmp_lt_u32_e32 vcc, s24, v3
	s_mov_b64 s[24:25], 0
                                        ; implicit-def: $vgpr3
	s_and_saveexec_b64 s[26:27], vcc
	s_xor_b64 s[26:27], exec, s[26:27]
	s_cbranch_execz .LBB6_546
; %bb.330:
	v_bfe_u32 v3, v2, 20, 1
	s_mov_b32 s30, 0x487ffff
	v_add3_u32 v3, v2, v3, s30
	s_mov_b64 s[24:25], exec
	v_lshrrev_b32_e32 v3, 20, v3
	s_andn2_saveexec_b64 s[26:27], s[26:27]
	s_cbranch_execnz .LBB6_547
.LBB6_331:
	s_or_b64 exec, exec, s[26:27]
	v_mov_b32_e32 v6, 0
	s_and_saveexec_b64 s[26:27], s[24:25]
.LBB6_332:
	v_lshrrev_b32_e32 v2, 24, v2
	s_movk_i32 s24, 0x80
	v_and_or_b32 v6, v2, s24, v3
.LBB6_333:
	s_or_b64 exec, exec, s[26:27]
.LBB6_334:
	s_or_b64 exec, exec, s[20:21]
	global_store_byte v[4:5], v6, off
.LBB6_335:
	s_mov_b64 s[20:21], -1
.LBB6_336:
	s_mov_b64 s[24:25], 0
.LBB6_337:
	s_and_b64 vcc, exec, s[24:25]
	s_cbranch_vccz .LBB6_378
; %bb.338:
	s_cmp_gt_i32 s29, 22
	s_mov_b64 s[24:25], -1
	s_cbranch_scc0 .LBB6_370
; %bb.339:
	s_cmp_lt_i32 s29, 24
	s_mov_b64 s[20:21], -1
	s_cbranch_scc1 .LBB6_359
; %bb.340:
	s_cmp_gt_i32 s29, 24
	s_cbranch_scc0 .LBB6_348
; %bb.341:
	v_cvt_f32_f64_e32 v2, v[0:1]
	s_mov_b32 s20, 0x47800000
	v_mov_b32_e32 v6, 0x80
	v_and_b32_e32 v3, 0x7fffffff, v2
	v_cmp_gt_u32_e32 vcc, s20, v3
	s_and_saveexec_b64 s[20:21], vcc
	s_cbranch_execz .LBB6_347
; %bb.342:
	s_mov_b32 s24, 0x37ffffff
	v_cmp_lt_u32_e32 vcc, s24, v3
	s_mov_b64 s[24:25], 0
                                        ; implicit-def: $vgpr3
	s_and_saveexec_b64 s[26:27], vcc
	s_xor_b64 s[26:27], exec, s[26:27]
	s_cbranch_execz .LBB6_549
; %bb.343:
	v_bfe_u32 v3, v2, 21, 1
	s_mov_b32 s30, 0x88fffff
	v_add3_u32 v3, v2, v3, s30
	s_mov_b64 s[24:25], exec
	v_lshrrev_b32_e32 v3, 21, v3
	s_andn2_saveexec_b64 s[26:27], s[26:27]
	s_cbranch_execnz .LBB6_550
.LBB6_344:
	s_or_b64 exec, exec, s[26:27]
	v_mov_b32_e32 v6, 0
	s_and_saveexec_b64 s[26:27], s[24:25]
.LBB6_345:
	v_lshrrev_b32_e32 v2, 24, v2
	s_movk_i32 s24, 0x80
	v_and_or_b32 v6, v2, s24, v3
.LBB6_346:
	s_or_b64 exec, exec, s[26:27]
.LBB6_347:
	s_or_b64 exec, exec, s[20:21]
	s_mov_b64 s[20:21], 0
	global_store_byte v[4:5], v6, off
.LBB6_348:
	s_and_b64 vcc, exec, s[20:21]
	s_cbranch_vccz .LBB6_358
; %bb.349:
	v_cvt_f32_f64_e32 v2, v[0:1]
	s_mov_b32 s20, 0x43f00000
                                        ; implicit-def: $vgpr3
	v_and_b32_e32 v6, 0x7fffffff, v2
	v_cmp_gt_u32_e32 vcc, s20, v6
	s_and_saveexec_b64 s[20:21], vcc
	s_xor_b64 s[20:21], exec, s[20:21]
	s_cbranch_execz .LBB6_355
; %bb.350:
	s_mov_b32 s24, 0x3c7fffff
	v_cmp_lt_u32_e32 vcc, s24, v6
                                        ; implicit-def: $vgpr3
	s_and_saveexec_b64 s[24:25], vcc
	s_xor_b64 s[24:25], exec, s[24:25]
; %bb.351:
	v_bfe_u32 v3, v2, 20, 1
	s_mov_b32 s26, 0x407ffff
	v_add3_u32 v3, v2, v3, s26
	v_lshrrev_b32_e32 v6, 20, v3
	v_and_b32_e32 v3, 0xff00000, v3
	s_mov_b32 s26, 0x7f00000
	v_mov_b32_e32 v7, 0x7e
	v_cmp_ne_u32_e32 vcc, s26, v3
	v_cndmask_b32_e32 v3, v7, v6, vcc
; %bb.352:
	s_andn2_saveexec_b64 s[24:25], s[24:25]
; %bb.353:
	s_mov_b32 s26, 0x46800000
	v_add_f32_e64 v3, |v2|, s26
; %bb.354:
	s_or_b64 exec, exec, s[24:25]
                                        ; implicit-def: $vgpr6
.LBB6_355:
	s_andn2_saveexec_b64 s[20:21], s[20:21]
; %bb.356:
	s_mov_b32 s24, 0x7f800000
	v_mov_b32_e32 v3, 0x7e
	v_mov_b32_e32 v7, 0x7f
	v_cmp_lt_u32_e32 vcc, s24, v6
	v_cndmask_b32_e32 v3, v3, v7, vcc
; %bb.357:
	s_or_b64 exec, exec, s[20:21]
	v_lshrrev_b32_e32 v2, 24, v2
	s_movk_i32 s20, 0x80
	v_and_or_b32 v2, v2, s20, v3
	global_store_byte v[4:5], v2, off
.LBB6_358:
	s_mov_b64 s[20:21], 0
.LBB6_359:
	s_andn2_b64 vcc, exec, s[20:21]
	s_cbranch_vccnz .LBB6_369
; %bb.360:
	v_cvt_f32_f64_e32 v2, v[0:1]
	s_mov_b32 s20, 0x47800000
                                        ; implicit-def: $vgpr3
	v_and_b32_e32 v6, 0x7fffffff, v2
	v_cmp_gt_u32_e32 vcc, s20, v6
	s_and_saveexec_b64 s[20:21], vcc
	s_xor_b64 s[20:21], exec, s[20:21]
	s_cbranch_execz .LBB6_366
; %bb.361:
	s_mov_b32 s24, 0x387fffff
	v_cmp_lt_u32_e32 vcc, s24, v6
                                        ; implicit-def: $vgpr3
	s_and_saveexec_b64 s[24:25], vcc
	s_xor_b64 s[24:25], exec, s[24:25]
; %bb.362:
	v_bfe_u32 v3, v2, 21, 1
	s_mov_b32 s26, 0x80fffff
	v_add3_u32 v3, v2, v3, s26
	v_lshrrev_b32_e32 v3, 21, v3
; %bb.363:
	s_andn2_saveexec_b64 s[24:25], s[24:25]
; %bb.364:
	s_mov_b32 s26, 0x43000000
	v_add_f32_e64 v3, |v2|, s26
; %bb.365:
	s_or_b64 exec, exec, s[24:25]
                                        ; implicit-def: $vgpr6
.LBB6_366:
	s_andn2_saveexec_b64 s[20:21], s[20:21]
; %bb.367:
	s_mov_b32 s24, 0x7f800000
	v_mov_b32_e32 v3, 0x7c
	v_mov_b32_e32 v7, 0x7f
	v_cmp_lt_u32_e32 vcc, s24, v6
	v_cndmask_b32_e32 v3, v3, v7, vcc
; %bb.368:
	s_or_b64 exec, exec, s[20:21]
	v_lshrrev_b32_e32 v2, 24, v2
	s_movk_i32 s20, 0x80
	v_and_or_b32 v2, v2, s20, v3
	global_store_byte v[4:5], v2, off
.LBB6_369:
	s_mov_b64 s[24:25], 0
	s_mov_b64 s[20:21], -1
.LBB6_370:
	s_andn2_b64 vcc, exec, s[24:25]
	s_cbranch_vccnz .LBB6_378
; %bb.371:
	s_cmp_gt_i32 s29, 14
	s_mov_b64 s[24:25], -1
	s_cbranch_scc0 .LBB6_375
; %bb.372:
	s_cmp_eq_u32 s29, 15
	s_mov_b64 s[0:1], -1
	s_cbranch_scc0 .LBB6_374
; %bb.373:
	v_cvt_f32_f64_e32 v2, v[0:1]
	s_movk_i32 s0, 0x7fff
	v_mov_b32_e32 v3, 0x7fc0
	s_mov_b64 s[20:21], -1
	v_bfe_u32 v6, v2, 16, 1
	v_cmp_o_f32_e32 vcc, v2, v2
	v_add3_u32 v2, v2, v6, s0
	v_cndmask_b32_sdwa v2, v3, v2, vcc dst_sel:DWORD dst_unused:UNUSED_PAD src0_sel:DWORD src1_sel:WORD_1
	global_store_short v[4:5], v2, off
	s_mov_b64 s[0:1], 0
.LBB6_374:
	s_mov_b64 s[24:25], 0
.LBB6_375:
	s_and_b64 vcc, exec, s[24:25]
	s_cbranch_vccz .LBB6_378
; %bb.376:
	s_cmp_eq_u32 s29, 11
	s_mov_b64 s[0:1], -1
	s_cbranch_scc0 .LBB6_378
; %bb.377:
	v_cmp_neq_f64_e32 vcc, 0, v[0:1]
	s_mov_b64 s[0:1], 0
	s_mov_b64 s[20:21], -1
	v_cndmask_b32_e64 v2, 0, 1, vcc
	global_store_byte v[4:5], v2, off
.LBB6_378:
	s_mov_b64 s[24:25], 0
.LBB6_379:
	s_and_b64 vcc, exec, s[24:25]
	s_cbranch_vccz .LBB6_418
; %bb.380:
	s_and_b32 s24, 0xffff, s28
	s_cmp_lt_i32 s24, 5
	s_mov_b64 s[20:21], -1
	s_cbranch_scc1 .LBB6_401
; %bb.381:
	s_cmp_lt_i32 s24, 8
	s_cbranch_scc1 .LBB6_391
; %bb.382:
	s_cmp_lt_i32 s24, 9
	s_cbranch_scc1 .LBB6_388
; %bb.383:
	s_cmp_gt_i32 s24, 9
	s_cbranch_scc0 .LBB6_385
; %bb.384:
	v_mov_b32_e32 v2, 0
	v_mov_b32_e32 v3, v2
	s_mov_b64 s[20:21], 0
	global_store_dwordx4 v[4:5], v[0:3], off
.LBB6_385:
	s_andn2_b64 vcc, exec, s[20:21]
	s_cbranch_vccnz .LBB6_387
; %bb.386:
	v_cvt_f32_f64_e32 v2, v[0:1]
	v_mov_b32_e32 v3, 0
	global_store_dwordx2 v[4:5], v[2:3], off
.LBB6_387:
	s_mov_b64 s[20:21], 0
.LBB6_388:
	s_andn2_b64 vcc, exec, s[20:21]
	s_cbranch_vccnz .LBB6_390
; %bb.389:
	s_movk_i32 s20, 0x1ff
	v_and_or_b32 v2, v1, s20, v0
	v_cmp_ne_u32_e32 vcc, 0, v2
	v_cndmask_b32_e64 v2, 0, 1, vcc
	v_lshrrev_b32_e32 v3, 8, v1
	s_movk_i32 s20, 0xffe
	v_bfe_u32 v6, v1, 20, 11
	v_and_or_b32 v2, v3, s20, v2
	v_sub_u32_e32 v7, 0x3f1, v6
	v_or_b32_e32 v3, 0x1000, v2
	v_med3_i32 v7, v7, 0, 13
	v_lshrrev_b32_e32 v8, v7, v3
	v_lshlrev_b32_e32 v7, v7, v8
	v_cmp_ne_u32_e32 vcc, v7, v3
	v_cndmask_b32_e64 v3, 0, 1, vcc
	v_add_u32_e32 v6, 0xfffffc10, v6
	v_or_b32_e32 v3, v8, v3
	v_lshl_or_b32 v7, v6, 12, v2
	v_cmp_gt_i32_e32 vcc, 1, v6
	v_cndmask_b32_e32 v3, v7, v3, vcc
	v_and_b32_e32 v7, 7, v3
	v_cmp_lt_i32_e32 vcc, 5, v7
	v_cndmask_b32_e64 v8, 0, 1, vcc
	v_cmp_eq_u32_e32 vcc, 3, v7
	v_cndmask_b32_e64 v7, 0, 1, vcc
	v_or_b32_e32 v7, v7, v8
	v_lshrrev_b32_e32 v3, 2, v3
	v_add_u32_e32 v3, v3, v7
	v_mov_b32_e32 v7, 0x7c00
	v_cmp_gt_i32_e32 vcc, 31, v6
	v_cndmask_b32_e32 v3, v7, v3, vcc
	v_mov_b32_e32 v8, 0x7e00
	v_cmp_ne_u32_e32 vcc, 0, v2
	s_movk_i32 s20, 0x40f
	v_cndmask_b32_e32 v2, v7, v8, vcc
	v_cmp_eq_u32_e32 vcc, s20, v6
	v_cndmask_b32_e32 v2, v3, v2, vcc
	v_lshrrev_b32_e32 v3, 16, v1
	s_mov_b32 s20, 0x8000
	v_and_or_b32 v2, v3, s20, v2
	v_and_b32_e32 v2, 0xffff, v2
	global_store_dword v[4:5], v2, off
.LBB6_390:
	s_mov_b64 s[20:21], 0
.LBB6_391:
	s_andn2_b64 vcc, exec, s[20:21]
	s_cbranch_vccnz .LBB6_400
; %bb.392:
	s_cmp_lt_i32 s24, 6
	s_mov_b64 s[20:21], -1
	s_cbranch_scc1 .LBB6_398
; %bb.393:
	s_cmp_gt_i32 s24, 6
	s_cbranch_scc0 .LBB6_395
; %bb.394:
	s_mov_b64 s[20:21], 0
	global_store_dwordx2 v[4:5], v[0:1], off
.LBB6_395:
	s_andn2_b64 vcc, exec, s[20:21]
	s_cbranch_vccnz .LBB6_397
; %bb.396:
	v_cvt_f32_f64_e32 v2, v[0:1]
	global_store_dword v[4:5], v2, off
.LBB6_397:
	s_mov_b64 s[20:21], 0
.LBB6_398:
	s_andn2_b64 vcc, exec, s[20:21]
	s_cbranch_vccnz .LBB6_400
; %bb.399:
	s_movk_i32 s20, 0x1ff
	v_and_or_b32 v2, v1, s20, v0
	v_cmp_ne_u32_e32 vcc, 0, v2
	v_cndmask_b32_e64 v2, 0, 1, vcc
	v_lshrrev_b32_e32 v3, 8, v1
	s_movk_i32 s20, 0xffe
	v_bfe_u32 v6, v1, 20, 11
	v_and_or_b32 v2, v3, s20, v2
	v_sub_u32_e32 v7, 0x3f1, v6
	v_or_b32_e32 v3, 0x1000, v2
	v_med3_i32 v7, v7, 0, 13
	v_lshrrev_b32_e32 v8, v7, v3
	v_lshlrev_b32_e32 v7, v7, v8
	v_cmp_ne_u32_e32 vcc, v7, v3
	v_cndmask_b32_e64 v3, 0, 1, vcc
	v_add_u32_e32 v6, 0xfffffc10, v6
	v_or_b32_e32 v3, v8, v3
	v_lshl_or_b32 v7, v6, 12, v2
	v_cmp_gt_i32_e32 vcc, 1, v6
	v_cndmask_b32_e32 v3, v7, v3, vcc
	v_and_b32_e32 v7, 7, v3
	v_cmp_lt_i32_e32 vcc, 5, v7
	v_cndmask_b32_e64 v8, 0, 1, vcc
	v_cmp_eq_u32_e32 vcc, 3, v7
	v_cndmask_b32_e64 v7, 0, 1, vcc
	v_or_b32_e32 v7, v7, v8
	v_lshrrev_b32_e32 v3, 2, v3
	v_add_u32_e32 v3, v3, v7
	v_mov_b32_e32 v7, 0x7c00
	v_cmp_gt_i32_e32 vcc, 31, v6
	v_cndmask_b32_e32 v3, v7, v3, vcc
	v_mov_b32_e32 v8, 0x7e00
	v_cmp_ne_u32_e32 vcc, 0, v2
	s_movk_i32 s20, 0x40f
	v_cndmask_b32_e32 v2, v7, v8, vcc
	v_cmp_eq_u32_e32 vcc, s20, v6
	v_cndmask_b32_e32 v2, v3, v2, vcc
	v_lshrrev_b32_e32 v3, 16, v1
	s_mov_b32 s20, 0x8000
	v_and_or_b32 v2, v3, s20, v2
	global_store_short v[4:5], v2, off
.LBB6_400:
	s_mov_b64 s[20:21], 0
.LBB6_401:
	s_andn2_b64 vcc, exec, s[20:21]
	s_cbranch_vccnz .LBB6_417
; %bb.402:
	s_cmp_lt_i32 s24, 2
	s_mov_b64 s[20:21], -1
	s_cbranch_scc1 .LBB6_412
; %bb.403:
	s_cmp_lt_i32 s24, 3
	s_cbranch_scc1 .LBB6_409
; %bb.404:
	s_cmp_gt_i32 s24, 3
	s_cbranch_scc0 .LBB6_406
; %bb.405:
	v_trunc_f64_e32 v[2:3], v[0:1]
	s_movk_i32 s20, 0xffe0
	v_ldexp_f64 v[6:7], v[2:3], s20
	s_mov_b32 s20, 0
	s_mov_b32 s21, 0xc1f00000
	v_floor_f64_e32 v[6:7], v[6:7]
	v_fma_f64 v[2:3], v[6:7], s[20:21], v[2:3]
	v_cvt_i32_f64_e32 v7, v[6:7]
	s_mov_b64 s[20:21], 0
	v_cvt_u32_f64_e32 v6, v[2:3]
	global_store_dwordx2 v[4:5], v[6:7], off
.LBB6_406:
	s_andn2_b64 vcc, exec, s[20:21]
	s_cbranch_vccnz .LBB6_408
; %bb.407:
	v_cvt_i32_f64_e32 v2, v[0:1]
	global_store_dword v[4:5], v2, off
.LBB6_408:
	s_mov_b64 s[20:21], 0
.LBB6_409:
	s_andn2_b64 vcc, exec, s[20:21]
	s_cbranch_vccnz .LBB6_411
; %bb.410:
	v_cvt_i32_f64_e32 v2, v[0:1]
	global_store_short v[4:5], v2, off
.LBB6_411:
	s_mov_b64 s[20:21], 0
.LBB6_412:
	s_andn2_b64 vcc, exec, s[20:21]
	s_cbranch_vccnz .LBB6_417
; %bb.413:
	s_cmp_gt_i32 s24, 0
	s_mov_b64 s[20:21], -1
	s_cbranch_scc0 .LBB6_415
; %bb.414:
	v_cvt_i32_f64_e32 v2, v[0:1]
	s_mov_b64 s[20:21], 0
	global_store_byte v[4:5], v2, off
.LBB6_415:
	s_andn2_b64 vcc, exec, s[20:21]
	s_cbranch_vccnz .LBB6_417
; %bb.416:
	v_trunc_f64_e32 v[0:1], v[0:1]
	s_movk_i32 s20, 0xffe0
	v_ldexp_f64 v[2:3], v[0:1], s20
	s_mov_b32 s20, 0
	s_mov_b32 s21, 0xc1f00000
	v_floor_f64_e32 v[2:3], v[2:3]
	v_fma_f64 v[0:1], v[2:3], s[20:21], v[0:1]
	v_cvt_u32_f64_e32 v0, v[0:1]
	global_store_byte v[4:5], v0, off
.LBB6_417:
	s_mov_b64 s[20:21], -1
.LBB6_418:
	s_andn2_b64 vcc, exec, s[20:21]
	s_cbranch_vccnz .LBB6_420
; %bb.419:
	v_add_u32_e32 v14, 0x80, v14
	s_mov_b64 s[24:25], -1
	s_branch .LBB6_532
.LBB6_420:
	s_mov_b64 s[24:25], 0
                                        ; implicit-def: $vgpr14
	s_branch .LBB6_532
.LBB6_421:
	s_mov_b64 s[18:19], -1
                                        ; implicit-def: $vgpr2_vgpr3
.LBB6_422:
	s_mov_b64 s[20:21], 0
.LBB6_423:
	s_and_b64 vcc, exec, s[20:21]
	s_cbranch_vccz .LBB6_427
; %bb.424:
	s_cmp_eq_u32 s26, 29
	s_cbranch_scc0 .LBB6_426
; %bb.425:
	global_load_dwordx2 v[2:3], v[0:1], off
	s_mov_b64 s[0:1], -1
	s_mov_b64 s[18:19], 0
	s_mov_b64 s[20:21], 0
	s_waitcnt vmcnt(0)
	v_cvt_f64_u32_e32 v[3:4], v3
	v_cvt_f64_u32_e32 v[5:6], v2
	v_ldexp_f64 v[3:4], v[3:4], 32
	v_add_f64 v[2:3], v[3:4], v[5:6]
	s_branch .LBB6_428
.LBB6_426:
	s_mov_b64 s[18:19], -1
                                        ; implicit-def: $vgpr2_vgpr3
.LBB6_427:
	s_mov_b64 s[20:21], 0
.LBB6_428:
	s_and_b64 vcc, exec, s[20:21]
	s_cbranch_vccz .LBB6_448
; %bb.429:
	s_cmp_lt_i32 s26, 27
	s_cbranch_scc1 .LBB6_432
; %bb.430:
	s_cmp_gt_i32 s26, 27
	s_cbranch_scc0 .LBB6_433
; %bb.431:
	global_load_dword v2, v[0:1], off
	s_mov_b64 s[0:1], 0
	s_waitcnt vmcnt(0)
	v_cvt_f64_u32_e32 v[2:3], v2
	s_branch .LBB6_434
.LBB6_432:
	s_mov_b64 s[0:1], -1
                                        ; implicit-def: $vgpr2_vgpr3
	s_branch .LBB6_437
.LBB6_433:
	s_mov_b64 s[0:1], -1
                                        ; implicit-def: $vgpr2_vgpr3
.LBB6_434:
	s_andn2_b64 vcc, exec, s[0:1]
	s_cbranch_vccnz .LBB6_436
; %bb.435:
	global_load_ushort v2, v[0:1], off
	s_waitcnt vmcnt(0)
	v_cvt_f64_u32_e32 v[2:3], v2
.LBB6_436:
	s_mov_b64 s[0:1], 0
.LBB6_437:
	s_andn2_b64 vcc, exec, s[0:1]
	s_cbranch_vccnz .LBB6_447
; %bb.438:
	global_load_ubyte v4, v[0:1], off
	s_movk_i32 s0, 0x7f
	s_waitcnt vmcnt(0)
	v_cmp_lt_i16_e32 vcc, s0, v4
	s_mov_b64 s[0:1], 0
	s_and_saveexec_b64 s[20:21], vcc
	s_xor_b64 s[20:21], exec, s[20:21]
	s_cbranch_execz .LBB6_442
; %bb.439:
	s_movk_i32 s0, 0x80
	v_cmp_eq_u16_e32 vcc, s0, v4
	s_mov_b64 s[0:1], -1
	s_and_saveexec_b64 s[24:25], vcc
; %bb.440:
	s_xor_b64 s[0:1], exec, -1
; %bb.441:
	s_or_b64 exec, exec, s[24:25]
	s_and_b64 s[0:1], s[0:1], exec
.LBB6_442:
	s_or_saveexec_b64 s[20:21], s[20:21]
	v_bfrev_b32_e32 v2, 4
	v_mov_b32_e32 v3, 0x7ff80000
	s_xor_b64 exec, exec, s[20:21]
; %bb.443:
	v_cmp_ne_u16_e32 vcc, 0, v4
	v_mov_b32_e32 v2, 0
	s_andn2_b64 s[0:1], s[0:1], exec
	s_and_b64 s[24:25], vcc, exec
	v_mov_b32_e32 v3, 0
	s_or_b64 s[0:1], s[0:1], s[24:25]
; %bb.444:
	s_or_b64 exec, exec, s[20:21]
	s_and_saveexec_b64 s[20:21], s[0:1]
	s_cbranch_execz .LBB6_446
; %bb.445:
	v_and_b32_e32 v3, 0xffff, v4
	v_lshlrev_b32_e32 v2, 24, v4
	v_and_b32_e32 v4, 7, v3
	v_ffbh_u32_e32 v6, v4
	v_min_u32_e32 v6, 32, v6
	v_subrev_u32_e32 v7, 28, v6
	v_bfe_u32 v5, v3, 3, 4
	v_lshlrev_b32_e32 v3, v7, v3
	v_sub_u32_e32 v6, 29, v6
	v_and_b32_e32 v3, 7, v3
	v_cmp_eq_u32_e32 vcc, 0, v5
	v_cndmask_b32_e32 v5, v5, v6, vcc
	v_cndmask_b32_e32 v3, v4, v3, vcc
	v_mov_b32_e32 v4, 0x3b800000
	v_lshlrev_b32_e32 v3, 20, v3
	v_and_b32_e32 v2, 0x80000000, v2
	v_lshl_add_u32 v4, v5, 23, v4
	v_or3_b32 v2, v2, v4, v3
	v_cvt_f64_f32_e32 v[2:3], v2
.LBB6_446:
	s_or_b64 exec, exec, s[20:21]
.LBB6_447:
	s_mov_b64 s[0:1], -1
.LBB6_448:
	s_mov_b64 s[20:21], 0
.LBB6_449:
	s_and_b64 vcc, exec, s[20:21]
	s_cbranch_vccz .LBB6_482
; %bb.450:
	s_cmp_gt_i32 s26, 22
	s_cbranch_scc0 .LBB6_462
; %bb.451:
	s_cmp_lt_i32 s26, 24
	s_cbranch_scc1 .LBB6_463
; %bb.452:
	s_cmp_gt_i32 s26, 24
	s_cbranch_scc0 .LBB6_464
; %bb.453:
	global_load_ubyte v4, v[0:1], off
	s_movk_i32 s0, 0x7f
	s_waitcnt vmcnt(0)
	v_cmp_lt_i16_e32 vcc, s0, v4
	s_mov_b64 s[0:1], 0
	s_and_saveexec_b64 s[20:21], vcc
	s_xor_b64 s[20:21], exec, s[20:21]
	s_cbranch_execz .LBB6_457
; %bb.454:
	s_movk_i32 s0, 0x80
	v_cmp_eq_u16_e32 vcc, s0, v4
	s_mov_b64 s[0:1], -1
	s_and_saveexec_b64 s[24:25], vcc
; %bb.455:
	s_xor_b64 s[0:1], exec, -1
; %bb.456:
	s_or_b64 exec, exec, s[24:25]
	s_and_b64 s[0:1], s[0:1], exec
.LBB6_457:
	s_or_saveexec_b64 s[20:21], s[20:21]
	v_bfrev_b32_e32 v2, 4
	v_mov_b32_e32 v3, 0x7ff80000
	s_xor_b64 exec, exec, s[20:21]
; %bb.458:
	v_cmp_ne_u16_e32 vcc, 0, v4
	v_mov_b32_e32 v2, 0
	s_andn2_b64 s[0:1], s[0:1], exec
	s_and_b64 s[24:25], vcc, exec
	v_mov_b32_e32 v3, 0
	s_or_b64 s[0:1], s[0:1], s[24:25]
; %bb.459:
	s_or_b64 exec, exec, s[20:21]
	s_and_saveexec_b64 s[20:21], s[0:1]
	s_cbranch_execz .LBB6_461
; %bb.460:
	v_and_b32_e32 v3, 0xffff, v4
	v_lshlrev_b32_e32 v2, 24, v4
	v_and_b32_e32 v4, 3, v3
	v_ffbh_u32_e32 v6, v4
	v_min_u32_e32 v6, 32, v6
	v_subrev_u32_e32 v7, 29, v6
	v_bfe_u32 v5, v3, 2, 5
	v_lshlrev_b32_e32 v3, v7, v3
	v_sub_u32_e32 v6, 30, v6
	v_and_b32_e32 v3, 3, v3
	v_cmp_eq_u32_e32 vcc, 0, v5
	v_cndmask_b32_e32 v5, v5, v6, vcc
	v_cndmask_b32_e32 v3, v4, v3, vcc
	v_mov_b32_e32 v4, 0x37800000
	v_lshlrev_b32_e32 v3, 21, v3
	v_and_b32_e32 v2, 0x80000000, v2
	v_lshl_add_u32 v4, v5, 23, v4
	v_or3_b32 v2, v2, v4, v3
	v_cvt_f64_f32_e32 v[2:3], v2
.LBB6_461:
	s_or_b64 exec, exec, s[20:21]
	s_mov_b64 s[0:1], 0
	s_branch .LBB6_465
.LBB6_462:
	s_mov_b64 s[20:21], -1
                                        ; implicit-def: $vgpr2_vgpr3
	s_branch .LBB6_471
.LBB6_463:
	s_mov_b64 s[0:1], -1
                                        ; implicit-def: $vgpr2_vgpr3
	s_branch .LBB6_468
.LBB6_464:
	s_mov_b64 s[0:1], -1
                                        ; implicit-def: $vgpr2_vgpr3
.LBB6_465:
	s_and_b64 vcc, exec, s[0:1]
	s_cbranch_vccz .LBB6_467
; %bb.466:
	global_load_ubyte v2, v[0:1], off
	s_mov_b32 s0, 0x7f800000
	s_waitcnt vmcnt(0)
	v_lshlrev_b32_e32 v2, 24, v2
	v_and_b32_e32 v3, 0x7f000000, v2
	v_ffbh_u32_e32 v4, v3
	v_min_u32_e32 v4, 32, v4
	v_sub_u32_e64 v4, v4, 4 clamp
	v_lshlrev_b32_e32 v6, v4, v3
	v_lshlrev_b32_e32 v4, 23, v4
	v_lshrrev_b32_e32 v6, 4, v6
	v_add_u32_e32 v5, 0x1000000, v3
	v_sub_u32_e32 v4, v6, v4
	v_ashrrev_i32_e32 v5, 8, v5
	v_add_u32_e32 v4, 0x3c000000, v4
	v_and_or_b32 v4, v5, s0, v4
	v_cmp_ne_u32_e32 vcc, 0, v3
	v_cndmask_b32_e32 v3, 0, v4, vcc
	s_brev_b32 s0, 1
	v_and_or_b32 v2, v2, s0, v3
	v_cvt_f64_f32_e32 v[2:3], v2
.LBB6_467:
	s_mov_b64 s[0:1], 0
.LBB6_468:
	s_andn2_b64 vcc, exec, s[0:1]
	s_cbranch_vccnz .LBB6_470
; %bb.469:
	global_load_ubyte v2, v[0:1], off
	s_movk_i32 s0, 0x7f00
	s_brev_b32 s1, 16
	s_waitcnt vmcnt(0)
	v_lshlrev_b16_e32 v3, 8, v2
	v_lshlrev_b32_e32 v2, 25, v2
	v_lshrrev_b32_e32 v4, 4, v2
	v_and_or_b32 v5, v3, s0, 0.5
	v_or_b32_e32 v4, 0x70000000, v4
	v_add_f32_e32 v5, -0.5, v5
	v_mul_f32_e32 v4, 0x7800000, v4
	v_cmp_gt_u32_e32 vcc, s1, v2
	v_bfe_i32 v3, v3, 0, 16
	v_cndmask_b32_e32 v2, v4, v5, vcc
	s_brev_b32 s0, 1
	v_and_or_b32 v2, v3, s0, v2
	v_cvt_f64_f32_e32 v[2:3], v2
.LBB6_470:
	s_mov_b64 s[20:21], 0
	s_mov_b64 s[0:1], -1
.LBB6_471:
	s_andn2_b64 vcc, exec, s[20:21]
	s_cbranch_vccnz .LBB6_482
; %bb.472:
	s_cmp_gt_i32 s26, 14
	s_cbranch_scc0 .LBB6_475
; %bb.473:
	s_cmp_eq_u32 s26, 15
	s_cbranch_scc0 .LBB6_476
; %bb.474:
	global_load_ushort v2, v[0:1], off
	s_mov_b64 s[0:1], -1
	s_mov_b64 s[18:19], 0
	s_waitcnt vmcnt(0)
	v_lshlrev_b32_e32 v2, 16, v2
	v_cvt_f64_f32_e32 v[2:3], v2
	s_branch .LBB6_477
.LBB6_475:
	s_mov_b64 s[20:21], -1
                                        ; implicit-def: $vgpr2_vgpr3
	s_branch .LBB6_478
.LBB6_476:
	s_mov_b64 s[18:19], -1
                                        ; implicit-def: $vgpr2_vgpr3
.LBB6_477:
	s_mov_b64 s[20:21], 0
.LBB6_478:
	s_and_b64 vcc, exec, s[20:21]
	s_cbranch_vccz .LBB6_482
; %bb.479:
	s_cmp_eq_u32 s26, 11
	s_cbranch_scc0 .LBB6_481
; %bb.480:
	global_load_ubyte v3, v[0:1], off
	v_mov_b32_e32 v4, 0x3ff00000
	v_mov_b32_e32 v2, 0
	s_mov_b64 s[0:1], -1
	s_mov_b64 s[18:19], 0
	s_waitcnt vmcnt(0)
	v_cmp_ne_u16_e32 vcc, 0, v3
	v_cndmask_b32_e32 v3, 0, v4, vcc
	s_branch .LBB6_482
.LBB6_481:
	s_mov_b64 s[18:19], -1
                                        ; implicit-def: $vgpr2_vgpr3
.LBB6_482:
	s_branch .LBB6_275
.LBB6_483:
	s_cmp_lt_i32 s26, 5
	s_cbranch_scc1 .LBB6_488
; %bb.484:
	s_cmp_lt_i32 s26, 8
	s_cbranch_scc1 .LBB6_489
; %bb.485:
	s_cmp_lt_i32 s26, 9
	s_cbranch_scc1 .LBB6_490
; %bb.486:
	s_cmp_gt_i32 s26, 9
	s_cbranch_scc0 .LBB6_491
; %bb.487:
	global_load_dwordx2 v[2:3], v[0:1], off
	s_mov_b64 s[0:1], 0
	s_branch .LBB6_492
.LBB6_488:
	s_mov_b64 s[0:1], -1
                                        ; implicit-def: $vgpr2_vgpr3
	s_branch .LBB6_510
.LBB6_489:
	s_mov_b64 s[0:1], -1
                                        ; implicit-def: $vgpr2_vgpr3
	s_branch .LBB6_498
.LBB6_490:
	s_mov_b64 s[0:1], -1
                                        ; implicit-def: $vgpr2_vgpr3
	s_branch .LBB6_495
.LBB6_491:
	s_mov_b64 s[0:1], -1
                                        ; implicit-def: $vgpr2_vgpr3
.LBB6_492:
	s_andn2_b64 vcc, exec, s[0:1]
	s_cbranch_vccnz .LBB6_494
; %bb.493:
	global_load_dword v2, v[0:1], off
	s_waitcnt vmcnt(0)
	v_cvt_f64_f32_e32 v[2:3], v2
.LBB6_494:
	s_mov_b64 s[0:1], 0
.LBB6_495:
	s_andn2_b64 vcc, exec, s[0:1]
	s_cbranch_vccnz .LBB6_497
; %bb.496:
	global_load_dword v2, v[0:1], off
	s_waitcnt vmcnt(0)
	v_cvt_f32_f16_e32 v2, v2
	v_cvt_f64_f32_e32 v[2:3], v2
.LBB6_497:
	s_mov_b64 s[0:1], 0
.LBB6_498:
	s_andn2_b64 vcc, exec, s[0:1]
	s_cbranch_vccnz .LBB6_509
; %bb.499:
	s_cmp_lt_i32 s26, 6
	s_cbranch_scc1 .LBB6_502
; %bb.500:
	s_cmp_gt_i32 s26, 6
	s_cbranch_scc0 .LBB6_503
; %bb.501:
	global_load_dwordx2 v[2:3], v[0:1], off
	s_mov_b64 s[0:1], 0
	s_branch .LBB6_504
.LBB6_502:
	s_mov_b64 s[0:1], -1
                                        ; implicit-def: $vgpr2_vgpr3
	s_branch .LBB6_507
.LBB6_503:
	s_mov_b64 s[0:1], -1
                                        ; implicit-def: $vgpr2_vgpr3
.LBB6_504:
	s_andn2_b64 vcc, exec, s[0:1]
	s_cbranch_vccnz .LBB6_506
; %bb.505:
	global_load_dword v2, v[0:1], off
	s_waitcnt vmcnt(0)
	v_cvt_f64_f32_e32 v[2:3], v2
.LBB6_506:
	s_mov_b64 s[0:1], 0
.LBB6_507:
	s_andn2_b64 vcc, exec, s[0:1]
	s_cbranch_vccnz .LBB6_509
; %bb.508:
	global_load_ushort v2, v[0:1], off
	s_waitcnt vmcnt(0)
	v_cvt_f32_f16_e32 v2, v2
	v_cvt_f64_f32_e32 v[2:3], v2
.LBB6_509:
	s_mov_b64 s[0:1], 0
.LBB6_510:
	s_andn2_b64 vcc, exec, s[0:1]
	s_cbranch_vccnz .LBB6_530
; %bb.511:
	s_cmp_lt_i32 s26, 2
	s_cbranch_scc1 .LBB6_515
; %bb.512:
	s_cmp_lt_i32 s26, 3
	s_cbranch_scc1 .LBB6_516
; %bb.513:
	s_cmp_gt_i32 s26, 3
	s_cbranch_scc0 .LBB6_517
; %bb.514:
	global_load_dwordx2 v[2:3], v[0:1], off
	s_mov_b64 s[0:1], 0
	s_waitcnt vmcnt(0)
	v_cvt_f64_i32_e32 v[3:4], v3
	v_cvt_f64_u32_e32 v[5:6], v2
	v_ldexp_f64 v[3:4], v[3:4], 32
	v_add_f64 v[2:3], v[3:4], v[5:6]
	s_branch .LBB6_518
.LBB6_515:
	s_mov_b64 s[0:1], -1
                                        ; implicit-def: $vgpr2_vgpr3
	s_branch .LBB6_524
.LBB6_516:
	s_mov_b64 s[0:1], -1
                                        ; implicit-def: $vgpr2_vgpr3
	s_branch .LBB6_521
.LBB6_517:
	s_mov_b64 s[0:1], -1
                                        ; implicit-def: $vgpr2_vgpr3
.LBB6_518:
	s_andn2_b64 vcc, exec, s[0:1]
	s_cbranch_vccnz .LBB6_520
; %bb.519:
	global_load_dword v2, v[0:1], off
	s_waitcnt vmcnt(0)
	v_cvt_f64_i32_e32 v[2:3], v2
.LBB6_520:
	s_mov_b64 s[0:1], 0
.LBB6_521:
	s_andn2_b64 vcc, exec, s[0:1]
	s_cbranch_vccnz .LBB6_523
; %bb.522:
	global_load_sshort v2, v[0:1], off
	s_waitcnt vmcnt(0)
	v_cvt_f64_i32_e32 v[2:3], v2
.LBB6_523:
	s_mov_b64 s[0:1], 0
.LBB6_524:
	s_andn2_b64 vcc, exec, s[0:1]
	s_cbranch_vccnz .LBB6_530
; %bb.525:
	s_cmp_gt_i32 s26, 0
	s_cbranch_scc0 .LBB6_527
; %bb.526:
	global_load_sbyte v2, v[0:1], off
	s_mov_b64 s[0:1], 0
	s_waitcnt vmcnt(0)
	v_cvt_f64_i32_e32 v[2:3], v2
	s_branch .LBB6_528
.LBB6_527:
	s_mov_b64 s[0:1], -1
                                        ; implicit-def: $vgpr2_vgpr3
.LBB6_528:
	s_andn2_b64 vcc, exec, s[0:1]
	s_cbranch_vccnz .LBB6_530
; %bb.529:
	global_load_ubyte v0, v[0:1], off
	s_waitcnt vmcnt(0)
	v_cvt_f64_u32_e32 v[2:3], v0
.LBB6_530:
	s_branch .LBB6_276
.LBB6_531:
	s_mov_b64 s[24:25], 0
                                        ; implicit-def: $vgpr14
	s_mov_b64 s[0:1], s[6:7]
.LBB6_532:
	s_andn2_b64 s[20:21], s[6:7], exec
	s_and_b64 s[0:1], s[0:1], exec
	s_or_b64 s[20:21], s[20:21], s[0:1]
	s_andn2_b64 s[0:1], s[14:15], exec
	s_and_b64 s[18:19], s[18:19], exec
	s_or_b64 s[18:19], s[0:1], s[18:19]
	s_orn2_b64 s[0:1], s[24:25], exec
.LBB6_533:
	s_or_b64 exec, exec, s[22:23]
	s_mov_b64 s[24:25], 0
	s_mov_b64 s[26:27], 0
	;; [unrolled: 1-line block ×3, first 2 shown]
                                        ; implicit-def: $vgpr0_vgpr1
                                        ; implicit-def: $vgpr2_vgpr3
	s_and_saveexec_b64 s[22:23], s[0:1]
	s_cbranch_execz .LBB6_888
; %bb.534:
	v_cmp_gt_i32_e32 vcc, s38, v14
	s_mov_b64 s[34:35], -1
	s_mov_b64 s[0:1], s[18:19]
	s_mov_b64 s[28:29], s[20:21]
	s_and_saveexec_b64 s[24:25], vcc
	s_cbranch_execz .LBB6_802
; %bb.535:
	v_mul_lo_u32 v0, v14, s3
	v_mov_b32_e32 v1, s11
	s_and_b32 s34, 0xffff, s42
	s_cmp_lt_i32 s34, 11
	s_waitcnt vmcnt(0)
	v_ashrrev_i32_e32 v2, 31, v0
	v_add_co_u32_e32 v0, vcc, s10, v0
	v_addc_co_u32_e32 v1, vcc, v1, v2, vcc
	s_cbranch_scc1 .LBB6_542
; %bb.536:
	s_cmp_gt_i32 s34, 25
	s_cbranch_scc0 .LBB6_543
; %bb.537:
	s_cmp_gt_i32 s34, 28
	s_cbranch_scc0 .LBB6_544
	;; [unrolled: 3-line block ×4, first 2 shown]
; %bb.540:
	s_cmp_eq_u32 s34, 46
	s_mov_b64 s[28:29], 0
	s_cbranch_scc0 .LBB6_551
; %bb.541:
	global_load_dword v2, v[0:1], off
	s_mov_b64 s[0:1], -1
	s_waitcnt vmcnt(0)
	v_lshlrev_b32_e32 v2, 16, v2
	v_cvt_f64_f32_e32 v[2:3], v2
	s_branch .LBB6_552
.LBB6_542:
	s_mov_b64 s[28:29], -1
	s_mov_b64 s[0:1], 0
                                        ; implicit-def: $vgpr2_vgpr3
	s_mov_b64 s[26:27], s[18:19]
	s_branch .LBB6_617
.LBB6_543:
	s_mov_b64 s[28:29], -1
	s_mov_b64 s[0:1], 0
	s_mov_b64 s[26:27], s[18:19]
                                        ; implicit-def: $vgpr2_vgpr3
	s_branch .LBB6_583
.LBB6_544:
	s_mov_b64 s[28:29], -1
	s_mov_b64 s[0:1], 0
	s_mov_b64 s[26:27], s[18:19]
                                        ; implicit-def: $vgpr2_vgpr3
	s_branch .LBB6_562
.LBB6_545:
	s_mov_b64 s[28:29], -1
	s_mov_b64 s[0:1], 0
	s_mov_b64 s[26:27], s[18:19]
                                        ; implicit-def: $vgpr2_vgpr3
	s_branch .LBB6_557
.LBB6_546:
	s_andn2_saveexec_b64 s[26:27], s[26:27]
	s_cbranch_execz .LBB6_331
.LBB6_547:
	s_mov_b32 s30, 0x46000000
	v_add_f32_e64 v3, |v2|, s30
	v_and_b32_e32 v3, 0xff, v3
	v_cmp_ne_u32_e32 vcc, 0, v3
	s_andn2_b64 s[24:25], s[24:25], exec
	s_and_b64 s[30:31], vcc, exec
	s_or_b64 s[24:25], s[24:25], s[30:31]
	s_or_b64 exec, exec, s[26:27]
	v_mov_b32_e32 v6, 0
	s_and_saveexec_b64 s[26:27], s[24:25]
	s_cbranch_execnz .LBB6_332
	s_branch .LBB6_333
.LBB6_548:
	s_mov_b64 s[28:29], -1
	s_mov_b64 s[0:1], 0
	s_mov_b64 s[26:27], s[18:19]
                                        ; implicit-def: $vgpr2_vgpr3
	s_branch .LBB6_552
.LBB6_549:
	s_andn2_saveexec_b64 s[26:27], s[26:27]
	s_cbranch_execz .LBB6_344
.LBB6_550:
	s_mov_b32 s30, 0x42800000
	v_add_f32_e64 v3, |v2|, s30
	v_and_b32_e32 v3, 0xff, v3
	v_cmp_ne_u32_e32 vcc, 0, v3
	s_andn2_b64 s[24:25], s[24:25], exec
	s_and_b64 s[30:31], vcc, exec
	s_or_b64 s[24:25], s[24:25], s[30:31]
	s_or_b64 exec, exec, s[26:27]
	v_mov_b32_e32 v6, 0
	s_and_saveexec_b64 s[26:27], s[24:25]
	s_cbranch_execnz .LBB6_345
	s_branch .LBB6_346
.LBB6_551:
	s_mov_b64 s[26:27], -1
                                        ; implicit-def: $vgpr2_vgpr3
	s_mov_b64 s[0:1], 0
.LBB6_552:
	s_and_b64 vcc, exec, s[28:29]
	s_cbranch_vccz .LBB6_556
; %bb.553:
	s_cmp_eq_u32 s34, 44
	s_cbranch_scc0 .LBB6_555
; %bb.554:
	global_load_ubyte v4, v[0:1], off
	s_movk_i32 s26, 0xff
	v_bfrev_b32_e32 v5, 4
	v_mov_b32_e32 v6, 0x7ff80000
	v_bfrev_b32_e32 v7, 28
	s_mov_b64 s[0:1], -1
	s_waitcnt vmcnt(0)
	v_lshlrev_b32_e32 v2, 23, v4
	v_cvt_f64_f32_e32 v[2:3], v2
	v_cmp_ne_u32_e32 vcc, s26, v4
	s_mov_b64 s[26:27], 0
	v_cndmask_b32_e32 v2, v5, v2, vcc
	v_cndmask_b32_e32 v3, v6, v3, vcc
	v_cmp_ne_u32_e32 vcc, 0, v4
	v_cndmask_b32_e32 v3, v7, v3, vcc
	v_cndmask_b32_e32 v2, 0, v2, vcc
	s_branch .LBB6_556
.LBB6_555:
	s_mov_b64 s[26:27], -1
                                        ; implicit-def: $vgpr2_vgpr3
.LBB6_556:
	s_mov_b64 s[28:29], 0
.LBB6_557:
	s_and_b64 vcc, exec, s[28:29]
	s_cbranch_vccz .LBB6_561
; %bb.558:
	s_cmp_eq_u32 s34, 29
	s_cbranch_scc0 .LBB6_560
; %bb.559:
	global_load_dwordx2 v[2:3], v[0:1], off
	s_mov_b64 s[0:1], -1
	s_mov_b64 s[26:27], 0
	s_mov_b64 s[28:29], 0
	s_waitcnt vmcnt(0)
	v_cvt_f64_u32_e32 v[3:4], v3
	v_cvt_f64_u32_e32 v[5:6], v2
	v_ldexp_f64 v[3:4], v[3:4], 32
	v_add_f64 v[2:3], v[3:4], v[5:6]
	s_branch .LBB6_562
.LBB6_560:
	s_mov_b64 s[26:27], -1
                                        ; implicit-def: $vgpr2_vgpr3
.LBB6_561:
	s_mov_b64 s[28:29], 0
.LBB6_562:
	s_and_b64 vcc, exec, s[28:29]
	s_cbranch_vccz .LBB6_582
; %bb.563:
	s_cmp_lt_i32 s34, 27
	s_cbranch_scc1 .LBB6_566
; %bb.564:
	s_cmp_gt_i32 s34, 27
	s_cbranch_scc0 .LBB6_567
; %bb.565:
	global_load_dword v2, v[0:1], off
	s_mov_b64 s[0:1], 0
	s_waitcnt vmcnt(0)
	v_cvt_f64_u32_e32 v[2:3], v2
	s_branch .LBB6_568
.LBB6_566:
	s_mov_b64 s[0:1], -1
                                        ; implicit-def: $vgpr2_vgpr3
	s_branch .LBB6_571
.LBB6_567:
	s_mov_b64 s[0:1], -1
                                        ; implicit-def: $vgpr2_vgpr3
.LBB6_568:
	s_andn2_b64 vcc, exec, s[0:1]
	s_cbranch_vccnz .LBB6_570
; %bb.569:
	global_load_ushort v2, v[0:1], off
	s_waitcnt vmcnt(0)
	v_cvt_f64_u32_e32 v[2:3], v2
.LBB6_570:
	s_mov_b64 s[0:1], 0
.LBB6_571:
	s_andn2_b64 vcc, exec, s[0:1]
	s_cbranch_vccnz .LBB6_581
; %bb.572:
	global_load_ubyte v4, v[0:1], off
	s_movk_i32 s0, 0x7f
	s_waitcnt vmcnt(0)
	v_cmp_lt_i16_e32 vcc, s0, v4
	s_mov_b64 s[0:1], 0
	s_and_saveexec_b64 s[28:29], vcc
	s_xor_b64 s[28:29], exec, s[28:29]
	s_cbranch_execz .LBB6_576
; %bb.573:
	s_movk_i32 s0, 0x80
	v_cmp_eq_u16_e32 vcc, s0, v4
	s_mov_b64 s[0:1], -1
	s_and_saveexec_b64 s[30:31], vcc
; %bb.574:
	s_xor_b64 s[0:1], exec, -1
; %bb.575:
	s_or_b64 exec, exec, s[30:31]
	s_and_b64 s[0:1], s[0:1], exec
.LBB6_576:
	s_or_saveexec_b64 s[28:29], s[28:29]
	v_bfrev_b32_e32 v2, 4
	v_mov_b32_e32 v3, 0x7ff80000
	s_xor_b64 exec, exec, s[28:29]
; %bb.577:
	v_cmp_ne_u16_e32 vcc, 0, v4
	v_mov_b32_e32 v2, 0
	s_andn2_b64 s[0:1], s[0:1], exec
	s_and_b64 s[30:31], vcc, exec
	v_mov_b32_e32 v3, 0
	s_or_b64 s[0:1], s[0:1], s[30:31]
; %bb.578:
	s_or_b64 exec, exec, s[28:29]
	s_and_saveexec_b64 s[28:29], s[0:1]
	s_cbranch_execz .LBB6_580
; %bb.579:
	v_and_b32_e32 v3, 0xffff, v4
	v_lshlrev_b32_e32 v2, 24, v4
	v_and_b32_e32 v4, 7, v3
	v_ffbh_u32_e32 v6, v4
	v_min_u32_e32 v6, 32, v6
	v_subrev_u32_e32 v7, 28, v6
	v_bfe_u32 v5, v3, 3, 4
	v_lshlrev_b32_e32 v3, v7, v3
	v_sub_u32_e32 v6, 29, v6
	v_and_b32_e32 v3, 7, v3
	v_cmp_eq_u32_e32 vcc, 0, v5
	v_cndmask_b32_e32 v5, v5, v6, vcc
	v_cndmask_b32_e32 v3, v4, v3, vcc
	v_mov_b32_e32 v4, 0x3b800000
	v_lshlrev_b32_e32 v3, 20, v3
	v_and_b32_e32 v2, 0x80000000, v2
	v_lshl_add_u32 v4, v5, 23, v4
	v_or3_b32 v2, v2, v4, v3
	v_cvt_f64_f32_e32 v[2:3], v2
.LBB6_580:
	s_or_b64 exec, exec, s[28:29]
.LBB6_581:
	s_mov_b64 s[0:1], -1
.LBB6_582:
	s_mov_b64 s[28:29], 0
.LBB6_583:
	s_and_b64 vcc, exec, s[28:29]
	s_cbranch_vccz .LBB6_616
; %bb.584:
	s_cmp_gt_i32 s34, 22
	s_cbranch_scc0 .LBB6_596
; %bb.585:
	s_cmp_lt_i32 s34, 24
	s_cbranch_scc1 .LBB6_597
; %bb.586:
	s_cmp_gt_i32 s34, 24
	s_cbranch_scc0 .LBB6_598
; %bb.587:
	global_load_ubyte v4, v[0:1], off
	s_movk_i32 s0, 0x7f
	s_waitcnt vmcnt(0)
	v_cmp_lt_i16_e32 vcc, s0, v4
	s_mov_b64 s[0:1], 0
	s_and_saveexec_b64 s[28:29], vcc
	s_xor_b64 s[28:29], exec, s[28:29]
	s_cbranch_execz .LBB6_591
; %bb.588:
	s_movk_i32 s0, 0x80
	v_cmp_eq_u16_e32 vcc, s0, v4
	s_mov_b64 s[0:1], -1
	s_and_saveexec_b64 s[30:31], vcc
; %bb.589:
	s_xor_b64 s[0:1], exec, -1
; %bb.590:
	s_or_b64 exec, exec, s[30:31]
	s_and_b64 s[0:1], s[0:1], exec
.LBB6_591:
	s_or_saveexec_b64 s[28:29], s[28:29]
	v_bfrev_b32_e32 v2, 4
	v_mov_b32_e32 v3, 0x7ff80000
	s_xor_b64 exec, exec, s[28:29]
; %bb.592:
	v_cmp_ne_u16_e32 vcc, 0, v4
	v_mov_b32_e32 v2, 0
	s_andn2_b64 s[0:1], s[0:1], exec
	s_and_b64 s[30:31], vcc, exec
	v_mov_b32_e32 v3, 0
	s_or_b64 s[0:1], s[0:1], s[30:31]
; %bb.593:
	s_or_b64 exec, exec, s[28:29]
	s_and_saveexec_b64 s[28:29], s[0:1]
	s_cbranch_execz .LBB6_595
; %bb.594:
	v_and_b32_e32 v3, 0xffff, v4
	v_lshlrev_b32_e32 v2, 24, v4
	v_and_b32_e32 v4, 3, v3
	v_ffbh_u32_e32 v6, v4
	v_min_u32_e32 v6, 32, v6
	v_subrev_u32_e32 v7, 29, v6
	v_bfe_u32 v5, v3, 2, 5
	v_lshlrev_b32_e32 v3, v7, v3
	v_sub_u32_e32 v6, 30, v6
	v_and_b32_e32 v3, 3, v3
	v_cmp_eq_u32_e32 vcc, 0, v5
	v_cndmask_b32_e32 v5, v5, v6, vcc
	v_cndmask_b32_e32 v3, v4, v3, vcc
	v_mov_b32_e32 v4, 0x37800000
	v_lshlrev_b32_e32 v3, 21, v3
	v_and_b32_e32 v2, 0x80000000, v2
	v_lshl_add_u32 v4, v5, 23, v4
	v_or3_b32 v2, v2, v4, v3
	v_cvt_f64_f32_e32 v[2:3], v2
.LBB6_595:
	s_or_b64 exec, exec, s[28:29]
	s_mov_b64 s[0:1], 0
	s_branch .LBB6_599
.LBB6_596:
	s_mov_b64 s[28:29], -1
                                        ; implicit-def: $vgpr2_vgpr3
	s_branch .LBB6_605
.LBB6_597:
	s_mov_b64 s[0:1], -1
                                        ; implicit-def: $vgpr2_vgpr3
	s_branch .LBB6_602
.LBB6_598:
	s_mov_b64 s[0:1], -1
                                        ; implicit-def: $vgpr2_vgpr3
.LBB6_599:
	s_and_b64 vcc, exec, s[0:1]
	s_cbranch_vccz .LBB6_601
; %bb.600:
	global_load_ubyte v2, v[0:1], off
	s_mov_b32 s0, 0x7f800000
	s_waitcnt vmcnt(0)
	v_lshlrev_b32_e32 v2, 24, v2
	v_and_b32_e32 v3, 0x7f000000, v2
	v_ffbh_u32_e32 v4, v3
	v_min_u32_e32 v4, 32, v4
	v_sub_u32_e64 v4, v4, 4 clamp
	v_lshlrev_b32_e32 v6, v4, v3
	v_lshlrev_b32_e32 v4, 23, v4
	v_lshrrev_b32_e32 v6, 4, v6
	v_add_u32_e32 v5, 0x1000000, v3
	v_sub_u32_e32 v4, v6, v4
	v_ashrrev_i32_e32 v5, 8, v5
	v_add_u32_e32 v4, 0x3c000000, v4
	v_and_or_b32 v4, v5, s0, v4
	v_cmp_ne_u32_e32 vcc, 0, v3
	v_cndmask_b32_e32 v3, 0, v4, vcc
	s_brev_b32 s0, 1
	v_and_or_b32 v2, v2, s0, v3
	v_cvt_f64_f32_e32 v[2:3], v2
.LBB6_601:
	s_mov_b64 s[0:1], 0
.LBB6_602:
	s_andn2_b64 vcc, exec, s[0:1]
	s_cbranch_vccnz .LBB6_604
; %bb.603:
	global_load_ubyte v2, v[0:1], off
	s_movk_i32 s0, 0x7f00
	s_brev_b32 s1, 16
	s_waitcnt vmcnt(0)
	v_lshlrev_b16_e32 v3, 8, v2
	v_lshlrev_b32_e32 v2, 25, v2
	v_lshrrev_b32_e32 v4, 4, v2
	v_and_or_b32 v5, v3, s0, 0.5
	v_or_b32_e32 v4, 0x70000000, v4
	v_add_f32_e32 v5, -0.5, v5
	v_mul_f32_e32 v4, 0x7800000, v4
	v_cmp_gt_u32_e32 vcc, s1, v2
	v_bfe_i32 v3, v3, 0, 16
	v_cndmask_b32_e32 v2, v4, v5, vcc
	s_brev_b32 s0, 1
	v_and_or_b32 v2, v3, s0, v2
	v_cvt_f64_f32_e32 v[2:3], v2
.LBB6_604:
	s_mov_b64 s[28:29], 0
	s_mov_b64 s[0:1], -1
.LBB6_605:
	s_andn2_b64 vcc, exec, s[28:29]
	s_cbranch_vccnz .LBB6_616
; %bb.606:
	s_cmp_gt_i32 s34, 14
	s_cbranch_scc0 .LBB6_609
; %bb.607:
	s_cmp_eq_u32 s34, 15
	s_cbranch_scc0 .LBB6_610
; %bb.608:
	global_load_ushort v2, v[0:1], off
	s_mov_b64 s[0:1], -1
	s_mov_b64 s[26:27], 0
	s_waitcnt vmcnt(0)
	v_lshlrev_b32_e32 v2, 16, v2
	v_cvt_f64_f32_e32 v[2:3], v2
	s_branch .LBB6_611
.LBB6_609:
	s_mov_b64 s[28:29], -1
                                        ; implicit-def: $vgpr2_vgpr3
	s_branch .LBB6_612
.LBB6_610:
	s_mov_b64 s[26:27], -1
                                        ; implicit-def: $vgpr2_vgpr3
.LBB6_611:
	s_mov_b64 s[28:29], 0
.LBB6_612:
	s_and_b64 vcc, exec, s[28:29]
	s_cbranch_vccz .LBB6_616
; %bb.613:
	s_cmp_eq_u32 s34, 11
	s_cbranch_scc0 .LBB6_615
; %bb.614:
	global_load_ubyte v3, v[0:1], off
	v_mov_b32_e32 v4, 0x3ff00000
	v_mov_b32_e32 v2, 0
	s_mov_b64 s[0:1], -1
	s_mov_b64 s[26:27], 0
	s_waitcnt vmcnt(0)
	v_cmp_ne_u16_e32 vcc, 0, v3
	v_cndmask_b32_e32 v3, 0, v4, vcc
	s_branch .LBB6_616
.LBB6_615:
	s_mov_b64 s[26:27], -1
                                        ; implicit-def: $vgpr2_vgpr3
.LBB6_616:
	s_mov_b64 s[28:29], 0
.LBB6_617:
	s_and_b64 vcc, exec, s[28:29]
	s_cbranch_vccz .LBB6_666
; %bb.618:
	s_cmp_lt_i32 s34, 5
	s_cbranch_scc1 .LBB6_623
; %bb.619:
	s_cmp_lt_i32 s34, 8
	s_cbranch_scc1 .LBB6_624
	;; [unrolled: 3-line block ×3, first 2 shown]
; %bb.621:
	s_cmp_gt_i32 s34, 9
	s_cbranch_scc0 .LBB6_626
; %bb.622:
	global_load_dwordx2 v[2:3], v[0:1], off
	s_mov_b64 s[0:1], 0
	s_branch .LBB6_627
.LBB6_623:
	s_mov_b64 s[0:1], -1
                                        ; implicit-def: $vgpr2_vgpr3
	s_branch .LBB6_645
.LBB6_624:
	s_mov_b64 s[0:1], -1
                                        ; implicit-def: $vgpr2_vgpr3
	s_branch .LBB6_633
.LBB6_625:
	s_mov_b64 s[0:1], -1
                                        ; implicit-def: $vgpr2_vgpr3
	s_branch .LBB6_630
.LBB6_626:
	s_mov_b64 s[0:1], -1
                                        ; implicit-def: $vgpr2_vgpr3
.LBB6_627:
	s_andn2_b64 vcc, exec, s[0:1]
	s_cbranch_vccnz .LBB6_629
; %bb.628:
	global_load_dword v2, v[0:1], off
	s_waitcnt vmcnt(0)
	v_cvt_f64_f32_e32 v[2:3], v2
.LBB6_629:
	s_mov_b64 s[0:1], 0
.LBB6_630:
	s_andn2_b64 vcc, exec, s[0:1]
	s_cbranch_vccnz .LBB6_632
; %bb.631:
	global_load_dword v2, v[0:1], off
	s_waitcnt vmcnt(0)
	v_cvt_f32_f16_e32 v2, v2
	v_cvt_f64_f32_e32 v[2:3], v2
.LBB6_632:
	s_mov_b64 s[0:1], 0
.LBB6_633:
	s_andn2_b64 vcc, exec, s[0:1]
	s_cbranch_vccnz .LBB6_644
; %bb.634:
	s_cmp_lt_i32 s34, 6
	s_cbranch_scc1 .LBB6_637
; %bb.635:
	s_cmp_gt_i32 s34, 6
	s_cbranch_scc0 .LBB6_638
; %bb.636:
	global_load_dwordx2 v[2:3], v[0:1], off
	s_mov_b64 s[0:1], 0
	s_branch .LBB6_639
.LBB6_637:
	s_mov_b64 s[0:1], -1
                                        ; implicit-def: $vgpr2_vgpr3
	s_branch .LBB6_642
.LBB6_638:
	s_mov_b64 s[0:1], -1
                                        ; implicit-def: $vgpr2_vgpr3
.LBB6_639:
	s_andn2_b64 vcc, exec, s[0:1]
	s_cbranch_vccnz .LBB6_641
; %bb.640:
	global_load_dword v2, v[0:1], off
	s_waitcnt vmcnt(0)
	v_cvt_f64_f32_e32 v[2:3], v2
.LBB6_641:
	s_mov_b64 s[0:1], 0
.LBB6_642:
	s_andn2_b64 vcc, exec, s[0:1]
	s_cbranch_vccnz .LBB6_644
; %bb.643:
	global_load_ushort v2, v[0:1], off
	s_waitcnt vmcnt(0)
	v_cvt_f32_f16_e32 v2, v2
	v_cvt_f64_f32_e32 v[2:3], v2
.LBB6_644:
	s_mov_b64 s[0:1], 0
.LBB6_645:
	s_andn2_b64 vcc, exec, s[0:1]
	s_cbranch_vccnz .LBB6_665
; %bb.646:
	s_cmp_lt_i32 s34, 2
	s_cbranch_scc1 .LBB6_650
; %bb.647:
	s_cmp_lt_i32 s34, 3
	s_cbranch_scc1 .LBB6_651
; %bb.648:
	s_cmp_gt_i32 s34, 3
	s_cbranch_scc0 .LBB6_652
; %bb.649:
	global_load_dwordx2 v[2:3], v[0:1], off
	s_mov_b64 s[0:1], 0
	s_waitcnt vmcnt(0)
	v_cvt_f64_i32_e32 v[3:4], v3
	v_cvt_f64_u32_e32 v[5:6], v2
	v_ldexp_f64 v[3:4], v[3:4], 32
	v_add_f64 v[2:3], v[3:4], v[5:6]
	s_branch .LBB6_653
.LBB6_650:
	s_mov_b64 s[0:1], -1
                                        ; implicit-def: $vgpr2_vgpr3
	s_branch .LBB6_659
.LBB6_651:
	s_mov_b64 s[0:1], -1
                                        ; implicit-def: $vgpr2_vgpr3
	s_branch .LBB6_656
.LBB6_652:
	s_mov_b64 s[0:1], -1
                                        ; implicit-def: $vgpr2_vgpr3
.LBB6_653:
	s_andn2_b64 vcc, exec, s[0:1]
	s_cbranch_vccnz .LBB6_655
; %bb.654:
	global_load_dword v2, v[0:1], off
	s_waitcnt vmcnt(0)
	v_cvt_f64_i32_e32 v[2:3], v2
.LBB6_655:
	s_mov_b64 s[0:1], 0
.LBB6_656:
	s_andn2_b64 vcc, exec, s[0:1]
	s_cbranch_vccnz .LBB6_658
; %bb.657:
	global_load_sshort v2, v[0:1], off
	s_waitcnt vmcnt(0)
	v_cvt_f64_i32_e32 v[2:3], v2
.LBB6_658:
	s_mov_b64 s[0:1], 0
.LBB6_659:
	s_andn2_b64 vcc, exec, s[0:1]
	s_cbranch_vccnz .LBB6_665
; %bb.660:
	s_cmp_gt_i32 s34, 0
	s_cbranch_scc0 .LBB6_662
; %bb.661:
	global_load_sbyte v2, v[0:1], off
	s_mov_b64 s[0:1], 0
	s_waitcnt vmcnt(0)
	v_cvt_f64_i32_e32 v[2:3], v2
	s_branch .LBB6_663
.LBB6_662:
	s_mov_b64 s[0:1], -1
                                        ; implicit-def: $vgpr2_vgpr3
.LBB6_663:
	s_andn2_b64 vcc, exec, s[0:1]
	s_cbranch_vccnz .LBB6_665
; %bb.664:
	global_load_ubyte v0, v[0:1], off
	s_waitcnt vmcnt(0)
	v_cvt_f64_u32_e32 v[2:3], v0
.LBB6_665:
	s_mov_b64 s[0:1], -1
.LBB6_666:
	s_andn2_b64 vcc, exec, s[0:1]
	s_cbranch_vccnz .LBB6_684
; %bb.667:
	s_mov_b32 s0, 0
	s_mov_b32 s1, 0x7ff00000
	s_waitcnt vmcnt(0)
	v_cmp_neq_f64_e64 s[0:1], |v[2:3]|, s[0:1]
	v_mov_b32_e32 v0, 0
	v_mov_b32_e32 v1, 0
	s_and_saveexec_b64 s[28:29], s[0:1]
	s_cbranch_execz .LBB6_677
; %bb.668:
	v_cmp_nlt_f64_e64 s[0:1], |v[2:3]|, 0.5
                                        ; implicit-def: $vgpr0_vgpr1
	s_and_saveexec_b64 s[30:31], s[0:1]
	s_xor_b64 s[30:31], exec, s[30:31]
	s_cbranch_execz .LBB6_674
; %bb.669:
	s_mov_b32 s0, 0
	s_mov_b32 s1, 0x41d00000
	v_cmp_nlt_f64_e64 s[0:1], |v[2:3]|, s[0:1]
                                        ; implicit-def: $vgpr6
                                        ; implicit-def: $vgpr0_vgpr1
                                        ; implicit-def: $vgpr4_vgpr5
	s_and_saveexec_b64 s[34:35], s[0:1]
	s_xor_b64 s[34:35], exec, s[34:35]
	s_cbranch_execz .LBB6_671
; %bb.670:
	v_trig_preop_f64 v[0:1], |v[2:3]|, 0
	s_mov_b32 s0, 0
	s_mov_b32 s1, 0x7b000000
	s_movk_i32 s36, 0xff80
	v_ldexp_f64 v[6:7], |v[2:3]|, s36
	v_cmp_ge_f64_e64 vcc, |v[2:3]|, s[0:1]
	v_trig_preop_f64 v[4:5], |v[2:3]|, 1
	v_and_b32_e32 v8, 0x7fffffff, v3
	v_trig_preop_f64 v[15:16], |v[2:3]|, 2
	s_mov_b32 s0, 0
	s_mov_b32 s1, 0x7ff00000
	v_mov_b32_e32 v26, 0x40100000
	v_mov_b32_e32 v25, 0
	v_cndmask_b32_e32 v7, v8, v7, vcc
	v_cndmask_b32_e32 v6, v2, v6, vcc
	s_mov_b32 s36, 0x33145c07
	v_mul_f64 v[8:9], v[0:1], v[6:7]
	s_mov_b32 s37, 0x3c91a626
	v_mul_f64 v[10:11], v[4:5], v[6:7]
	v_mul_f64 v[21:22], v[15:16], v[6:7]
	v_fma_f64 v[0:1], v[0:1], v[6:7], -v[8:9]
	v_fma_f64 v[4:5], v[4:5], v[6:7], -v[10:11]
	;; [unrolled: 1-line block ×3, first 2 shown]
	v_add_f64 v[12:13], v[10:11], v[0:1]
	v_add_f64 v[17:18], v[12:13], -v[10:11]
	v_add_f64 v[23:24], v[8:9], v[12:13]
	v_add_f64 v[19:20], v[12:13], -v[17:18]
	v_add_f64 v[0:1], v[0:1], -v[17:18]
	v_add_f64 v[17:18], v[21:22], v[4:5]
	v_add_f64 v[8:9], v[23:24], -v[8:9]
	v_add_f64 v[10:11], v[10:11], -v[19:20]
	v_ldexp_f64 v[19:20], v[23:24], -2
	v_add_f64 v[27:28], v[17:18], -v[21:22]
	v_add_f64 v[8:9], v[12:13], -v[8:9]
	v_add_f64 v[0:1], v[0:1], v[10:11]
	v_fract_f64_e32 v[10:11], v[19:20]
	v_cmp_neq_f64_e64 vcc, |v[19:20]|, s[0:1]
	v_add_f64 v[4:5], v[4:5], -v[27:28]
	v_add_f64 v[12:13], v[17:18], v[0:1]
	v_ldexp_f64 v[10:11], v[10:11], 2
	v_add_f64 v[19:20], v[8:9], v[12:13]
	v_cndmask_b32_e32 v11, 0, v11, vcc
	v_cndmask_b32_e32 v10, 0, v10, vcc
	v_add_f64 v[29:30], v[12:13], -v[17:18]
	v_add_f64 v[23:24], v[19:20], v[10:11]
	v_add_f64 v[8:9], v[19:20], -v[8:9]
	v_add_f64 v[31:32], v[12:13], -v[29:30]
	;; [unrolled: 1-line block ×3, first 2 shown]
	v_cmp_gt_f64_e32 vcc, 0, v[23:24]
	v_add_f64 v[23:24], v[17:18], -v[27:28]
	v_add_f64 v[8:9], v[12:13], -v[8:9]
	;; [unrolled: 1-line block ×3, first 2 shown]
	v_cndmask_b32_e32 v26, 0, v26, vcc
	v_add_f64 v[10:11], v[10:11], v[25:26]
	v_add_f64 v[23:24], v[21:22], -v[23:24]
	v_add_f64 v[0:1], v[0:1], v[17:18]
	v_add_f64 v[33:34], v[19:20], v[10:11]
	v_add_f64 v[4:5], v[4:5], v[23:24]
	v_cvt_i32_f64_e32 v28, v[33:34]
	v_add_f64 v[0:1], v[4:5], v[0:1]
	v_cvt_f64_i32_e32 v[26:27], v28
	v_add_f64 v[10:11], v[10:11], -v[26:27]
	v_add_f64 v[0:1], v[6:7], v[0:1]
	v_add_f64 v[4:5], v[19:20], v[10:11]
	v_add_f64 v[0:1], v[8:9], v[0:1]
	v_mov_b32_e32 v9, 0x3ff00000
	v_add_f64 v[6:7], v[4:5], -v[10:11]
	v_cmp_le_f64_e32 vcc, 0.5, v[4:5]
	v_add_f64 v[7:8], v[19:20], -v[6:7]
	v_cndmask_b32_e32 v26, 0, v9, vcc
	v_add_f64 v[4:5], v[4:5], -v[25:26]
	v_addc_co_u32_e64 v6, s[0:1], 0, v28, vcc
	s_mov_b32 s0, 0x54442d18
	s_mov_b32 s1, 0x3ff921fb
	v_add_f64 v[0:1], v[0:1], v[7:8]
	v_add_f64 v[7:8], v[4:5], v[0:1]
	v_mul_f64 v[9:10], v[7:8], s[0:1]
	v_add_f64 v[4:5], v[7:8], -v[4:5]
	v_fma_f64 v[11:12], v[7:8], s[0:1], -v[9:10]
	v_add_f64 v[0:1], v[0:1], -v[4:5]
	v_fma_f64 v[4:5], v[7:8], s[36:37], v[11:12]
	v_fma_f64 v[4:5], v[0:1], s[0:1], v[4:5]
	v_add_f64 v[0:1], v[9:10], v[4:5]
	v_add_f64 v[7:8], v[0:1], -v[9:10]
	v_add_f64 v[4:5], v[4:5], -v[7:8]
.LBB6_671:
	s_andn2_saveexec_b64 s[0:1], s[34:35]
	s_cbranch_execz .LBB6_673
; %bb.672:
	s_mov_b32 s34, 0x6dc9c883
	s_mov_b32 s35, 0x3fe45f30
	v_mul_f64 v[0:1], |v[2:3]|, s[34:35]
	s_mov_b32 s34, 0x54442d18
	s_mov_b32 s35, 0xbff921fb
	;; [unrolled: 1-line block ×4, first 2 shown]
	v_rndne_f64_e32 v[6:7], v[0:1]
	v_fma_f64 v[0:1], v[6:7], s[34:35], |v[2:3]|
	v_mul_f64 v[4:5], v[6:7], s[36:37]
	s_mov_b32 s34, 0x252049c0
	s_mov_b32 s35, 0xb97b839a
	v_fma_f64 v[12:13], v[6:7], s[36:37], v[0:1]
	v_add_f64 v[8:9], v[0:1], v[4:5]
	s_mov_b32 s37, 0x3c91a626
	v_add_f64 v[10:11], v[0:1], -v[8:9]
	v_add_f64 v[8:9], v[8:9], -v[12:13]
	v_add_f64 v[0:1], v[10:11], v[4:5]
	v_fma_f64 v[4:5], v[6:7], s[36:37], v[4:5]
	v_add_f64 v[0:1], v[8:9], v[0:1]
	v_add_f64 v[0:1], v[0:1], -v[4:5]
	v_fma_f64 v[4:5], v[6:7], s[34:35], v[0:1]
	v_cvt_i32_f64_e32 v6, v[6:7]
	v_add_f64 v[0:1], v[12:13], v[4:5]
	v_add_f64 v[8:9], v[0:1], -v[12:13]
	v_add_f64 v[4:5], v[4:5], -v[8:9]
.LBB6_673:
	s_or_b64 exec, exec, s[0:1]
	v_mul_f64 v[7:8], v[0:1], v[0:1]
	s_mov_b32 s0, 0xf9a43bb8
	v_mov_b32_e32 v10, 0xb42fdfa7
	v_mov_b32_e32 v11, 0xbe5ae600
	s_mov_b32 s1, 0x3de5e0b2
	s_mov_b32 s34, 0x796cde01
	v_mov_b32_e32 v9, 0x9037ab78
	s_mov_b32 s35, 0x3ec71de3
	v_fma_f64 v[11:12], v[7:8], s[0:1], v[10:11]
	s_mov_b32 s0, 0x46cc5e42
	v_mov_b32_e32 v10, 0x3e21eeb6
	s_mov_b32 s1, 0xbda907db
	v_fma_f64 v[9:10], v[7:8], s[0:1], v[9:10]
	v_mul_f64 v[15:16], v[7:8], 0.5
	s_mov_b32 s0, 0xa17f65f6
	s_mov_b32 s36, 0x19e83e5c
	v_fma_f64 v[11:12], v[7:8], v[11:12], s[34:35]
	s_mov_b32 s1, 0xbe927e4f
	s_mov_b32 s37, 0xbf2a01a0
	;; [unrolled: 1-line block ×3, first 2 shown]
	v_fma_f64 v[9:10], v[7:8], v[9:10], s[0:1]
	v_add_f64 v[17:18], -v[15:16], 1.0
	s_mov_b32 s0, 0x11110bb3
	s_mov_b32 s35, 0x3efa01a0
	v_fma_f64 v[11:12], v[7:8], v[11:12], s[36:37]
	s_mov_b32 s1, 0x3f811111
	v_mul_f64 v[19:20], v[4:5], 0.5
	v_mul_f64 v[21:22], v[0:1], -v[7:8]
	v_fma_f64 v[9:10], v[7:8], v[9:10], s[34:35]
	v_add_f64 v[23:24], -v[17:18], 1.0
	v_fma_f64 v[11:12], v[7:8], v[11:12], s[0:1]
	s_mov_b32 s0, 0x16c16967
	s_mov_b32 s1, 0xbf56c16c
	v_fma_f64 v[9:10], v[7:8], v[9:10], s[0:1]
	v_add_f64 v[15:16], v[23:24], -v[15:16]
	s_mov_b32 s1, 0x3fa55555
	s_mov_b32 s0, 0x55555555
	v_fma_f64 v[11:12], v[21:22], v[11:12], v[19:20]
	v_mul_f64 v[19:20], v[7:8], v[7:8]
	v_fma_f64 v[9:10], v[7:8], v[9:10], s[0:1]
	v_fma_f64 v[15:16], v[0:1], -v[4:5], v[15:16]
	s_mov_b32 s1, 0xbfc55555
	v_fma_f64 v[4:5], v[7:8], v[11:12], -v[4:5]
	v_fma_f64 v[7:8], v[19:20], v[9:10], v[15:16]
	v_fma_f64 v[4:5], v[21:22], s[0:1], v[4:5]
	s_movk_i32 s0, 0x1f8
	v_cmp_class_f64_e64 s[0:1], v[2:3], s0
	v_add_f64 v[7:8], v[17:18], v[7:8]
	v_add_f64 v[0:1], v[0:1], -v[4:5]
	v_and_b32_e32 v4, 1, v6
	v_cmp_eq_u32_e32 vcc, 0, v4
	v_lshlrev_b32_e32 v4, 30, v6
	v_xor_b32_e32 v4, v4, v3
	v_and_b32_e32 v4, 0x80000000, v4
	v_mov_b32_e32 v5, 0x7ff80000
	v_cndmask_b32_e32 v1, v8, v1, vcc
	v_cndmask_b32_e32 v0, v7, v0, vcc
	v_xor_b32_e32 v1, v1, v4
	v_cndmask_b32_e64 v0, 0, v0, s[0:1]
	v_cndmask_b32_e64 v1, v5, v1, s[0:1]
	v_div_scale_f64 v[4:5], s[0:1], v[2:3], v[2:3], v[0:1]
	v_div_scale_f64 v[10:11], vcc, v[0:1], v[2:3], v[0:1]
	v_rcp_f64_e32 v[6:7], v[4:5]
	v_fma_f64 v[8:9], -v[4:5], v[6:7], 1.0
	v_fma_f64 v[6:7], v[6:7], v[8:9], v[6:7]
	v_fma_f64 v[8:9], -v[4:5], v[6:7], 1.0
	v_fma_f64 v[6:7], v[6:7], v[8:9], v[6:7]
	v_mul_f64 v[8:9], v[10:11], v[6:7]
	v_fma_f64 v[4:5], -v[4:5], v[8:9], v[10:11]
	v_div_fmas_f64 v[4:5], v[4:5], v[6:7], v[8:9]
	v_div_fixup_f64 v[0:1], v[4:5], v[2:3], v[0:1]
                                        ; implicit-def: $vgpr2_vgpr3
.LBB6_674:
	s_andn2_saveexec_b64 s[0:1], s[30:31]
	s_cbranch_execz .LBB6_676
; %bb.675:
	v_mul_f64 v[0:1], v[2:3], v[2:3]
	s_mov_b32 s30, 0x13a86d09
	v_mov_b32_e32 v2, 0x67f544e4
	v_mov_b32_e32 v3, 0xbe5ae645
	s_mov_b32 s31, 0x3de61246
	v_fma_f64 v[2:3], v[0:1], s[30:31], v[2:3]
	s_mov_b32 s30, 0xa556c734
	s_mov_b32 s31, 0x3ec71de3
	v_fma_f64 v[2:3], v[0:1], v[2:3], s[30:31]
	s_mov_b32 s30, 0x1a01a01a
	;; [unrolled: 3-line block ×4, first 2 shown]
	s_mov_b32 s31, 0xbfc55555
	v_fma_f64 v[2:3], v[0:1], v[2:3], s[30:31]
	v_fma_f64 v[0:1], v[0:1], v[2:3], 1.0
.LBB6_676:
	s_or_b64 exec, exec, s[0:1]
.LBB6_677:
	s_or_b64 exec, exec, s[28:29]
	v_mul_lo_u32 v2, v14, s2
	v_mov_b32_e32 v3, s9
	s_and_b32 s36, s33, 0xff
	s_cmp_lt_i32 s36, 11
	v_ashrrev_i32_e32 v5, 31, v2
	v_add_co_u32_e32 v4, vcc, s8, v2
	v_addc_co_u32_e32 v5, vcc, v3, v5, vcc
	s_cbranch_scc1 .LBB6_685
; %bb.678:
	s_and_b32 s37, 0xffff, s36
	s_cmp_gt_i32 s37, 25
	s_cbranch_scc0 .LBB6_686
; %bb.679:
	s_cmp_gt_i32 s37, 28
	s_cbranch_scc0 .LBB6_687
; %bb.680:
	;; [unrolled: 3-line block ×4, first 2 shown]
	s_mov_b64 s[30:31], 0
	s_mov_b64 s[0:1], -1
	s_cmp_eq_u32 s37, 46
	s_mov_b64 s[28:29], 0
	s_cbranch_scc0 .LBB6_690
; %bb.683:
	v_cvt_f32_f64_e32 v2, v[0:1]
	s_movk_i32 s0, 0x7fff
	v_mov_b32_e32 v3, 0x7fc0
	s_mov_b64 s[28:29], -1
	v_bfe_u32 v6, v2, 16, 1
	v_cmp_o_f32_e32 vcc, v2, v2
	v_add3_u32 v2, v2, v6, s0
	v_cndmask_b32_sdwa v2, v3, v2, vcc dst_sel:DWORD dst_unused:UNUSED_PAD src0_sel:DWORD src1_sel:WORD_1
	global_store_dword v[4:5], v2, off
	s_mov_b64 s[0:1], 0
	s_branch .LBB6_690
.LBB6_684:
	s_mov_b64 s[30:31], 0
                                        ; implicit-def: $vgpr14
	s_mov_b64 s[0:1], s[20:21]
	s_branch .LBB6_801
.LBB6_685:
	s_mov_b64 s[30:31], -1
	s_mov_b64 s[28:29], 0
	s_mov_b64 s[0:1], s[20:21]
	s_branch .LBB6_759
.LBB6_686:
	s_mov_b64 s[30:31], -1
	s_mov_b64 s[28:29], 0
	s_mov_b64 s[0:1], s[20:21]
	s_branch .LBB6_717
.LBB6_687:
	s_mov_b64 s[30:31], -1
	s_mov_b64 s[28:29], 0
	s_mov_b64 s[0:1], s[20:21]
	s_branch .LBB6_700
.LBB6_688:
	s_mov_b64 s[30:31], -1
	s_mov_b64 s[28:29], 0
	s_mov_b64 s[0:1], s[20:21]
	s_branch .LBB6_696
.LBB6_689:
	s_mov_b64 s[30:31], -1
	s_mov_b64 s[28:29], 0
	s_mov_b64 s[0:1], s[20:21]
.LBB6_690:
	s_and_b64 vcc, exec, s[30:31]
	s_cbranch_vccz .LBB6_695
; %bb.691:
	s_cmp_eq_u32 s37, 44
	s_mov_b64 s[0:1], -1
	s_cbranch_scc0 .LBB6_695
; %bb.692:
	v_cvt_f32_f64_e32 v2, v[0:1]
	s_movk_i32 s0, 0xff
	v_mov_b32_e32 v6, 0xff
	v_bfe_u32 v3, v2, 23, 8
	v_cmp_ne_u32_e32 vcc, s0, v3
	s_and_saveexec_b64 s[28:29], vcc
; %bb.693:
	s_mov_b32 s0, 0x3fffff
	v_lshrrev_b32_e32 v6, 23, v2
	v_and_b32_e32 v7, 0x400000, v2
	v_and_or_b32 v2, v2, s0, v3
	v_cmp_ne_u32_e32 vcc, 0, v7
	v_cmp_ne_u32_e64 s[0:1], 0, v2
	s_and_b64 s[0:1], vcc, s[0:1]
	v_cndmask_b32_e64 v2, 0, 1, s[0:1]
	v_add_u32_e32 v6, v6, v2
; %bb.694:
	s_or_b64 exec, exec, s[28:29]
	s_mov_b64 s[28:29], -1
	s_mov_b64 s[0:1], 0
	global_store_byte v[4:5], v6, off
.LBB6_695:
	s_mov_b64 s[30:31], 0
.LBB6_696:
	s_and_b64 vcc, exec, s[30:31]
	s_cbranch_vccz .LBB6_699
; %bb.697:
	s_cmp_eq_u32 s37, 29
	s_mov_b64 s[0:1], -1
	s_cbranch_scc0 .LBB6_699
; %bb.698:
	v_trunc_f64_e32 v[2:3], v[0:1]
	s_movk_i32 s0, 0xffe0
	s_mov_b64 s[28:29], -1
	s_mov_b64 s[30:31], 0
	v_ldexp_f64 v[6:7], v[2:3], s0
	s_mov_b32 s0, 0
	s_mov_b32 s1, 0xc1f00000
	v_floor_f64_e32 v[6:7], v[6:7]
	v_fma_f64 v[2:3], v[6:7], s[0:1], v[2:3]
	v_cvt_u32_f64_e32 v7, v[6:7]
	s_mov_b64 s[0:1], 0
	v_cvt_u32_f64_e32 v6, v[2:3]
	global_store_dwordx2 v[4:5], v[6:7], off
	s_branch .LBB6_700
.LBB6_699:
	s_mov_b64 s[30:31], 0
.LBB6_700:
	s_and_b64 vcc, exec, s[30:31]
	s_cbranch_vccz .LBB6_716
; %bb.701:
	s_cmp_lt_i32 s37, 27
	s_mov_b64 s[28:29], -1
	s_cbranch_scc1 .LBB6_707
; %bb.702:
	v_cvt_u32_f64_e32 v2, v[0:1]
	s_cmp_gt_i32 s37, 27
	s_cbranch_scc0 .LBB6_704
; %bb.703:
	s_mov_b64 s[28:29], 0
	global_store_dword v[4:5], v2, off
.LBB6_704:
	s_andn2_b64 vcc, exec, s[28:29]
	s_cbranch_vccnz .LBB6_706
; %bb.705:
	global_store_short v[4:5], v2, off
.LBB6_706:
	s_mov_b64 s[28:29], 0
.LBB6_707:
	s_andn2_b64 vcc, exec, s[28:29]
	s_cbranch_vccnz .LBB6_715
; %bb.708:
	v_cvt_f32_f64_e32 v2, v[0:1]
	s_mov_b32 s28, 0x43800000
	v_mov_b32_e32 v6, 0x80
	v_and_b32_e32 v3, 0x7fffffff, v2
	v_cmp_gt_u32_e32 vcc, s28, v3
	s_and_saveexec_b64 s[28:29], vcc
	s_cbranch_execz .LBB6_714
; %bb.709:
	s_mov_b32 s30, 0x3bffffff
	v_cmp_lt_u32_e32 vcc, s30, v3
	s_mov_b64 s[30:31], 0
                                        ; implicit-def: $vgpr3
	s_and_saveexec_b64 s[34:35], vcc
	s_xor_b64 s[34:35], exec, s[34:35]
	s_cbranch_execz .LBB6_815
; %bb.710:
	v_bfe_u32 v3, v2, 20, 1
	s_mov_b32 s39, 0x487ffff
	v_add3_u32 v3, v2, v3, s39
	s_mov_b64 s[30:31], exec
	v_lshrrev_b32_e32 v3, 20, v3
	s_andn2_saveexec_b64 s[34:35], s[34:35]
	s_cbranch_execnz .LBB6_816
.LBB6_711:
	s_or_b64 exec, exec, s[34:35]
	v_mov_b32_e32 v6, 0
	s_and_saveexec_b64 s[34:35], s[30:31]
.LBB6_712:
	v_lshrrev_b32_e32 v2, 24, v2
	s_movk_i32 s30, 0x80
	v_and_or_b32 v6, v2, s30, v3
.LBB6_713:
	s_or_b64 exec, exec, s[34:35]
.LBB6_714:
	s_or_b64 exec, exec, s[28:29]
	global_store_byte v[4:5], v6, off
.LBB6_715:
	s_mov_b64 s[28:29], -1
.LBB6_716:
	s_mov_b64 s[30:31], 0
.LBB6_717:
	s_and_b64 vcc, exec, s[30:31]
	s_cbranch_vccz .LBB6_758
; %bb.718:
	s_cmp_gt_i32 s37, 22
	s_mov_b64 s[30:31], -1
	s_cbranch_scc0 .LBB6_750
; %bb.719:
	s_cmp_lt_i32 s37, 24
	s_mov_b64 s[28:29], -1
	s_cbranch_scc1 .LBB6_739
; %bb.720:
	s_cmp_gt_i32 s37, 24
	s_cbranch_scc0 .LBB6_728
; %bb.721:
	v_cvt_f32_f64_e32 v2, v[0:1]
	s_mov_b32 s28, 0x47800000
	v_mov_b32_e32 v6, 0x80
	v_and_b32_e32 v3, 0x7fffffff, v2
	v_cmp_gt_u32_e32 vcc, s28, v3
	s_and_saveexec_b64 s[28:29], vcc
	s_cbranch_execz .LBB6_727
; %bb.722:
	s_mov_b32 s30, 0x37ffffff
	v_cmp_lt_u32_e32 vcc, s30, v3
	s_mov_b64 s[30:31], 0
                                        ; implicit-def: $vgpr3
	s_and_saveexec_b64 s[34:35], vcc
	s_xor_b64 s[34:35], exec, s[34:35]
	s_cbranch_execz .LBB6_818
; %bb.723:
	v_bfe_u32 v3, v2, 21, 1
	s_mov_b32 s39, 0x88fffff
	v_add3_u32 v3, v2, v3, s39
	s_mov_b64 s[30:31], exec
	v_lshrrev_b32_e32 v3, 21, v3
	s_andn2_saveexec_b64 s[34:35], s[34:35]
	s_cbranch_execnz .LBB6_819
.LBB6_724:
	s_or_b64 exec, exec, s[34:35]
	v_mov_b32_e32 v6, 0
	s_and_saveexec_b64 s[34:35], s[30:31]
.LBB6_725:
	v_lshrrev_b32_e32 v2, 24, v2
	s_movk_i32 s30, 0x80
	v_and_or_b32 v6, v2, s30, v3
.LBB6_726:
	s_or_b64 exec, exec, s[34:35]
.LBB6_727:
	s_or_b64 exec, exec, s[28:29]
	s_mov_b64 s[28:29], 0
	global_store_byte v[4:5], v6, off
.LBB6_728:
	s_and_b64 vcc, exec, s[28:29]
	s_cbranch_vccz .LBB6_738
; %bb.729:
	v_cvt_f32_f64_e32 v2, v[0:1]
	s_mov_b32 s28, 0x43f00000
                                        ; implicit-def: $vgpr3
	v_and_b32_e32 v6, 0x7fffffff, v2
	v_cmp_gt_u32_e32 vcc, s28, v6
	s_and_saveexec_b64 s[28:29], vcc
	s_xor_b64 s[28:29], exec, s[28:29]
	s_cbranch_execz .LBB6_735
; %bb.730:
	s_mov_b32 s30, 0x3c7fffff
	v_cmp_lt_u32_e32 vcc, s30, v6
                                        ; implicit-def: $vgpr3
	s_and_saveexec_b64 s[30:31], vcc
	s_xor_b64 s[30:31], exec, s[30:31]
; %bb.731:
	v_bfe_u32 v3, v2, 20, 1
	s_mov_b32 s34, 0x407ffff
	v_add3_u32 v3, v2, v3, s34
	v_lshrrev_b32_e32 v6, 20, v3
	v_and_b32_e32 v3, 0xff00000, v3
	s_mov_b32 s34, 0x7f00000
	v_mov_b32_e32 v7, 0x7e
	v_cmp_ne_u32_e32 vcc, s34, v3
	v_cndmask_b32_e32 v3, v7, v6, vcc
; %bb.732:
	s_andn2_saveexec_b64 s[30:31], s[30:31]
; %bb.733:
	s_mov_b32 s34, 0x46800000
	v_add_f32_e64 v3, |v2|, s34
; %bb.734:
	s_or_b64 exec, exec, s[30:31]
                                        ; implicit-def: $vgpr6
.LBB6_735:
	s_andn2_saveexec_b64 s[28:29], s[28:29]
; %bb.736:
	s_mov_b32 s30, 0x7f800000
	v_mov_b32_e32 v3, 0x7e
	v_mov_b32_e32 v7, 0x7f
	v_cmp_lt_u32_e32 vcc, s30, v6
	v_cndmask_b32_e32 v3, v3, v7, vcc
; %bb.737:
	s_or_b64 exec, exec, s[28:29]
	v_lshrrev_b32_e32 v2, 24, v2
	s_movk_i32 s28, 0x80
	v_and_or_b32 v2, v2, s28, v3
	global_store_byte v[4:5], v2, off
.LBB6_738:
	s_mov_b64 s[28:29], 0
.LBB6_739:
	s_andn2_b64 vcc, exec, s[28:29]
	s_cbranch_vccnz .LBB6_749
; %bb.740:
	v_cvt_f32_f64_e32 v2, v[0:1]
	s_mov_b32 s28, 0x47800000
                                        ; implicit-def: $vgpr3
	v_and_b32_e32 v6, 0x7fffffff, v2
	v_cmp_gt_u32_e32 vcc, s28, v6
	s_and_saveexec_b64 s[28:29], vcc
	s_xor_b64 s[28:29], exec, s[28:29]
	s_cbranch_execz .LBB6_746
; %bb.741:
	s_mov_b32 s30, 0x387fffff
	v_cmp_lt_u32_e32 vcc, s30, v6
                                        ; implicit-def: $vgpr3
	s_and_saveexec_b64 s[30:31], vcc
	s_xor_b64 s[30:31], exec, s[30:31]
; %bb.742:
	v_bfe_u32 v3, v2, 21, 1
	s_mov_b32 s34, 0x80fffff
	v_add3_u32 v3, v2, v3, s34
	v_lshrrev_b32_e32 v3, 21, v3
; %bb.743:
	s_andn2_saveexec_b64 s[30:31], s[30:31]
; %bb.744:
	s_mov_b32 s34, 0x43000000
	v_add_f32_e64 v3, |v2|, s34
; %bb.745:
	s_or_b64 exec, exec, s[30:31]
                                        ; implicit-def: $vgpr6
.LBB6_746:
	s_andn2_saveexec_b64 s[28:29], s[28:29]
; %bb.747:
	s_mov_b32 s30, 0x7f800000
	v_mov_b32_e32 v3, 0x7c
	v_mov_b32_e32 v7, 0x7f
	v_cmp_lt_u32_e32 vcc, s30, v6
	v_cndmask_b32_e32 v3, v3, v7, vcc
; %bb.748:
	s_or_b64 exec, exec, s[28:29]
	v_lshrrev_b32_e32 v2, 24, v2
	s_movk_i32 s28, 0x80
	v_and_or_b32 v2, v2, s28, v3
	global_store_byte v[4:5], v2, off
.LBB6_749:
	s_mov_b64 s[30:31], 0
	s_mov_b64 s[28:29], -1
.LBB6_750:
	s_andn2_b64 vcc, exec, s[30:31]
	s_cbranch_vccnz .LBB6_758
; %bb.751:
	s_cmp_gt_i32 s37, 14
	s_mov_b64 s[30:31], -1
	s_cbranch_scc0 .LBB6_755
; %bb.752:
	s_cmp_eq_u32 s37, 15
	s_mov_b64 s[0:1], -1
	s_cbranch_scc0 .LBB6_754
; %bb.753:
	v_cvt_f32_f64_e32 v2, v[0:1]
	s_movk_i32 s0, 0x7fff
	v_mov_b32_e32 v3, 0x7fc0
	s_mov_b64 s[28:29], -1
	v_bfe_u32 v6, v2, 16, 1
	v_cmp_o_f32_e32 vcc, v2, v2
	v_add3_u32 v2, v2, v6, s0
	v_cndmask_b32_sdwa v2, v3, v2, vcc dst_sel:DWORD dst_unused:UNUSED_PAD src0_sel:DWORD src1_sel:WORD_1
	global_store_short v[4:5], v2, off
	s_mov_b64 s[0:1], 0
.LBB6_754:
	s_mov_b64 s[30:31], 0
.LBB6_755:
	s_and_b64 vcc, exec, s[30:31]
	s_cbranch_vccz .LBB6_758
; %bb.756:
	s_cmp_eq_u32 s37, 11
	s_mov_b64 s[0:1], -1
	s_cbranch_scc0 .LBB6_758
; %bb.757:
	v_cmp_neq_f64_e32 vcc, 0, v[0:1]
	s_mov_b64 s[0:1], 0
	s_mov_b64 s[28:29], -1
	v_cndmask_b32_e64 v2, 0, 1, vcc
	global_store_byte v[4:5], v2, off
.LBB6_758:
	s_mov_b64 s[30:31], 0
.LBB6_759:
	s_and_b64 vcc, exec, s[30:31]
	s_cbranch_vccz .LBB6_798
; %bb.760:
	s_and_b32 s30, 0xffff, s36
	s_cmp_lt_i32 s30, 5
	s_mov_b64 s[28:29], -1
	s_cbranch_scc1 .LBB6_781
; %bb.761:
	s_cmp_lt_i32 s30, 8
	s_cbranch_scc1 .LBB6_771
; %bb.762:
	s_cmp_lt_i32 s30, 9
	s_cbranch_scc1 .LBB6_768
; %bb.763:
	s_cmp_gt_i32 s30, 9
	s_cbranch_scc0 .LBB6_765
; %bb.764:
	v_mov_b32_e32 v2, 0
	v_mov_b32_e32 v3, v2
	s_mov_b64 s[28:29], 0
	global_store_dwordx4 v[4:5], v[0:3], off
.LBB6_765:
	s_andn2_b64 vcc, exec, s[28:29]
	s_cbranch_vccnz .LBB6_767
; %bb.766:
	v_cvt_f32_f64_e32 v2, v[0:1]
	v_mov_b32_e32 v3, 0
	global_store_dwordx2 v[4:5], v[2:3], off
.LBB6_767:
	s_mov_b64 s[28:29], 0
.LBB6_768:
	s_andn2_b64 vcc, exec, s[28:29]
	s_cbranch_vccnz .LBB6_770
; %bb.769:
	s_movk_i32 s28, 0x1ff
	v_and_or_b32 v2, v1, s28, v0
	v_cmp_ne_u32_e32 vcc, 0, v2
	v_cndmask_b32_e64 v2, 0, 1, vcc
	v_lshrrev_b32_e32 v3, 8, v1
	s_movk_i32 s28, 0xffe
	v_bfe_u32 v6, v1, 20, 11
	v_and_or_b32 v2, v3, s28, v2
	v_sub_u32_e32 v7, 0x3f1, v6
	v_or_b32_e32 v3, 0x1000, v2
	v_med3_i32 v7, v7, 0, 13
	v_lshrrev_b32_e32 v8, v7, v3
	v_lshlrev_b32_e32 v7, v7, v8
	v_cmp_ne_u32_e32 vcc, v7, v3
	v_cndmask_b32_e64 v3, 0, 1, vcc
	v_add_u32_e32 v6, 0xfffffc10, v6
	v_or_b32_e32 v3, v8, v3
	v_lshl_or_b32 v7, v6, 12, v2
	v_cmp_gt_i32_e32 vcc, 1, v6
	v_cndmask_b32_e32 v3, v7, v3, vcc
	v_and_b32_e32 v7, 7, v3
	v_cmp_lt_i32_e32 vcc, 5, v7
	v_cndmask_b32_e64 v8, 0, 1, vcc
	v_cmp_eq_u32_e32 vcc, 3, v7
	v_cndmask_b32_e64 v7, 0, 1, vcc
	v_or_b32_e32 v7, v7, v8
	v_lshrrev_b32_e32 v3, 2, v3
	v_add_u32_e32 v3, v3, v7
	v_mov_b32_e32 v7, 0x7c00
	v_cmp_gt_i32_e32 vcc, 31, v6
	v_cndmask_b32_e32 v3, v7, v3, vcc
	v_mov_b32_e32 v8, 0x7e00
	v_cmp_ne_u32_e32 vcc, 0, v2
	s_movk_i32 s28, 0x40f
	v_cndmask_b32_e32 v2, v7, v8, vcc
	v_cmp_eq_u32_e32 vcc, s28, v6
	v_cndmask_b32_e32 v2, v3, v2, vcc
	v_lshrrev_b32_e32 v3, 16, v1
	s_mov_b32 s28, 0x8000
	v_and_or_b32 v2, v3, s28, v2
	v_and_b32_e32 v2, 0xffff, v2
	global_store_dword v[4:5], v2, off
.LBB6_770:
	s_mov_b64 s[28:29], 0
.LBB6_771:
	s_andn2_b64 vcc, exec, s[28:29]
	s_cbranch_vccnz .LBB6_780
; %bb.772:
	s_cmp_lt_i32 s30, 6
	s_mov_b64 s[28:29], -1
	s_cbranch_scc1 .LBB6_778
; %bb.773:
	s_cmp_gt_i32 s30, 6
	s_cbranch_scc0 .LBB6_775
; %bb.774:
	s_mov_b64 s[28:29], 0
	global_store_dwordx2 v[4:5], v[0:1], off
.LBB6_775:
	s_andn2_b64 vcc, exec, s[28:29]
	s_cbranch_vccnz .LBB6_777
; %bb.776:
	v_cvt_f32_f64_e32 v2, v[0:1]
	global_store_dword v[4:5], v2, off
.LBB6_777:
	s_mov_b64 s[28:29], 0
.LBB6_778:
	s_andn2_b64 vcc, exec, s[28:29]
	s_cbranch_vccnz .LBB6_780
; %bb.779:
	s_movk_i32 s28, 0x1ff
	v_and_or_b32 v2, v1, s28, v0
	v_cmp_ne_u32_e32 vcc, 0, v2
	v_cndmask_b32_e64 v2, 0, 1, vcc
	v_lshrrev_b32_e32 v3, 8, v1
	s_movk_i32 s28, 0xffe
	v_bfe_u32 v6, v1, 20, 11
	v_and_or_b32 v2, v3, s28, v2
	v_sub_u32_e32 v7, 0x3f1, v6
	v_or_b32_e32 v3, 0x1000, v2
	v_med3_i32 v7, v7, 0, 13
	v_lshrrev_b32_e32 v8, v7, v3
	v_lshlrev_b32_e32 v7, v7, v8
	v_cmp_ne_u32_e32 vcc, v7, v3
	v_cndmask_b32_e64 v3, 0, 1, vcc
	v_add_u32_e32 v6, 0xfffffc10, v6
	v_or_b32_e32 v3, v8, v3
	v_lshl_or_b32 v7, v6, 12, v2
	v_cmp_gt_i32_e32 vcc, 1, v6
	v_cndmask_b32_e32 v3, v7, v3, vcc
	v_and_b32_e32 v7, 7, v3
	v_cmp_lt_i32_e32 vcc, 5, v7
	v_cndmask_b32_e64 v8, 0, 1, vcc
	v_cmp_eq_u32_e32 vcc, 3, v7
	v_cndmask_b32_e64 v7, 0, 1, vcc
	v_or_b32_e32 v7, v7, v8
	v_lshrrev_b32_e32 v3, 2, v3
	v_add_u32_e32 v3, v3, v7
	v_mov_b32_e32 v7, 0x7c00
	v_cmp_gt_i32_e32 vcc, 31, v6
	v_cndmask_b32_e32 v3, v7, v3, vcc
	v_mov_b32_e32 v8, 0x7e00
	v_cmp_ne_u32_e32 vcc, 0, v2
	s_movk_i32 s28, 0x40f
	v_cndmask_b32_e32 v2, v7, v8, vcc
	v_cmp_eq_u32_e32 vcc, s28, v6
	v_cndmask_b32_e32 v2, v3, v2, vcc
	v_lshrrev_b32_e32 v3, 16, v1
	s_mov_b32 s28, 0x8000
	v_and_or_b32 v2, v3, s28, v2
	global_store_short v[4:5], v2, off
.LBB6_780:
	s_mov_b64 s[28:29], 0
.LBB6_781:
	s_andn2_b64 vcc, exec, s[28:29]
	s_cbranch_vccnz .LBB6_797
; %bb.782:
	s_cmp_lt_i32 s30, 2
	s_mov_b64 s[28:29], -1
	s_cbranch_scc1 .LBB6_792
; %bb.783:
	s_cmp_lt_i32 s30, 3
	s_cbranch_scc1 .LBB6_789
; %bb.784:
	s_cmp_gt_i32 s30, 3
	s_cbranch_scc0 .LBB6_786
; %bb.785:
	v_trunc_f64_e32 v[2:3], v[0:1]
	s_movk_i32 s28, 0xffe0
	v_ldexp_f64 v[6:7], v[2:3], s28
	s_mov_b32 s28, 0
	s_mov_b32 s29, 0xc1f00000
	v_floor_f64_e32 v[6:7], v[6:7]
	v_fma_f64 v[2:3], v[6:7], s[28:29], v[2:3]
	v_cvt_i32_f64_e32 v7, v[6:7]
	s_mov_b64 s[28:29], 0
	v_cvt_u32_f64_e32 v6, v[2:3]
	global_store_dwordx2 v[4:5], v[6:7], off
.LBB6_786:
	s_andn2_b64 vcc, exec, s[28:29]
	s_cbranch_vccnz .LBB6_788
; %bb.787:
	v_cvt_i32_f64_e32 v2, v[0:1]
	global_store_dword v[4:5], v2, off
.LBB6_788:
	s_mov_b64 s[28:29], 0
.LBB6_789:
	s_andn2_b64 vcc, exec, s[28:29]
	s_cbranch_vccnz .LBB6_791
; %bb.790:
	v_cvt_i32_f64_e32 v2, v[0:1]
	global_store_short v[4:5], v2, off
.LBB6_791:
	s_mov_b64 s[28:29], 0
.LBB6_792:
	s_andn2_b64 vcc, exec, s[28:29]
	s_cbranch_vccnz .LBB6_797
; %bb.793:
	s_cmp_gt_i32 s30, 0
	s_mov_b64 s[28:29], -1
	s_cbranch_scc0 .LBB6_795
; %bb.794:
	v_cvt_i32_f64_e32 v2, v[0:1]
	s_mov_b64 s[28:29], 0
	global_store_byte v[4:5], v2, off
.LBB6_795:
	s_andn2_b64 vcc, exec, s[28:29]
	s_cbranch_vccnz .LBB6_797
; %bb.796:
	v_trunc_f64_e32 v[0:1], v[0:1]
	s_movk_i32 s28, 0xffe0
	v_ldexp_f64 v[2:3], v[0:1], s28
	s_mov_b32 s28, 0
	s_mov_b32 s29, 0xc1f00000
	v_floor_f64_e32 v[2:3], v[2:3]
	v_fma_f64 v[0:1], v[2:3], s[28:29], v[0:1]
	v_cvt_u32_f64_e32 v0, v[0:1]
	global_store_byte v[4:5], v0, off
.LBB6_797:
	s_mov_b64 s[28:29], -1
.LBB6_798:
	s_andn2_b64 vcc, exec, s[28:29]
	s_cbranch_vccnz .LBB6_800
; %bb.799:
	v_add_u32_e32 v14, 0x80, v14
	s_mov_b64 s[30:31], -1
	s_branch .LBB6_801
.LBB6_800:
	s_mov_b64 s[30:31], 0
                                        ; implicit-def: $vgpr14
.LBB6_801:
	s_andn2_b64 s[28:29], s[20:21], exec
	s_and_b64 s[0:1], s[0:1], exec
	s_or_b64 s[28:29], s[28:29], s[0:1]
	s_andn2_b64 s[0:1], s[18:19], exec
	s_and_b64 s[26:27], s[26:27], exec
	s_or_b64 s[0:1], s[0:1], s[26:27]
	s_orn2_b64 s[34:35], s[30:31], exec
.LBB6_802:
	s_or_b64 exec, exec, s[24:25]
	s_mov_b64 s[30:31], 0
	s_mov_b64 s[26:27], 0
	;; [unrolled: 1-line block ×3, first 2 shown]
                                        ; implicit-def: $vgpr0_vgpr1
                                        ; implicit-def: $vgpr2_vgpr3
	s_and_saveexec_b64 s[24:25], s[34:35]
	s_cbranch_execz .LBB6_887
; %bb.803:
	v_cmp_gt_i32_e32 vcc, s38, v14
	s_mov_b64 s[34:35], 0
	s_mov_b64 s[38:39], s[0:1]
	;; [unrolled: 1-line block ×3, first 2 shown]
                                        ; implicit-def: $vgpr0_vgpr1
                                        ; implicit-def: $vgpr2_vgpr3
	s_and_saveexec_b64 s[26:27], vcc
	s_cbranch_execz .LBB6_886
; %bb.804:
	v_mul_lo_u32 v0, v14, s3
	v_mov_b32_e32 v1, s11
	s_and_b32 s43, 0xffff, s42
	s_cmp_lt_i32 s43, 11
	s_waitcnt vmcnt(0)
	v_ashrrev_i32_e32 v2, 31, v0
	v_add_co_u32_e32 v0, vcc, s10, v0
	v_addc_co_u32_e32 v1, vcc, v1, v2, vcc
	s_cbranch_scc1 .LBB6_811
; %bb.805:
	s_cmp_gt_i32 s43, 25
	s_cbranch_scc0 .LBB6_812
; %bb.806:
	s_cmp_gt_i32 s43, 28
	s_cbranch_scc0 .LBB6_813
	;; [unrolled: 3-line block ×4, first 2 shown]
; %bb.809:
	s_cmp_eq_u32 s43, 46
	s_mov_b64 s[38:39], 0
	s_cbranch_scc0 .LBB6_820
; %bb.810:
	global_load_dword v2, v[0:1], off
	s_mov_b64 s[36:37], -1
	s_waitcnt vmcnt(0)
	v_lshlrev_b32_e32 v2, 16, v2
	v_cvt_f64_f32_e32 v[2:3], v2
	s_branch .LBB6_822
.LBB6_811:
	s_mov_b64 s[38:39], -1
                                        ; implicit-def: $vgpr2_vgpr3
	s_mov_b64 s[30:31], s[0:1]
	s_branch .LBB6_885
.LBB6_812:
	s_mov_b64 s[38:39], -1
	s_mov_b64 s[30:31], s[0:1]
                                        ; implicit-def: $vgpr2_vgpr3
	s_branch .LBB6_853
.LBB6_813:
	s_mov_b64 s[38:39], -1
	s_mov_b64 s[30:31], s[0:1]
                                        ; implicit-def: $vgpr2_vgpr3
	s_branch .LBB6_832
.LBB6_814:
	s_mov_b64 s[38:39], -1
	s_mov_b64 s[30:31], s[0:1]
                                        ; implicit-def: $vgpr2_vgpr3
	s_branch .LBB6_827
.LBB6_815:
	s_andn2_saveexec_b64 s[34:35], s[34:35]
	s_cbranch_execz .LBB6_711
.LBB6_816:
	s_mov_b32 s39, 0x46000000
	v_add_f32_e64 v3, |v2|, s39
	v_and_b32_e32 v3, 0xff, v3
	v_cmp_ne_u32_e32 vcc, 0, v3
	s_andn2_b64 s[30:31], s[30:31], exec
	s_and_b64 s[40:41], vcc, exec
	s_or_b64 s[30:31], s[30:31], s[40:41]
	s_or_b64 exec, exec, s[34:35]
	v_mov_b32_e32 v6, 0
	s_and_saveexec_b64 s[34:35], s[30:31]
	s_cbranch_execnz .LBB6_712
	s_branch .LBB6_713
.LBB6_817:
	s_mov_b64 s[38:39], -1
	s_mov_b64 s[30:31], s[0:1]
	s_branch .LBB6_821
.LBB6_818:
	s_andn2_saveexec_b64 s[34:35], s[34:35]
	s_cbranch_execz .LBB6_724
.LBB6_819:
	s_mov_b32 s39, 0x42800000
	v_add_f32_e64 v3, |v2|, s39
	v_and_b32_e32 v3, 0xff, v3
	v_cmp_ne_u32_e32 vcc, 0, v3
	s_andn2_b64 s[30:31], s[30:31], exec
	s_and_b64 s[40:41], vcc, exec
	s_or_b64 s[30:31], s[30:31], s[40:41]
	s_or_b64 exec, exec, s[34:35]
	v_mov_b32_e32 v6, 0
	s_and_saveexec_b64 s[34:35], s[30:31]
	s_cbranch_execnz .LBB6_725
	s_branch .LBB6_726
.LBB6_820:
	s_mov_b64 s[30:31], -1
.LBB6_821:
                                        ; implicit-def: $vgpr2_vgpr3
.LBB6_822:
	s_and_b64 vcc, exec, s[38:39]
	s_cbranch_vccz .LBB6_826
; %bb.823:
	s_cmp_eq_u32 s43, 44
	s_cbranch_scc0 .LBB6_825
; %bb.824:
	global_load_ubyte v4, v[0:1], off
	s_movk_i32 s36, 0xff
	v_bfrev_b32_e32 v5, 4
	v_mov_b32_e32 v6, 0x7ff80000
	v_bfrev_b32_e32 v7, 28
	s_mov_b64 s[30:31], 0
	s_waitcnt vmcnt(0)
	v_lshlrev_b32_e32 v2, 23, v4
	v_cvt_f64_f32_e32 v[2:3], v2
	v_cmp_ne_u32_e32 vcc, s36, v4
	s_mov_b64 s[36:37], -1
	v_cndmask_b32_e32 v2, v5, v2, vcc
	v_cndmask_b32_e32 v3, v6, v3, vcc
	v_cmp_ne_u32_e32 vcc, 0, v4
	v_cndmask_b32_e32 v3, v7, v3, vcc
	v_cndmask_b32_e32 v2, 0, v2, vcc
	s_branch .LBB6_826
.LBB6_825:
	s_mov_b64 s[30:31], -1
                                        ; implicit-def: $vgpr2_vgpr3
.LBB6_826:
	s_mov_b64 s[38:39], 0
.LBB6_827:
	s_and_b64 vcc, exec, s[38:39]
	s_cbranch_vccz .LBB6_831
; %bb.828:
	s_cmp_eq_u32 s43, 29
	s_cbranch_scc0 .LBB6_830
; %bb.829:
	global_load_dwordx2 v[2:3], v[0:1], off
	s_mov_b64 s[30:31], 0
	s_mov_b64 s[36:37], -1
	s_mov_b64 s[38:39], 0
	s_waitcnt vmcnt(0)
	v_cvt_f64_u32_e32 v[3:4], v3
	v_cvt_f64_u32_e32 v[5:6], v2
	v_ldexp_f64 v[3:4], v[3:4], 32
	v_add_f64 v[2:3], v[3:4], v[5:6]
	s_branch .LBB6_832
.LBB6_830:
	s_mov_b64 s[30:31], -1
                                        ; implicit-def: $vgpr2_vgpr3
.LBB6_831:
	s_mov_b64 s[38:39], 0
.LBB6_832:
	s_and_b64 vcc, exec, s[38:39]
	s_cbranch_vccz .LBB6_852
; %bb.833:
	s_cmp_lt_i32 s43, 27
	s_cbranch_scc1 .LBB6_836
; %bb.834:
	s_cmp_gt_i32 s43, 27
	s_cbranch_scc0 .LBB6_837
; %bb.835:
	global_load_dword v2, v[0:1], off
	s_mov_b64 s[36:37], 0
	s_waitcnt vmcnt(0)
	v_cvt_f64_u32_e32 v[2:3], v2
	s_branch .LBB6_838
.LBB6_836:
	s_mov_b64 s[36:37], -1
                                        ; implicit-def: $vgpr2_vgpr3
	s_branch .LBB6_841
.LBB6_837:
	s_mov_b64 s[36:37], -1
                                        ; implicit-def: $vgpr2_vgpr3
.LBB6_838:
	s_andn2_b64 vcc, exec, s[36:37]
	s_cbranch_vccnz .LBB6_840
; %bb.839:
	global_load_ushort v2, v[0:1], off
	s_waitcnt vmcnt(0)
	v_cvt_f64_u32_e32 v[2:3], v2
.LBB6_840:
	s_mov_b64 s[36:37], 0
.LBB6_841:
	s_andn2_b64 vcc, exec, s[36:37]
	s_cbranch_vccnz .LBB6_851
; %bb.842:
	global_load_ubyte v4, v[0:1], off
	s_movk_i32 s36, 0x7f
	s_waitcnt vmcnt(0)
	v_cmp_lt_i16_e32 vcc, s36, v4
	s_mov_b64 s[36:37], 0
	s_and_saveexec_b64 s[38:39], vcc
	s_xor_b64 s[38:39], exec, s[38:39]
	s_cbranch_execz .LBB6_846
; %bb.843:
	s_movk_i32 s36, 0x80
	v_cmp_eq_u16_e32 vcc, s36, v4
	s_mov_b64 s[36:37], -1
	s_and_saveexec_b64 s[40:41], vcc
; %bb.844:
	s_xor_b64 s[36:37], exec, -1
; %bb.845:
	s_or_b64 exec, exec, s[40:41]
	s_and_b64 s[36:37], s[36:37], exec
.LBB6_846:
	s_or_saveexec_b64 s[38:39], s[38:39]
	v_bfrev_b32_e32 v2, 4
	v_mov_b32_e32 v3, 0x7ff80000
	s_xor_b64 exec, exec, s[38:39]
; %bb.847:
	v_cmp_ne_u16_e32 vcc, 0, v4
	v_mov_b32_e32 v2, 0
	s_andn2_b64 s[36:37], s[36:37], exec
	s_and_b64 s[40:41], vcc, exec
	v_mov_b32_e32 v3, 0
	s_or_b64 s[36:37], s[36:37], s[40:41]
; %bb.848:
	s_or_b64 exec, exec, s[38:39]
	s_and_saveexec_b64 s[38:39], s[36:37]
	s_cbranch_execz .LBB6_850
; %bb.849:
	v_and_b32_e32 v3, 0xffff, v4
	v_lshlrev_b32_e32 v2, 24, v4
	v_and_b32_e32 v4, 7, v3
	v_ffbh_u32_e32 v6, v4
	v_min_u32_e32 v6, 32, v6
	v_subrev_u32_e32 v7, 28, v6
	v_bfe_u32 v5, v3, 3, 4
	v_lshlrev_b32_e32 v3, v7, v3
	v_sub_u32_e32 v6, 29, v6
	v_and_b32_e32 v3, 7, v3
	v_cmp_eq_u32_e32 vcc, 0, v5
	v_cndmask_b32_e32 v5, v5, v6, vcc
	v_cndmask_b32_e32 v3, v4, v3, vcc
	v_mov_b32_e32 v4, 0x3b800000
	v_lshlrev_b32_e32 v3, 20, v3
	v_and_b32_e32 v2, 0x80000000, v2
	v_lshl_add_u32 v4, v5, 23, v4
	v_or3_b32 v2, v2, v4, v3
	v_cvt_f64_f32_e32 v[2:3], v2
.LBB6_850:
	s_or_b64 exec, exec, s[38:39]
.LBB6_851:
	s_mov_b64 s[36:37], -1
.LBB6_852:
	s_mov_b64 s[38:39], 0
.LBB6_853:
	s_and_b64 vcc, exec, s[38:39]
	s_cbranch_vccz .LBB6_884
; %bb.854:
	s_cmp_gt_i32 s43, 22
	s_cbranch_scc0 .LBB6_866
; %bb.855:
	s_cmp_lt_i32 s43, 24
	s_cbranch_scc1 .LBB6_867
; %bb.856:
	s_cmp_gt_i32 s43, 24
	s_cbranch_scc0 .LBB6_868
; %bb.857:
	global_load_ubyte v4, v[0:1], off
	s_movk_i32 s34, 0x7f
	s_waitcnt vmcnt(0)
	v_cmp_lt_i16_e32 vcc, s34, v4
	s_mov_b64 s[34:35], 0
	s_and_saveexec_b64 s[36:37], vcc
	s_xor_b64 s[36:37], exec, s[36:37]
	s_cbranch_execz .LBB6_861
; %bb.858:
	s_movk_i32 s34, 0x80
	v_cmp_eq_u16_e32 vcc, s34, v4
	s_mov_b64 s[34:35], -1
	s_and_saveexec_b64 s[38:39], vcc
; %bb.859:
	s_xor_b64 s[34:35], exec, -1
; %bb.860:
	s_or_b64 exec, exec, s[38:39]
	s_and_b64 s[34:35], s[34:35], exec
.LBB6_861:
	s_or_saveexec_b64 s[36:37], s[36:37]
	v_bfrev_b32_e32 v2, 4
	v_mov_b32_e32 v3, 0x7ff80000
	s_xor_b64 exec, exec, s[36:37]
; %bb.862:
	v_cmp_ne_u16_e32 vcc, 0, v4
	v_mov_b32_e32 v2, 0
	s_andn2_b64 s[34:35], s[34:35], exec
	s_and_b64 s[38:39], vcc, exec
	v_mov_b32_e32 v3, 0
	s_or_b64 s[34:35], s[34:35], s[38:39]
; %bb.863:
	s_or_b64 exec, exec, s[36:37]
	s_and_saveexec_b64 s[36:37], s[34:35]
	s_cbranch_execz .LBB6_865
; %bb.864:
	v_and_b32_e32 v3, 0xffff, v4
	v_lshlrev_b32_e32 v2, 24, v4
	v_and_b32_e32 v4, 3, v3
	v_ffbh_u32_e32 v6, v4
	v_min_u32_e32 v6, 32, v6
	v_subrev_u32_e32 v7, 29, v6
	v_bfe_u32 v5, v3, 2, 5
	v_lshlrev_b32_e32 v3, v7, v3
	v_sub_u32_e32 v6, 30, v6
	v_and_b32_e32 v3, 3, v3
	v_cmp_eq_u32_e32 vcc, 0, v5
	v_cndmask_b32_e32 v5, v5, v6, vcc
	v_cndmask_b32_e32 v3, v4, v3, vcc
	v_mov_b32_e32 v4, 0x37800000
	v_lshlrev_b32_e32 v3, 21, v3
	v_and_b32_e32 v2, 0x80000000, v2
	v_lshl_add_u32 v4, v5, 23, v4
	v_or3_b32 v2, v2, v4, v3
	v_cvt_f64_f32_e32 v[2:3], v2
.LBB6_865:
	s_or_b64 exec, exec, s[36:37]
	s_mov_b64 s[34:35], 0
	s_branch .LBB6_869
.LBB6_866:
	s_mov_b64 s[34:35], -1
                                        ; implicit-def: $vgpr2_vgpr3
	s_branch .LBB6_875
.LBB6_867:
	s_mov_b64 s[34:35], -1
                                        ; implicit-def: $vgpr2_vgpr3
	s_branch .LBB6_872
.LBB6_868:
	s_mov_b64 s[34:35], -1
                                        ; implicit-def: $vgpr2_vgpr3
.LBB6_869:
	s_and_b64 vcc, exec, s[34:35]
	s_cbranch_vccz .LBB6_871
; %bb.870:
	global_load_ubyte v2, v[0:1], off
	s_mov_b32 s34, 0x7f800000
	s_waitcnt vmcnt(0)
	v_lshlrev_b32_e32 v2, 24, v2
	v_and_b32_e32 v3, 0x7f000000, v2
	v_ffbh_u32_e32 v4, v3
	v_min_u32_e32 v4, 32, v4
	v_sub_u32_e64 v4, v4, 4 clamp
	v_lshlrev_b32_e32 v6, v4, v3
	v_lshlrev_b32_e32 v4, 23, v4
	v_lshrrev_b32_e32 v6, 4, v6
	v_add_u32_e32 v5, 0x1000000, v3
	v_sub_u32_e32 v4, v6, v4
	v_ashrrev_i32_e32 v5, 8, v5
	v_add_u32_e32 v4, 0x3c000000, v4
	v_and_or_b32 v4, v5, s34, v4
	v_cmp_ne_u32_e32 vcc, 0, v3
	v_cndmask_b32_e32 v3, 0, v4, vcc
	s_brev_b32 s34, 1
	v_and_or_b32 v2, v2, s34, v3
	v_cvt_f64_f32_e32 v[2:3], v2
.LBB6_871:
	s_mov_b64 s[34:35], 0
.LBB6_872:
	s_andn2_b64 vcc, exec, s[34:35]
	s_cbranch_vccnz .LBB6_874
; %bb.873:
	global_load_ubyte v2, v[0:1], off
	s_movk_i32 s34, 0x7f00
	s_brev_b32 s35, 16
	s_waitcnt vmcnt(0)
	v_lshlrev_b16_e32 v3, 8, v2
	v_lshlrev_b32_e32 v2, 25, v2
	v_lshrrev_b32_e32 v4, 4, v2
	v_and_or_b32 v5, v3, s34, 0.5
	v_or_b32_e32 v4, 0x70000000, v4
	v_add_f32_e32 v5, -0.5, v5
	v_mul_f32_e32 v4, 0x7800000, v4
	v_cmp_gt_u32_e32 vcc, s35, v2
	v_bfe_i32 v3, v3, 0, 16
	v_cndmask_b32_e32 v2, v4, v5, vcc
	s_brev_b32 s34, 1
	v_and_or_b32 v2, v3, s34, v2
	v_cvt_f64_f32_e32 v[2:3], v2
.LBB6_874:
	s_mov_b64 s[34:35], 0
	s_mov_b64 s[36:37], -1
.LBB6_875:
	s_andn2_b64 vcc, exec, s[34:35]
	s_mov_b64 s[34:35], 0
	s_cbranch_vccnz .LBB6_884
; %bb.876:
	s_cmp_gt_i32 s43, 14
	s_cbranch_scc0 .LBB6_879
; %bb.877:
	s_cmp_eq_u32 s43, 15
	s_cbranch_scc0 .LBB6_880
; %bb.878:
	global_load_ushort v2, v[0:1], off
	s_mov_b64 s[30:31], 0
	s_mov_b64 s[36:37], -1
	s_waitcnt vmcnt(0)
	v_lshlrev_b32_e32 v2, 16, v2
	v_cvt_f64_f32_e32 v[2:3], v2
	s_branch .LBB6_881
.LBB6_879:
	s_mov_b64 s[38:39], -1
                                        ; implicit-def: $vgpr2_vgpr3
	s_branch .LBB6_882
.LBB6_880:
	s_mov_b64 s[30:31], -1
                                        ; implicit-def: $vgpr2_vgpr3
.LBB6_881:
	s_mov_b64 s[38:39], 0
.LBB6_882:
	s_and_b64 vcc, exec, s[38:39]
	s_cbranch_vccz .LBB6_884
; %bb.883:
	s_cmp_lg_u32 s43, 11
	s_cselect_b64 s[38:39], -1, 0
	s_andn2_b64 s[30:31], s[30:31], exec
	s_and_b64 s[38:39], s[38:39], exec
	s_mov_b64 s[34:35], -1
	s_or_b64 s[30:31], s[30:31], s[38:39]
.LBB6_884:
	s_mov_b64 s[38:39], 0
.LBB6_885:
	s_and_b64 s[40:41], s[38:39], exec
	s_andn2_b64 s[38:39], s[0:1], exec
	s_and_b64 s[30:31], s[30:31], exec
	s_and_b64 s[36:37], s[36:37], exec
	;; [unrolled: 1-line block ×3, first 2 shown]
	s_or_b64 s[38:39], s[38:39], s[30:31]
.LBB6_886:
	s_or_b64 exec, exec, s[26:27]
	s_and_b64 s[30:31], s[34:35], exec
	s_andn2_b64 s[0:1], s[0:1], exec
	s_and_b64 s[34:35], s[38:39], exec
	s_and_b64 s[36:37], s[36:37], exec
	;; [unrolled: 1-line block ×3, first 2 shown]
	s_or_b64 s[0:1], s[0:1], s[34:35]
.LBB6_887:
	s_or_b64 exec, exec, s[24:25]
	s_andn2_b64 s[20:21], s[20:21], exec
	s_and_b64 s[24:25], s[28:29], exec
	s_andn2_b64 s[18:19], s[18:19], exec
	s_and_b64 s[0:1], s[0:1], exec
	s_or_b64 s[20:21], s[20:21], s[24:25]
	s_and_b64 s[28:29], s[36:37], exec
	s_and_b64 s[26:27], s[26:27], exec
	;; [unrolled: 1-line block ×3, first 2 shown]
	s_or_b64 s[18:19], s[18:19], s[0:1]
.LBB6_888:
	s_or_b64 exec, exec, s[22:23]
	s_andn2_b64 s[0:1], s[6:7], exec
	s_and_b64 s[6:7], s[20:21], exec
	s_andn2_b64 s[14:15], s[14:15], exec
	s_and_b64 s[18:19], s[18:19], exec
	s_or_b64 s[6:7], s[0:1], s[6:7]
	s_and_b64 s[0:1], s[28:29], exec
	s_and_b64 s[22:23], s[26:27], exec
	;; [unrolled: 1-line block ×3, first 2 shown]
	s_or_b64 s[14:15], s[14:15], s[18:19]
	s_or_b64 exec, exec, s[16:17]
	s_mov_b64 s[16:17], 0
	s_and_saveexec_b64 s[18:19], s[14:15]
	s_cbranch_execz .LBB6_272
.LBB6_889:
	s_mov_b64 s[16:17], exec
	s_andn2_b64 s[20:21], s[20:21], exec
	s_trap 2
	s_or_b64 exec, exec, s[18:19]
	s_and_saveexec_b64 s[14:15], s[20:21]
	s_xor_b64 s[14:15], exec, s[14:15]
	s_cbranch_execnz .LBB6_273
.LBB6_890:
	s_or_b64 exec, exec, s[14:15]
	s_and_saveexec_b64 s[14:15], s[22:23]
	s_cbranch_execz .LBB6_936
.LBB6_891:
	s_sext_i32_i16 s18, s42
	s_cmp_lt_i32 s18, 5
	s_cbranch_scc1 .LBB6_896
; %bb.892:
	s_cmp_lt_i32 s18, 8
	s_cbranch_scc1 .LBB6_897
; %bb.893:
	;; [unrolled: 3-line block ×3, first 2 shown]
	s_cmp_gt_i32 s18, 9
	s_cbranch_scc0 .LBB6_899
; %bb.895:
	global_load_dwordx2 v[2:3], v[0:1], off
	s_mov_b64 s[18:19], 0
	s_branch .LBB6_900
.LBB6_896:
                                        ; implicit-def: $vgpr2_vgpr3
	s_branch .LBB6_917
.LBB6_897:
                                        ; implicit-def: $vgpr2_vgpr3
	s_branch .LBB6_906
.LBB6_898:
	s_mov_b64 s[18:19], -1
                                        ; implicit-def: $vgpr2_vgpr3
	s_branch .LBB6_903
.LBB6_899:
	s_mov_b64 s[18:19], -1
                                        ; implicit-def: $vgpr2_vgpr3
.LBB6_900:
	s_andn2_b64 vcc, exec, s[18:19]
	s_cbranch_vccnz .LBB6_902
; %bb.901:
	global_load_dword v2, v[0:1], off
	s_waitcnt vmcnt(0)
	v_cvt_f64_f32_e32 v[2:3], v2
.LBB6_902:
	s_mov_b64 s[18:19], 0
.LBB6_903:
	s_andn2_b64 vcc, exec, s[18:19]
	s_cbranch_vccnz .LBB6_905
; %bb.904:
	global_load_dword v2, v[0:1], off
	s_waitcnt vmcnt(0)
	v_cvt_f32_f16_e32 v2, v2
	v_cvt_f64_f32_e32 v[2:3], v2
.LBB6_905:
	s_cbranch_execnz .LBB6_916
.LBB6_906:
	s_sext_i32_i16 s18, s42
	s_cmp_lt_i32 s18, 6
	s_cbranch_scc1 .LBB6_909
; %bb.907:
	s_cmp_gt_i32 s18, 6
	s_cbranch_scc0 .LBB6_910
; %bb.908:
	global_load_dwordx2 v[2:3], v[0:1], off
	s_mov_b64 s[18:19], 0
	s_branch .LBB6_911
.LBB6_909:
	s_mov_b64 s[18:19], -1
                                        ; implicit-def: $vgpr2_vgpr3
	s_branch .LBB6_914
.LBB6_910:
	s_mov_b64 s[18:19], -1
                                        ; implicit-def: $vgpr2_vgpr3
.LBB6_911:
	s_andn2_b64 vcc, exec, s[18:19]
	s_cbranch_vccnz .LBB6_913
; %bb.912:
	global_load_dword v2, v[0:1], off
	s_waitcnt vmcnt(0)
	v_cvt_f64_f32_e32 v[2:3], v2
.LBB6_913:
	s_mov_b64 s[18:19], 0
.LBB6_914:
	s_andn2_b64 vcc, exec, s[18:19]
	s_cbranch_vccnz .LBB6_916
; %bb.915:
	global_load_ushort v2, v[0:1], off
	s_waitcnt vmcnt(0)
	v_cvt_f32_f16_e32 v2, v2
	v_cvt_f64_f32_e32 v[2:3], v2
.LBB6_916:
	s_cbranch_execnz .LBB6_935
.LBB6_917:
	s_sext_i32_i16 s18, s42
	s_cmp_lt_i32 s18, 2
	s_cbranch_scc1 .LBB6_921
; %bb.918:
	s_cmp_lt_i32 s18, 3
	s_cbranch_scc1 .LBB6_922
; %bb.919:
	s_cmp_gt_i32 s18, 3
	s_cbranch_scc0 .LBB6_923
; %bb.920:
	global_load_dwordx2 v[2:3], v[0:1], off
	s_mov_b64 s[18:19], 0
	s_waitcnt vmcnt(0)
	v_cvt_f64_i32_e32 v[3:4], v3
	v_cvt_f64_u32_e32 v[5:6], v2
	v_ldexp_f64 v[3:4], v[3:4], 32
	v_add_f64 v[2:3], v[3:4], v[5:6]
	s_branch .LBB6_924
.LBB6_921:
                                        ; implicit-def: $vgpr2_vgpr3
	s_branch .LBB6_930
.LBB6_922:
	s_mov_b64 s[18:19], -1
                                        ; implicit-def: $vgpr2_vgpr3
	s_branch .LBB6_927
.LBB6_923:
	s_mov_b64 s[18:19], -1
                                        ; implicit-def: $vgpr2_vgpr3
.LBB6_924:
	s_andn2_b64 vcc, exec, s[18:19]
	s_cbranch_vccnz .LBB6_926
; %bb.925:
	global_load_dword v2, v[0:1], off
	s_waitcnt vmcnt(0)
	v_cvt_f64_i32_e32 v[2:3], v2
.LBB6_926:
	s_mov_b64 s[18:19], 0
.LBB6_927:
	s_andn2_b64 vcc, exec, s[18:19]
	s_cbranch_vccnz .LBB6_929
; %bb.928:
	global_load_sshort v2, v[0:1], off
	s_waitcnt vmcnt(0)
	v_cvt_f64_i32_e32 v[2:3], v2
.LBB6_929:
	s_cbranch_execnz .LBB6_935
.LBB6_930:
	s_sext_i32_i16 s18, s42
	s_cmp_gt_i32 s18, 0
	s_cbranch_scc0 .LBB6_932
; %bb.931:
	global_load_sbyte v2, v[0:1], off
	s_mov_b64 s[18:19], 0
	s_waitcnt vmcnt(0)
	v_cvt_f64_i32_e32 v[2:3], v2
	s_branch .LBB6_933
.LBB6_932:
	s_mov_b64 s[18:19], -1
                                        ; implicit-def: $vgpr2_vgpr3
.LBB6_933:
	s_andn2_b64 vcc, exec, s[18:19]
	s_cbranch_vccnz .LBB6_935
; %bb.934:
	global_load_ubyte v0, v[0:1], off
	s_waitcnt vmcnt(0)
	v_cvt_f64_u32_e32 v[2:3], v0
.LBB6_935:
	s_or_b64 s[0:1], s[0:1], exec
.LBB6_936:
	s_or_b64 exec, exec, s[14:15]
	s_mov_b64 s[20:21], 0
	s_mov_b64 s[18:19], 0
                                        ; implicit-def: $sgpr26
                                        ; implicit-def: $vgpr4_vgpr5
                                        ; implicit-def: $vgpr0_vgpr1
	s_and_saveexec_b64 s[14:15], s[0:1]
	s_cbranch_execz .LBB6_954
; %bb.937:
	s_mov_b32 s0, 0
	s_mov_b32 s1, 0x7ff00000
	s_waitcnt vmcnt(0)
	v_cmp_neq_f64_e64 s[0:1], |v[2:3]|, s[0:1]
	v_mov_b32_e32 v0, 0
	v_mov_b32_e32 v1, 0
	s_and_saveexec_b64 s[18:19], s[0:1]
	s_cbranch_execz .LBB6_947
; %bb.938:
	v_cmp_nlt_f64_e64 s[0:1], |v[2:3]|, 0.5
                                        ; implicit-def: $vgpr0_vgpr1
	s_and_saveexec_b64 s[20:21], s[0:1]
	s_xor_b64 s[20:21], exec, s[20:21]
	s_cbranch_execz .LBB6_944
; %bb.939:
	s_mov_b32 s0, 0
	s_mov_b32 s1, 0x41d00000
	v_cmp_nlt_f64_e64 s[0:1], |v[2:3]|, s[0:1]
                                        ; implicit-def: $vgpr6
                                        ; implicit-def: $vgpr0_vgpr1
                                        ; implicit-def: $vgpr4_vgpr5
	s_and_saveexec_b64 s[22:23], s[0:1]
	s_xor_b64 s[22:23], exec, s[22:23]
	s_cbranch_execz .LBB6_941
; %bb.940:
	v_trig_preop_f64 v[0:1], |v[2:3]|, 0
	s_mov_b32 s0, 0
	s_mov_b32 s1, 0x7b000000
	s_movk_i32 s24, 0xff80
	v_ldexp_f64 v[6:7], |v[2:3]|, s24
	v_cmp_ge_f64_e64 vcc, |v[2:3]|, s[0:1]
	v_trig_preop_f64 v[4:5], |v[2:3]|, 1
	v_and_b32_e32 v8, 0x7fffffff, v3
	v_trig_preop_f64 v[15:16], |v[2:3]|, 2
	s_mov_b32 s0, 0
	s_mov_b32 s1, 0x7ff00000
	v_mov_b32_e32 v26, 0x40100000
	v_mov_b32_e32 v25, 0
	v_cndmask_b32_e32 v7, v8, v7, vcc
	v_cndmask_b32_e32 v6, v2, v6, vcc
	s_mov_b32 s24, 0x33145c07
	v_mul_f64 v[8:9], v[0:1], v[6:7]
	s_mov_b32 s25, 0x3c91a626
	v_mul_f64 v[10:11], v[4:5], v[6:7]
	v_mul_f64 v[21:22], v[15:16], v[6:7]
	v_fma_f64 v[0:1], v[0:1], v[6:7], -v[8:9]
	v_fma_f64 v[4:5], v[4:5], v[6:7], -v[10:11]
	;; [unrolled: 1-line block ×3, first 2 shown]
	v_add_f64 v[12:13], v[10:11], v[0:1]
	v_add_f64 v[17:18], v[12:13], -v[10:11]
	v_add_f64 v[23:24], v[8:9], v[12:13]
	v_add_f64 v[19:20], v[12:13], -v[17:18]
	v_add_f64 v[0:1], v[0:1], -v[17:18]
	v_add_f64 v[17:18], v[21:22], v[4:5]
	v_add_f64 v[8:9], v[23:24], -v[8:9]
	v_add_f64 v[10:11], v[10:11], -v[19:20]
	v_ldexp_f64 v[19:20], v[23:24], -2
	v_add_f64 v[27:28], v[17:18], -v[21:22]
	v_add_f64 v[8:9], v[12:13], -v[8:9]
	v_add_f64 v[0:1], v[0:1], v[10:11]
	v_fract_f64_e32 v[10:11], v[19:20]
	v_cmp_neq_f64_e64 vcc, |v[19:20]|, s[0:1]
	v_add_f64 v[4:5], v[4:5], -v[27:28]
	v_add_f64 v[12:13], v[17:18], v[0:1]
	v_ldexp_f64 v[10:11], v[10:11], 2
	v_add_f64 v[19:20], v[8:9], v[12:13]
	v_cndmask_b32_e32 v11, 0, v11, vcc
	v_cndmask_b32_e32 v10, 0, v10, vcc
	v_add_f64 v[29:30], v[12:13], -v[17:18]
	v_add_f64 v[23:24], v[19:20], v[10:11]
	v_add_f64 v[8:9], v[19:20], -v[8:9]
	v_add_f64 v[31:32], v[12:13], -v[29:30]
	;; [unrolled: 1-line block ×3, first 2 shown]
	v_cmp_gt_f64_e32 vcc, 0, v[23:24]
	v_add_f64 v[23:24], v[17:18], -v[27:28]
	v_add_f64 v[8:9], v[12:13], -v[8:9]
	v_add_f64 v[17:18], v[17:18], -v[31:32]
	v_cndmask_b32_e32 v26, 0, v26, vcc
	v_add_f64 v[10:11], v[10:11], v[25:26]
	v_add_f64 v[23:24], v[21:22], -v[23:24]
	v_add_f64 v[0:1], v[0:1], v[17:18]
	v_add_f64 v[33:34], v[19:20], v[10:11]
	;; [unrolled: 1-line block ×3, first 2 shown]
	v_cvt_i32_f64_e32 v28, v[33:34]
	v_add_f64 v[0:1], v[4:5], v[0:1]
	v_cvt_f64_i32_e32 v[26:27], v28
	v_add_f64 v[10:11], v[10:11], -v[26:27]
	v_add_f64 v[0:1], v[6:7], v[0:1]
	v_add_f64 v[4:5], v[19:20], v[10:11]
	;; [unrolled: 1-line block ×3, first 2 shown]
	v_mov_b32_e32 v9, 0x3ff00000
	v_add_f64 v[6:7], v[4:5], -v[10:11]
	v_cmp_le_f64_e32 vcc, 0.5, v[4:5]
	v_add_f64 v[7:8], v[19:20], -v[6:7]
	v_cndmask_b32_e32 v26, 0, v9, vcc
	v_add_f64 v[4:5], v[4:5], -v[25:26]
	v_addc_co_u32_e64 v6, s[0:1], 0, v28, vcc
	s_mov_b32 s0, 0x54442d18
	s_mov_b32 s1, 0x3ff921fb
	v_add_f64 v[0:1], v[0:1], v[7:8]
	v_add_f64 v[7:8], v[4:5], v[0:1]
	v_mul_f64 v[9:10], v[7:8], s[0:1]
	v_add_f64 v[4:5], v[7:8], -v[4:5]
	v_fma_f64 v[11:12], v[7:8], s[0:1], -v[9:10]
	v_add_f64 v[0:1], v[0:1], -v[4:5]
	v_fma_f64 v[4:5], v[7:8], s[24:25], v[11:12]
	v_fma_f64 v[4:5], v[0:1], s[0:1], v[4:5]
	v_add_f64 v[0:1], v[9:10], v[4:5]
	v_add_f64 v[7:8], v[0:1], -v[9:10]
	v_add_f64 v[4:5], v[4:5], -v[7:8]
.LBB6_941:
	s_andn2_saveexec_b64 s[0:1], s[22:23]
	s_cbranch_execz .LBB6_943
; %bb.942:
	s_mov_b32 s22, 0x6dc9c883
	s_mov_b32 s23, 0x3fe45f30
	v_mul_f64 v[0:1], |v[2:3]|, s[22:23]
	s_mov_b32 s22, 0x54442d18
	s_mov_b32 s23, 0xbff921fb
	s_mov_b32 s25, 0xbc91a626
	s_mov_b32 s24, 0x33145c00
	v_rndne_f64_e32 v[6:7], v[0:1]
	v_fma_f64 v[0:1], v[6:7], s[22:23], |v[2:3]|
	v_mul_f64 v[4:5], v[6:7], s[24:25]
	s_mov_b32 s22, 0x252049c0
	s_mov_b32 s23, 0xb97b839a
	v_fma_f64 v[12:13], v[6:7], s[24:25], v[0:1]
	v_add_f64 v[8:9], v[0:1], v[4:5]
	s_mov_b32 s25, 0x3c91a626
	v_add_f64 v[10:11], v[0:1], -v[8:9]
	v_add_f64 v[8:9], v[8:9], -v[12:13]
	v_add_f64 v[0:1], v[10:11], v[4:5]
	v_fma_f64 v[4:5], v[6:7], s[24:25], v[4:5]
	v_add_f64 v[0:1], v[8:9], v[0:1]
	v_add_f64 v[0:1], v[0:1], -v[4:5]
	v_fma_f64 v[4:5], v[6:7], s[22:23], v[0:1]
	v_cvt_i32_f64_e32 v6, v[6:7]
	v_add_f64 v[0:1], v[12:13], v[4:5]
	v_add_f64 v[8:9], v[0:1], -v[12:13]
	v_add_f64 v[4:5], v[4:5], -v[8:9]
.LBB6_943:
	s_or_b64 exec, exec, s[0:1]
	v_mul_f64 v[7:8], v[0:1], v[0:1]
	s_mov_b32 s0, 0xf9a43bb8
	v_mov_b32_e32 v10, 0xb42fdfa7
	v_mov_b32_e32 v11, 0xbe5ae600
	s_mov_b32 s1, 0x3de5e0b2
	s_mov_b32 s22, 0x796cde01
	v_mov_b32_e32 v9, 0x9037ab78
	s_mov_b32 s23, 0x3ec71de3
	v_fma_f64 v[11:12], v[7:8], s[0:1], v[10:11]
	s_mov_b32 s0, 0x46cc5e42
	v_mov_b32_e32 v10, 0x3e21eeb6
	s_mov_b32 s1, 0xbda907db
	v_fma_f64 v[9:10], v[7:8], s[0:1], v[9:10]
	v_mul_f64 v[15:16], v[7:8], 0.5
	s_mov_b32 s0, 0xa17f65f6
	s_mov_b32 s24, 0x19e83e5c
	v_fma_f64 v[11:12], v[7:8], v[11:12], s[22:23]
	s_mov_b32 s1, 0xbe927e4f
	s_mov_b32 s25, 0xbf2a01a0
	;; [unrolled: 1-line block ×3, first 2 shown]
	v_fma_f64 v[9:10], v[7:8], v[9:10], s[0:1]
	v_add_f64 v[17:18], -v[15:16], 1.0
	s_mov_b32 s0, 0x11110bb3
	s_mov_b32 s23, 0x3efa01a0
	v_fma_f64 v[11:12], v[7:8], v[11:12], s[24:25]
	s_mov_b32 s1, 0x3f811111
	v_mul_f64 v[19:20], v[4:5], 0.5
	v_mul_f64 v[21:22], v[0:1], -v[7:8]
	v_fma_f64 v[9:10], v[7:8], v[9:10], s[22:23]
	v_add_f64 v[23:24], -v[17:18], 1.0
	v_fma_f64 v[11:12], v[7:8], v[11:12], s[0:1]
	s_mov_b32 s0, 0x16c16967
	s_mov_b32 s1, 0xbf56c16c
	v_fma_f64 v[9:10], v[7:8], v[9:10], s[0:1]
	v_add_f64 v[15:16], v[23:24], -v[15:16]
	s_mov_b32 s1, 0x3fa55555
	s_mov_b32 s0, 0x55555555
	v_fma_f64 v[11:12], v[21:22], v[11:12], v[19:20]
	v_mul_f64 v[19:20], v[7:8], v[7:8]
	v_fma_f64 v[9:10], v[7:8], v[9:10], s[0:1]
	v_fma_f64 v[15:16], v[0:1], -v[4:5], v[15:16]
	s_mov_b32 s1, 0xbfc55555
	v_fma_f64 v[4:5], v[7:8], v[11:12], -v[4:5]
	v_fma_f64 v[7:8], v[19:20], v[9:10], v[15:16]
	v_fma_f64 v[4:5], v[21:22], s[0:1], v[4:5]
	s_movk_i32 s0, 0x1f8
	v_cmp_class_f64_e64 s[0:1], v[2:3], s0
	v_add_f64 v[7:8], v[17:18], v[7:8]
	v_add_f64 v[0:1], v[0:1], -v[4:5]
	v_and_b32_e32 v4, 1, v6
	v_cmp_eq_u32_e32 vcc, 0, v4
	v_lshlrev_b32_e32 v4, 30, v6
	v_xor_b32_e32 v4, v4, v3
	v_and_b32_e32 v4, 0x80000000, v4
	v_mov_b32_e32 v5, 0x7ff80000
	v_cndmask_b32_e32 v1, v8, v1, vcc
	v_cndmask_b32_e32 v0, v7, v0, vcc
	v_xor_b32_e32 v1, v1, v4
	v_cndmask_b32_e64 v0, 0, v0, s[0:1]
	v_cndmask_b32_e64 v1, v5, v1, s[0:1]
	v_div_scale_f64 v[4:5], s[0:1], v[2:3], v[2:3], v[0:1]
	v_div_scale_f64 v[10:11], vcc, v[0:1], v[2:3], v[0:1]
	v_rcp_f64_e32 v[6:7], v[4:5]
	v_fma_f64 v[8:9], -v[4:5], v[6:7], 1.0
	v_fma_f64 v[6:7], v[6:7], v[8:9], v[6:7]
	v_fma_f64 v[8:9], -v[4:5], v[6:7], 1.0
	v_fma_f64 v[6:7], v[6:7], v[8:9], v[6:7]
	v_mul_f64 v[8:9], v[10:11], v[6:7]
	v_fma_f64 v[4:5], -v[4:5], v[8:9], v[10:11]
	v_div_fmas_f64 v[4:5], v[4:5], v[6:7], v[8:9]
	v_div_fixup_f64 v[0:1], v[4:5], v[2:3], v[0:1]
                                        ; implicit-def: $vgpr2_vgpr3
.LBB6_944:
	s_andn2_saveexec_b64 s[0:1], s[20:21]
	s_cbranch_execz .LBB6_946
; %bb.945:
	v_mul_f64 v[0:1], v[2:3], v[2:3]
	s_mov_b32 s20, 0x13a86d09
	v_mov_b32_e32 v2, 0x67f544e4
	v_mov_b32_e32 v3, 0xbe5ae645
	s_mov_b32 s21, 0x3de61246
	v_fma_f64 v[2:3], v[0:1], s[20:21], v[2:3]
	s_mov_b32 s20, 0xa556c734
	s_mov_b32 s21, 0x3ec71de3
	v_fma_f64 v[2:3], v[0:1], v[2:3], s[20:21]
	s_mov_b32 s20, 0x1a01a01a
	;; [unrolled: 3-line block ×4, first 2 shown]
	s_mov_b32 s21, 0xbfc55555
	v_fma_f64 v[2:3], v[0:1], v[2:3], s[20:21]
	v_fma_f64 v[0:1], v[0:1], v[2:3], 1.0
.LBB6_946:
	s_or_b64 exec, exec, s[0:1]
.LBB6_947:
	s_or_b64 exec, exec, s[18:19]
	v_mul_lo_u32 v2, v14, s2
	v_mov_b32_e32 v3, s9
	s_and_b32 s26, s33, 0xff
	s_cmp_lt_i32 s26, 11
	v_ashrrev_i32_e32 v5, 31, v2
	v_add_co_u32_e32 v4, vcc, s8, v2
	v_addc_co_u32_e32 v5, vcc, v3, v5, vcc
	s_cbranch_scc1 .LBB6_957
; %bb.948:
	s_and_b32 s27, 0xffff, s26
	s_mov_b64 s[20:21], -1
	s_cmp_gt_i32 s27, 25
	s_mov_b64 s[0:1], s[6:7]
	s_cbranch_scc0 .LBB6_985
; %bb.949:
	s_mov_b64 s[18:19], -1
	s_cmp_gt_i32 s27, 28
	s_mov_b64 s[0:1], s[6:7]
	s_cbranch_scc0 .LBB6_969
; %bb.950:
	s_cmp_gt_i32 s27, 43
	s_mov_b64 s[0:1], s[6:7]
	s_cbranch_scc0 .LBB6_965
; %bb.951:
	;; [unrolled: 4-line block ×3, first 2 shown]
	s_cmp_eq_u32 s27, 46
	s_mov_b64 s[0:1], -1
	s_cbranch_scc0 .LBB6_958
; %bb.953:
	v_cvt_f32_f64_e32 v2, v[0:1]
	s_movk_i32 s0, 0x7fff
	v_mov_b32_e32 v3, 0x7fc0
	s_mov_b64 s[18:19], 0
	v_bfe_u32 v6, v2, 16, 1
	v_cmp_o_f32_e32 vcc, v2, v2
	v_add3_u32 v2, v2, v6, s0
	v_cndmask_b32_sdwa v2, v3, v2, vcc dst_sel:DWORD dst_unused:UNUSED_PAD src0_sel:DWORD src1_sel:WORD_1
	global_store_dword v[4:5], v2, off
	s_mov_b64 s[0:1], 0
	s_branch .LBB6_959
.LBB6_954:
	s_or_b64 exec, exec, s[14:15]
	s_and_saveexec_b64 s[0:1], s[6:7]
	s_cbranch_execnz .LBB6_1027
.LBB6_955:
	s_or_b64 exec, exec, s[0:1]
	s_and_saveexec_b64 s[0:1], s[20:21]
	s_xor_b64 s[0:1], exec, s[0:1]
	s_cbranch_execz .LBB6_1028
.LBB6_956:
	v_cmp_neq_f64_e32 vcc, 0, v[0:1]
	s_waitcnt vmcnt(0)
	v_cndmask_b32_e64 v2, 0, 1, vcc
	global_store_byte v[4:5], v2, off
	s_or_b64 exec, exec, s[0:1]
	s_and_saveexec_b64 s[0:1], s[18:19]
	s_xor_b64 s[0:1], exec, s[0:1]
	s_cbranch_execz .LBB6_1066
	s_branch .LBB6_1029
.LBB6_957:
	s_mov_b64 s[20:21], 0
	s_mov_b64 s[18:19], -1
	s_mov_b64 s[0:1], s[6:7]
	s_branch .LBB6_1026
.LBB6_958:
	s_mov_b64 s[18:19], 0
.LBB6_959:
	s_and_b64 vcc, exec, s[18:19]
	s_cbranch_vccz .LBB6_964
; %bb.960:
	s_cmp_eq_u32 s27, 44
	s_mov_b64 s[0:1], -1
	s_cbranch_scc0 .LBB6_964
; %bb.961:
	v_cvt_f32_f64_e32 v2, v[0:1]
	s_movk_i32 s0, 0xff
	v_mov_b32_e32 v6, 0xff
	v_bfe_u32 v3, v2, 23, 8
	v_cmp_ne_u32_e32 vcc, s0, v3
	s_and_saveexec_b64 s[18:19], vcc
; %bb.962:
	s_mov_b32 s0, 0x3fffff
	v_lshrrev_b32_e32 v6, 23, v2
	v_and_b32_e32 v7, 0x400000, v2
	v_and_or_b32 v2, v2, s0, v3
	v_cmp_ne_u32_e32 vcc, 0, v7
	v_cmp_ne_u32_e64 s[0:1], 0, v2
	s_and_b64 s[0:1], vcc, s[0:1]
	v_cndmask_b32_e64 v2, 0, 1, s[0:1]
	v_add_u32_e32 v6, v6, v2
; %bb.963:
	s_or_b64 exec, exec, s[18:19]
	s_mov_b64 s[0:1], 0
	global_store_byte v[4:5], v6, off
.LBB6_964:
	s_mov_b64 s[18:19], 0
.LBB6_965:
	s_and_b64 vcc, exec, s[18:19]
	s_cbranch_vccz .LBB6_968
; %bb.966:
	s_cmp_eq_u32 s27, 29
	s_mov_b64 s[0:1], -1
	s_cbranch_scc0 .LBB6_968
; %bb.967:
	v_trunc_f64_e32 v[2:3], v[0:1]
	s_movk_i32 s0, 0xffe0
	s_mov_b64 s[18:19], 0
	v_ldexp_f64 v[6:7], v[2:3], s0
	s_mov_b32 s0, 0
	s_mov_b32 s1, 0xc1f00000
	v_floor_f64_e32 v[6:7], v[6:7]
	v_fma_f64 v[2:3], v[6:7], s[0:1], v[2:3]
	v_cvt_u32_f64_e32 v7, v[6:7]
	s_mov_b64 s[0:1], 0
	v_cvt_u32_f64_e32 v6, v[2:3]
	global_store_dwordx2 v[4:5], v[6:7], off
	s_branch .LBB6_969
.LBB6_968:
	s_mov_b64 s[18:19], 0
.LBB6_969:
	s_and_b64 vcc, exec, s[18:19]
	s_cbranch_vccz .LBB6_984
; %bb.970:
	s_cmp_lt_i32 s27, 27
	s_mov_b64 s[18:19], -1
	s_cbranch_scc1 .LBB6_976
; %bb.971:
	v_cvt_u32_f64_e32 v2, v[0:1]
	s_cmp_gt_i32 s27, 27
	s_cbranch_scc0 .LBB6_973
; %bb.972:
	s_mov_b64 s[18:19], 0
	global_store_dword v[4:5], v2, off
.LBB6_973:
	s_andn2_b64 vcc, exec, s[18:19]
	s_cbranch_vccnz .LBB6_975
; %bb.974:
	global_store_short v[4:5], v2, off
.LBB6_975:
	s_mov_b64 s[18:19], 0
.LBB6_976:
	s_andn2_b64 vcc, exec, s[18:19]
	s_cbranch_vccnz .LBB6_984
; %bb.977:
	v_cvt_f32_f64_e32 v2, v[0:1]
	s_mov_b32 s18, 0x43800000
	v_mov_b32_e32 v6, 0x80
	v_and_b32_e32 v3, 0x7fffffff, v2
	v_cmp_gt_u32_e32 vcc, s18, v3
	s_and_saveexec_b64 s[18:19], vcc
	s_cbranch_execz .LBB6_983
; %bb.978:
	s_mov_b32 s20, 0x3bffffff
	v_cmp_lt_u32_e32 vcc, s20, v3
	s_mov_b64 s[20:21], 0
                                        ; implicit-def: $vgpr3
	s_and_saveexec_b64 s[22:23], vcc
	s_xor_b64 s[22:23], exec, s[22:23]
	s_cbranch_execz .LBB6_1081
; %bb.979:
	v_bfe_u32 v3, v2, 20, 1
	s_mov_b32 s24, 0x487ffff
	v_add3_u32 v3, v2, v3, s24
	s_mov_b64 s[20:21], exec
	v_lshrrev_b32_e32 v3, 20, v3
	s_andn2_saveexec_b64 s[22:23], s[22:23]
	s_cbranch_execnz .LBB6_1082
.LBB6_980:
	s_or_b64 exec, exec, s[22:23]
	v_mov_b32_e32 v6, 0
	s_and_saveexec_b64 s[22:23], s[20:21]
.LBB6_981:
	v_lshrrev_b32_e32 v2, 24, v2
	s_movk_i32 s20, 0x80
	v_and_or_b32 v6, v2, s20, v3
.LBB6_982:
	s_or_b64 exec, exec, s[22:23]
.LBB6_983:
	s_or_b64 exec, exec, s[18:19]
	global_store_byte v[4:5], v6, off
.LBB6_984:
	s_mov_b64 s[20:21], 0
.LBB6_985:
	s_mov_b64 s[18:19], 0
	s_and_b64 vcc, exec, s[20:21]
	s_cbranch_vccz .LBB6_1025
; %bb.986:
	s_cmp_gt_i32 s27, 22
	s_mov_b64 s[20:21], -1
	s_cbranch_scc0 .LBB6_1018
; %bb.987:
	s_cmp_lt_i32 s27, 24
	s_cbranch_scc1 .LBB6_1007
; %bb.988:
	s_cmp_gt_i32 s27, 24
	s_cbranch_scc0 .LBB6_996
; %bb.989:
	v_cvt_f32_f64_e32 v2, v[0:1]
	s_mov_b32 s20, 0x47800000
	v_mov_b32_e32 v6, 0x80
	v_and_b32_e32 v3, 0x7fffffff, v2
	v_cmp_gt_u32_e32 vcc, s20, v3
	s_and_saveexec_b64 s[20:21], vcc
	s_cbranch_execz .LBB6_995
; %bb.990:
	s_mov_b32 s22, 0x37ffffff
	v_cmp_lt_u32_e32 vcc, s22, v3
	s_mov_b64 s[22:23], 0
                                        ; implicit-def: $vgpr3
	s_and_saveexec_b64 s[24:25], vcc
	s_xor_b64 s[24:25], exec, s[24:25]
	s_cbranch_execz .LBB6_1216
; %bb.991:
	v_bfe_u32 v3, v2, 21, 1
	s_mov_b32 s28, 0x88fffff
	v_add3_u32 v3, v2, v3, s28
	s_mov_b64 s[22:23], exec
	v_lshrrev_b32_e32 v3, 21, v3
	s_andn2_saveexec_b64 s[24:25], s[24:25]
	s_cbranch_execnz .LBB6_1217
.LBB6_992:
	s_or_b64 exec, exec, s[24:25]
	v_mov_b32_e32 v6, 0
	s_and_saveexec_b64 s[24:25], s[22:23]
.LBB6_993:
	v_lshrrev_b32_e32 v2, 24, v2
	s_movk_i32 s22, 0x80
	v_and_or_b32 v6, v2, s22, v3
.LBB6_994:
	s_or_b64 exec, exec, s[24:25]
.LBB6_995:
	s_or_b64 exec, exec, s[20:21]
	s_mov_b64 s[20:21], 0
	global_store_byte v[4:5], v6, off
.LBB6_996:
	s_and_b64 vcc, exec, s[20:21]
	s_cbranch_vccz .LBB6_1006
; %bb.997:
	v_cvt_f32_f64_e32 v2, v[0:1]
	s_mov_b32 s20, 0x43f00000
                                        ; implicit-def: $vgpr3
	v_and_b32_e32 v6, 0x7fffffff, v2
	v_cmp_gt_u32_e32 vcc, s20, v6
	s_and_saveexec_b64 s[20:21], vcc
	s_xor_b64 s[20:21], exec, s[20:21]
	s_cbranch_execz .LBB6_1003
; %bb.998:
	s_mov_b32 s22, 0x3c7fffff
	v_cmp_lt_u32_e32 vcc, s22, v6
                                        ; implicit-def: $vgpr3
	s_and_saveexec_b64 s[22:23], vcc
	s_xor_b64 s[22:23], exec, s[22:23]
; %bb.999:
	v_bfe_u32 v3, v2, 20, 1
	s_mov_b32 s24, 0x407ffff
	v_add3_u32 v3, v2, v3, s24
	v_lshrrev_b32_e32 v6, 20, v3
	v_and_b32_e32 v3, 0xff00000, v3
	s_mov_b32 s24, 0x7f00000
	v_mov_b32_e32 v7, 0x7e
	v_cmp_ne_u32_e32 vcc, s24, v3
	v_cndmask_b32_e32 v3, v7, v6, vcc
; %bb.1000:
	s_andn2_saveexec_b64 s[22:23], s[22:23]
; %bb.1001:
	s_mov_b32 s24, 0x46800000
	v_add_f32_e64 v3, |v2|, s24
; %bb.1002:
	s_or_b64 exec, exec, s[22:23]
                                        ; implicit-def: $vgpr6
.LBB6_1003:
	s_andn2_saveexec_b64 s[20:21], s[20:21]
; %bb.1004:
	s_mov_b32 s22, 0x7f800000
	v_mov_b32_e32 v3, 0x7e
	v_mov_b32_e32 v7, 0x7f
	v_cmp_lt_u32_e32 vcc, s22, v6
	v_cndmask_b32_e32 v3, v3, v7, vcc
; %bb.1005:
	s_or_b64 exec, exec, s[20:21]
	v_lshrrev_b32_e32 v2, 24, v2
	s_movk_i32 s20, 0x80
	v_and_or_b32 v2, v2, s20, v3
	global_store_byte v[4:5], v2, off
.LBB6_1006:
	s_mov_b64 s[20:21], 0
.LBB6_1007:
	s_andn2_b64 vcc, exec, s[20:21]
	s_cbranch_vccnz .LBB6_1017
; %bb.1008:
	v_cvt_f32_f64_e32 v2, v[0:1]
	s_mov_b32 s20, 0x47800000
                                        ; implicit-def: $vgpr3
	v_and_b32_e32 v6, 0x7fffffff, v2
	v_cmp_gt_u32_e32 vcc, s20, v6
	s_and_saveexec_b64 s[20:21], vcc
	s_xor_b64 s[20:21], exec, s[20:21]
	s_cbranch_execz .LBB6_1014
; %bb.1009:
	s_mov_b32 s22, 0x387fffff
	v_cmp_lt_u32_e32 vcc, s22, v6
                                        ; implicit-def: $vgpr3
	s_and_saveexec_b64 s[22:23], vcc
	s_xor_b64 s[22:23], exec, s[22:23]
; %bb.1010:
	v_bfe_u32 v3, v2, 21, 1
	s_mov_b32 s24, 0x80fffff
	v_add3_u32 v3, v2, v3, s24
	v_lshrrev_b32_e32 v3, 21, v3
; %bb.1011:
	s_andn2_saveexec_b64 s[22:23], s[22:23]
; %bb.1012:
	s_mov_b32 s24, 0x43000000
	v_add_f32_e64 v3, |v2|, s24
; %bb.1013:
	s_or_b64 exec, exec, s[22:23]
                                        ; implicit-def: $vgpr6
.LBB6_1014:
	s_andn2_saveexec_b64 s[20:21], s[20:21]
; %bb.1015:
	s_mov_b32 s22, 0x7f800000
	v_mov_b32_e32 v3, 0x7c
	v_mov_b32_e32 v7, 0x7f
	v_cmp_lt_u32_e32 vcc, s22, v6
	v_cndmask_b32_e32 v3, v3, v7, vcc
; %bb.1016:
	s_or_b64 exec, exec, s[20:21]
	v_lshrrev_b32_e32 v2, 24, v2
	s_movk_i32 s20, 0x80
	v_and_or_b32 v2, v2, s20, v3
	global_store_byte v[4:5], v2, off
.LBB6_1017:
	s_mov_b64 s[20:21], 0
.LBB6_1018:
	s_andn2_b64 vcc, exec, s[20:21]
	s_mov_b64 s[20:21], 0
	s_cbranch_vccnz .LBB6_1026
; %bb.1019:
	s_cmp_gt_i32 s27, 14
	s_mov_b64 s[22:23], -1
	s_cbranch_scc0 .LBB6_1023
; %bb.1020:
	s_cmp_eq_u32 s27, 15
	s_mov_b64 s[0:1], -1
	s_cbranch_scc0 .LBB6_1022
; %bb.1021:
	v_cvt_f32_f64_e32 v2, v[0:1]
	s_movk_i32 s0, 0x7fff
	v_mov_b32_e32 v3, 0x7fc0
	v_bfe_u32 v6, v2, 16, 1
	v_cmp_o_f32_e32 vcc, v2, v2
	v_add3_u32 v2, v2, v6, s0
	v_cndmask_b32_sdwa v2, v3, v2, vcc dst_sel:DWORD dst_unused:UNUSED_PAD src0_sel:DWORD src1_sel:WORD_1
	global_store_short v[4:5], v2, off
	s_mov_b64 s[0:1], 0
.LBB6_1022:
	s_mov_b64 s[22:23], 0
.LBB6_1023:
	s_and_b64 vcc, exec, s[22:23]
	s_cbranch_vccz .LBB6_1026
; %bb.1024:
	s_cmp_lg_u32 s27, 11
	s_cselect_b64 s[22:23], -1, 0
	s_andn2_b64 s[0:1], s[0:1], exec
	s_and_b64 s[22:23], s[22:23], exec
	s_mov_b64 s[20:21], -1
	s_or_b64 s[0:1], s[0:1], s[22:23]
	s_branch .LBB6_1026
.LBB6_1025:
	s_mov_b64 s[20:21], 0
.LBB6_1026:
	s_andn2_b64 s[6:7], s[6:7], exec
	s_and_b64 s[0:1], s[0:1], exec
	s_and_b64 s[18:19], s[18:19], exec
	s_and_b64 s[20:21], s[20:21], exec
	s_or_b64 s[6:7], s[6:7], s[0:1]
	s_or_b64 exec, exec, s[14:15]
	s_and_saveexec_b64 s[0:1], s[6:7]
	s_cbranch_execz .LBB6_955
.LBB6_1027:
	s_or_b64 s[16:17], s[16:17], exec
	s_andn2_b64 s[20:21], s[20:21], exec
	s_trap 2
	s_or_b64 exec, exec, s[0:1]
	s_and_saveexec_b64 s[0:1], s[20:21]
	s_xor_b64 s[0:1], exec, s[0:1]
	s_cbranch_execnz .LBB6_956
.LBB6_1028:
	s_or_b64 exec, exec, s[0:1]
	s_and_saveexec_b64 s[0:1], s[18:19]
	s_xor_b64 s[0:1], exec, s[0:1]
	s_cbranch_execz .LBB6_1066
.LBB6_1029:
	s_sext_i32_i16 s14, s26
	s_cmp_lt_i32 s14, 5
	s_mov_b64 s[6:7], -1
	s_cbranch_scc1 .LBB6_1050
; %bb.1030:
	s_cmp_lt_i32 s14, 8
	s_cbranch_scc1 .LBB6_1040
; %bb.1031:
	s_cmp_lt_i32 s14, 9
	s_cbranch_scc1 .LBB6_1037
; %bb.1032:
	s_cmp_gt_i32 s14, 9
	s_cbranch_scc0 .LBB6_1034
; %bb.1033:
	s_waitcnt vmcnt(0)
	v_mov_b32_e32 v2, 0
	v_mov_b32_e32 v3, v2
	s_mov_b64 s[6:7], 0
	global_store_dwordx4 v[4:5], v[0:3], off
.LBB6_1034:
	s_andn2_b64 vcc, exec, s[6:7]
	s_cbranch_vccnz .LBB6_1036
; %bb.1035:
	s_waitcnt vmcnt(0)
	v_cvt_f32_f64_e32 v2, v[0:1]
	v_mov_b32_e32 v3, 0
	global_store_dwordx2 v[4:5], v[2:3], off
.LBB6_1036:
	s_mov_b64 s[6:7], 0
.LBB6_1037:
	s_andn2_b64 vcc, exec, s[6:7]
	s_cbranch_vccnz .LBB6_1039
; %bb.1038:
	s_movk_i32 s6, 0x1ff
	s_waitcnt vmcnt(0)
	v_and_or_b32 v2, v1, s6, v0
	v_cmp_ne_u32_e32 vcc, 0, v2
	v_cndmask_b32_e64 v2, 0, 1, vcc
	v_lshrrev_b32_e32 v3, 8, v1
	s_movk_i32 s6, 0xffe
	v_bfe_u32 v6, v1, 20, 11
	v_and_or_b32 v2, v3, s6, v2
	v_sub_u32_e32 v7, 0x3f1, v6
	v_or_b32_e32 v3, 0x1000, v2
	v_med3_i32 v7, v7, 0, 13
	v_lshrrev_b32_e32 v8, v7, v3
	v_lshlrev_b32_e32 v7, v7, v8
	v_cmp_ne_u32_e32 vcc, v7, v3
	v_cndmask_b32_e64 v3, 0, 1, vcc
	v_add_u32_e32 v6, 0xfffffc10, v6
	v_or_b32_e32 v3, v8, v3
	v_lshl_or_b32 v7, v6, 12, v2
	v_cmp_gt_i32_e32 vcc, 1, v6
	v_cndmask_b32_e32 v3, v7, v3, vcc
	v_and_b32_e32 v7, 7, v3
	v_cmp_lt_i32_e32 vcc, 5, v7
	v_cndmask_b32_e64 v8, 0, 1, vcc
	v_cmp_eq_u32_e32 vcc, 3, v7
	v_cndmask_b32_e64 v7, 0, 1, vcc
	v_or_b32_e32 v7, v7, v8
	v_lshrrev_b32_e32 v3, 2, v3
	v_add_u32_e32 v3, v3, v7
	v_mov_b32_e32 v7, 0x7c00
	v_cmp_gt_i32_e32 vcc, 31, v6
	v_cndmask_b32_e32 v3, v7, v3, vcc
	v_mov_b32_e32 v8, 0x7e00
	v_cmp_ne_u32_e32 vcc, 0, v2
	s_movk_i32 s6, 0x40f
	v_cndmask_b32_e32 v2, v7, v8, vcc
	v_cmp_eq_u32_e32 vcc, s6, v6
	v_cndmask_b32_e32 v2, v3, v2, vcc
	v_lshrrev_b32_e32 v3, 16, v1
	s_mov_b32 s6, 0x8000
	v_and_or_b32 v2, v3, s6, v2
	v_and_b32_e32 v2, 0xffff, v2
	global_store_dword v[4:5], v2, off
.LBB6_1039:
	s_mov_b64 s[6:7], 0
.LBB6_1040:
	s_andn2_b64 vcc, exec, s[6:7]
	s_cbranch_vccnz .LBB6_1049
; %bb.1041:
	s_sext_i32_i16 s14, s26
	s_cmp_lt_i32 s14, 6
	s_mov_b64 s[6:7], -1
	s_cbranch_scc1 .LBB6_1047
; %bb.1042:
	s_cmp_gt_i32 s14, 6
	s_cbranch_scc0 .LBB6_1044
; %bb.1043:
	s_mov_b64 s[6:7], 0
	global_store_dwordx2 v[4:5], v[0:1], off
.LBB6_1044:
	s_andn2_b64 vcc, exec, s[6:7]
	s_cbranch_vccnz .LBB6_1046
; %bb.1045:
	s_waitcnt vmcnt(0)
	v_cvt_f32_f64_e32 v2, v[0:1]
	global_store_dword v[4:5], v2, off
.LBB6_1046:
	s_mov_b64 s[6:7], 0
.LBB6_1047:
	s_andn2_b64 vcc, exec, s[6:7]
	s_cbranch_vccnz .LBB6_1049
; %bb.1048:
	s_movk_i32 s6, 0x1ff
	s_waitcnt vmcnt(0)
	v_and_or_b32 v2, v1, s6, v0
	v_cmp_ne_u32_e32 vcc, 0, v2
	v_cndmask_b32_e64 v2, 0, 1, vcc
	v_lshrrev_b32_e32 v3, 8, v1
	s_movk_i32 s6, 0xffe
	v_bfe_u32 v6, v1, 20, 11
	v_and_or_b32 v2, v3, s6, v2
	v_sub_u32_e32 v7, 0x3f1, v6
	v_or_b32_e32 v3, 0x1000, v2
	v_med3_i32 v7, v7, 0, 13
	v_lshrrev_b32_e32 v8, v7, v3
	v_lshlrev_b32_e32 v7, v7, v8
	v_cmp_ne_u32_e32 vcc, v7, v3
	v_cndmask_b32_e64 v3, 0, 1, vcc
	v_add_u32_e32 v6, 0xfffffc10, v6
	v_or_b32_e32 v3, v8, v3
	v_lshl_or_b32 v7, v6, 12, v2
	v_cmp_gt_i32_e32 vcc, 1, v6
	v_cndmask_b32_e32 v3, v7, v3, vcc
	v_and_b32_e32 v7, 7, v3
	v_cmp_lt_i32_e32 vcc, 5, v7
	v_cndmask_b32_e64 v8, 0, 1, vcc
	v_cmp_eq_u32_e32 vcc, 3, v7
	v_cndmask_b32_e64 v7, 0, 1, vcc
	v_or_b32_e32 v7, v7, v8
	v_lshrrev_b32_e32 v3, 2, v3
	v_add_u32_e32 v3, v3, v7
	v_mov_b32_e32 v7, 0x7c00
	v_cmp_gt_i32_e32 vcc, 31, v6
	v_cndmask_b32_e32 v3, v7, v3, vcc
	v_mov_b32_e32 v8, 0x7e00
	v_cmp_ne_u32_e32 vcc, 0, v2
	s_movk_i32 s6, 0x40f
	v_cndmask_b32_e32 v2, v7, v8, vcc
	v_cmp_eq_u32_e32 vcc, s6, v6
	v_cndmask_b32_e32 v2, v3, v2, vcc
	v_lshrrev_b32_e32 v3, 16, v1
	s_mov_b32 s6, 0x8000
	v_and_or_b32 v2, v3, s6, v2
	global_store_short v[4:5], v2, off
.LBB6_1049:
	s_mov_b64 s[6:7], 0
.LBB6_1050:
	s_andn2_b64 vcc, exec, s[6:7]
	s_cbranch_vccnz .LBB6_1066
; %bb.1051:
	s_sext_i32_i16 s14, s26
	s_cmp_lt_i32 s14, 2
	s_mov_b64 s[6:7], -1
	s_cbranch_scc1 .LBB6_1061
; %bb.1052:
	s_cmp_lt_i32 s14, 3
	s_cbranch_scc1 .LBB6_1058
; %bb.1053:
	s_cmp_gt_i32 s14, 3
	s_cbranch_scc0 .LBB6_1055
; %bb.1054:
	s_waitcnt vmcnt(0)
	v_trunc_f64_e32 v[2:3], v[0:1]
	s_movk_i32 s6, 0xffe0
	v_ldexp_f64 v[6:7], v[2:3], s6
	s_mov_b32 s6, 0
	s_mov_b32 s7, 0xc1f00000
	v_floor_f64_e32 v[6:7], v[6:7]
	v_fma_f64 v[2:3], v[6:7], s[6:7], v[2:3]
	v_cvt_i32_f64_e32 v7, v[6:7]
	s_mov_b64 s[6:7], 0
	v_cvt_u32_f64_e32 v6, v[2:3]
	global_store_dwordx2 v[4:5], v[6:7], off
.LBB6_1055:
	s_andn2_b64 vcc, exec, s[6:7]
	s_cbranch_vccnz .LBB6_1057
; %bb.1056:
	s_waitcnt vmcnt(0)
	v_cvt_i32_f64_e32 v2, v[0:1]
	global_store_dword v[4:5], v2, off
.LBB6_1057:
	s_mov_b64 s[6:7], 0
.LBB6_1058:
	s_andn2_b64 vcc, exec, s[6:7]
	s_cbranch_vccnz .LBB6_1060
; %bb.1059:
	s_waitcnt vmcnt(0)
	v_cvt_i32_f64_e32 v2, v[0:1]
	global_store_short v[4:5], v2, off
.LBB6_1060:
	s_mov_b64 s[6:7], 0
.LBB6_1061:
	s_andn2_b64 vcc, exec, s[6:7]
	s_cbranch_vccnz .LBB6_1066
; %bb.1062:
	s_sext_i32_i16 s6, s26
	s_cmp_gt_i32 s6, 0
	s_mov_b64 s[6:7], -1
	s_cbranch_scc0 .LBB6_1064
; %bb.1063:
	s_waitcnt vmcnt(0)
	v_cvt_i32_f64_e32 v2, v[0:1]
	s_mov_b64 s[6:7], 0
	global_store_byte v[4:5], v2, off
.LBB6_1064:
	s_andn2_b64 vcc, exec, s[6:7]
	s_cbranch_vccnz .LBB6_1066
; %bb.1065:
	v_trunc_f64_e32 v[0:1], v[0:1]
	s_movk_i32 s6, 0xffe0
	s_waitcnt vmcnt(0)
	v_ldexp_f64 v[2:3], v[0:1], s6
	s_mov_b32 s6, 0
	s_mov_b32 s7, 0xc1f00000
	v_floor_f64_e32 v[2:3], v[2:3]
	v_fma_f64 v[0:1], v[2:3], s[6:7], v[0:1]
	v_cvt_u32_f64_e32 v0, v[0:1]
	global_store_byte v[4:5], v0, off
.LBB6_1066:
	s_or_b64 exec, exec, s[0:1]
	s_and_b64 s[6:7], s[16:17], exec
                                        ; implicit-def: $vgpr14
.LBB6_1067:
	s_or_saveexec_b64 s[4:5], s[4:5]
	s_mov_b64 s[0:1], 0
                                        ; implicit-def: $sgpr20
                                        ; implicit-def: $vgpr0_vgpr1
                                        ; implicit-def: $vgpr12_vgpr13
	s_xor_b64 exec, exec, s[4:5]
	s_cbranch_execz .LBB6_1701
; %bb.1068:
	v_mul_lo_u32 v6, s3, v14
	v_mov_b32_e32 v1, s11
	s_and_b32 s22, 0xffff, s42
	s_cmp_lt_i32 s22, 11
	s_waitcnt vmcnt(0)
	v_ashrrev_i32_e32 v2, 31, v6
	v_add_co_u32_e32 v0, vcc, s10, v6
	v_addc_co_u32_e32 v1, vcc, v1, v2, vcc
	s_cbranch_scc1 .LBB6_1075
; %bb.1069:
	s_cmp_gt_i32 s22, 25
	s_cbranch_scc0 .LBB6_1077
; %bb.1070:
	s_cmp_gt_i32 s22, 28
	s_cbranch_scc0 .LBB6_1078
	;; [unrolled: 3-line block ×4, first 2 shown]
; %bb.1073:
	s_cmp_eq_u32 s22, 46
	s_mov_b64 s[14:15], 0
	s_cbranch_scc0 .LBB6_1083
; %bb.1074:
	global_load_dword v2, v[0:1], off
	s_mov_b64 s[16:17], -1
	s_waitcnt vmcnt(0)
	v_lshlrev_b32_e32 v2, 16, v2
	v_cvt_f64_f32_e32 v[2:3], v2
	s_branch .LBB6_1084
.LBB6_1075:
	s_mov_b64 s[16:17], 0
                                        ; implicit-def: $vgpr2_vgpr3
	s_mov_b64 s[14:15], s[6:7]
	s_cbranch_execnz .LBB6_1147
.LBB6_1076:
	s_andn2_b64 vcc, exec, s[16:17]
	s_cbranch_vccz .LBB6_1192
	s_branch .LBB6_1698
.LBB6_1077:
	s_mov_b64 s[16:17], 0
                                        ; implicit-def: $vgpr2_vgpr3
	s_cbranch_execnz .LBB6_1114
	s_branch .LBB6_1143
.LBB6_1078:
	s_mov_b64 s[14:15], -1
	s_mov_b64 s[16:17], 0
                                        ; implicit-def: $vgpr2_vgpr3
	s_branch .LBB6_1093
.LBB6_1079:
	s_mov_b64 s[16:17], 0
                                        ; implicit-def: $vgpr2_vgpr3
	s_cbranch_execnz .LBB6_1089
	s_branch .LBB6_1092
.LBB6_1080:
	s_mov_b64 s[14:15], -1
	s_mov_b64 s[16:17], 0
                                        ; implicit-def: $vgpr2_vgpr3
	s_branch .LBB6_1084
.LBB6_1081:
	s_andn2_saveexec_b64 s[22:23], s[22:23]
	s_cbranch_execz .LBB6_980
.LBB6_1082:
	s_mov_b32 s24, 0x46000000
	v_add_f32_e64 v3, |v2|, s24
	v_and_b32_e32 v3, 0xff, v3
	v_cmp_ne_u32_e32 vcc, 0, v3
	s_andn2_b64 s[20:21], s[20:21], exec
	s_and_b64 s[24:25], vcc, exec
	s_or_b64 s[20:21], s[20:21], s[24:25]
	s_or_b64 exec, exec, s[22:23]
	v_mov_b32_e32 v6, 0
	s_and_saveexec_b64 s[22:23], s[20:21]
	s_cbranch_execnz .LBB6_981
	s_branch .LBB6_982
.LBB6_1083:
	s_mov_b64 s[0:1], -1
                                        ; implicit-def: $vgpr2_vgpr3
	s_mov_b64 s[16:17], 0
.LBB6_1084:
	s_and_b64 vcc, exec, s[14:15]
	s_cbranch_vccz .LBB6_1087
; %bb.1085:
	s_cmp_eq_u32 s22, 44
	s_cbranch_scc0 .LBB6_1088
; %bb.1086:
	global_load_ubyte v4, v[0:1], off
	s_movk_i32 s14, 0xff
	v_bfrev_b32_e32 v5, 4
	v_mov_b32_e32 v7, 0x7ff80000
	v_bfrev_b32_e32 v8, 28
	s_mov_b64 s[0:1], 0
	s_mov_b64 s[16:17], -1
	s_waitcnt vmcnt(0)
	v_lshlrev_b32_e32 v2, 23, v4
	v_cvt_f64_f32_e32 v[2:3], v2
	v_cmp_ne_u32_e32 vcc, s14, v4
	v_cndmask_b32_e32 v2, v5, v2, vcc
	v_cndmask_b32_e32 v3, v7, v3, vcc
	v_cmp_ne_u32_e32 vcc, 0, v4
	v_cndmask_b32_e32 v3, v8, v3, vcc
	v_cndmask_b32_e32 v2, 0, v2, vcc
.LBB6_1087:
	s_branch .LBB6_1092
.LBB6_1088:
	s_mov_b64 s[0:1], -1
                                        ; implicit-def: $vgpr2_vgpr3
	s_branch .LBB6_1092
.LBB6_1089:
	s_cmp_eq_u32 s22, 29
	s_cbranch_scc0 .LBB6_1091
; %bb.1090:
	global_load_dwordx2 v[2:3], v[0:1], off
	s_mov_b64 s[0:1], 0
	s_mov_b64 s[16:17], -1
	s_mov_b64 s[14:15], 0
	s_waitcnt vmcnt(0)
	v_cvt_f64_u32_e32 v[3:4], v3
	v_cvt_f64_u32_e32 v[7:8], v2
	v_ldexp_f64 v[3:4], v[3:4], 32
	v_add_f64 v[2:3], v[3:4], v[7:8]
	s_branch .LBB6_1093
.LBB6_1091:
	s_mov_b64 s[0:1], -1
                                        ; implicit-def: $vgpr2_vgpr3
.LBB6_1092:
	s_mov_b64 s[14:15], 0
.LBB6_1093:
	s_and_b64 vcc, exec, s[14:15]
	s_cbranch_vccz .LBB6_1113
; %bb.1094:
	s_cmp_lt_i32 s22, 27
	s_cbranch_scc1 .LBB6_1097
; %bb.1095:
	s_cmp_gt_i32 s22, 27
	s_cbranch_scc0 .LBB6_1098
; %bb.1096:
	global_load_dword v2, v[0:1], off
	s_mov_b64 s[14:15], 0
	s_waitcnt vmcnt(0)
	v_cvt_f64_u32_e32 v[2:3], v2
	s_branch .LBB6_1099
.LBB6_1097:
	s_mov_b64 s[14:15], -1
                                        ; implicit-def: $vgpr2_vgpr3
	s_branch .LBB6_1102
.LBB6_1098:
	s_mov_b64 s[14:15], -1
                                        ; implicit-def: $vgpr2_vgpr3
.LBB6_1099:
	s_andn2_b64 vcc, exec, s[14:15]
	s_cbranch_vccnz .LBB6_1101
; %bb.1100:
	global_load_ushort v2, v[0:1], off
	s_waitcnt vmcnt(0)
	v_cvt_f64_u32_e32 v[2:3], v2
.LBB6_1101:
	s_mov_b64 s[14:15], 0
.LBB6_1102:
	s_andn2_b64 vcc, exec, s[14:15]
	s_cbranch_vccnz .LBB6_1112
; %bb.1103:
	global_load_ubyte v4, v[0:1], off
	s_movk_i32 s14, 0x7f
	s_waitcnt vmcnt(0)
	v_cmp_lt_i16_e32 vcc, s14, v4
	s_mov_b64 s[14:15], 0
	s_and_saveexec_b64 s[16:17], vcc
	s_xor_b64 s[16:17], exec, s[16:17]
	s_cbranch_execz .LBB6_1107
; %bb.1104:
	s_movk_i32 s14, 0x80
	v_cmp_eq_u16_e32 vcc, s14, v4
	s_mov_b64 s[14:15], -1
	s_and_saveexec_b64 s[18:19], vcc
; %bb.1105:
	s_xor_b64 s[14:15], exec, -1
; %bb.1106:
	s_or_b64 exec, exec, s[18:19]
	s_and_b64 s[14:15], s[14:15], exec
.LBB6_1107:
	s_or_saveexec_b64 s[16:17], s[16:17]
	v_bfrev_b32_e32 v2, 4
	v_mov_b32_e32 v3, 0x7ff80000
	s_xor_b64 exec, exec, s[16:17]
; %bb.1108:
	v_cmp_ne_u16_e32 vcc, 0, v4
	v_mov_b32_e32 v2, 0
	s_andn2_b64 s[14:15], s[14:15], exec
	s_and_b64 s[18:19], vcc, exec
	v_mov_b32_e32 v3, 0
	s_or_b64 s[14:15], s[14:15], s[18:19]
; %bb.1109:
	s_or_b64 exec, exec, s[16:17]
	s_and_saveexec_b64 s[16:17], s[14:15]
	s_cbranch_execz .LBB6_1111
; %bb.1110:
	v_and_b32_e32 v3, 0xffff, v4
	v_lshlrev_b32_e32 v2, 24, v4
	v_and_b32_e32 v4, 7, v3
	v_ffbh_u32_e32 v7, v4
	v_min_u32_e32 v7, 32, v7
	v_subrev_u32_e32 v8, 28, v7
	v_bfe_u32 v5, v3, 3, 4
	v_lshlrev_b32_e32 v3, v8, v3
	v_sub_u32_e32 v7, 29, v7
	v_and_b32_e32 v3, 7, v3
	v_cmp_eq_u32_e32 vcc, 0, v5
	v_cndmask_b32_e32 v5, v5, v7, vcc
	v_cndmask_b32_e32 v3, v4, v3, vcc
	v_mov_b32_e32 v4, 0x3b800000
	v_lshlrev_b32_e32 v3, 20, v3
	v_and_b32_e32 v2, 0x80000000, v2
	v_lshl_add_u32 v4, v5, 23, v4
	v_or3_b32 v2, v2, v4, v3
	v_cvt_f64_f32_e32 v[2:3], v2
.LBB6_1111:
	s_or_b64 exec, exec, s[16:17]
.LBB6_1112:
	s_mov_b64 s[16:17], -1
.LBB6_1113:
	s_branch .LBB6_1143
.LBB6_1114:
	s_cmp_gt_i32 s22, 22
	s_cbranch_scc0 .LBB6_1126
; %bb.1115:
	s_cmp_lt_i32 s22, 24
	s_cbranch_scc1 .LBB6_1127
; %bb.1116:
	s_cmp_gt_i32 s22, 24
	s_cbranch_scc0 .LBB6_1128
; %bb.1117:
	global_load_ubyte v4, v[0:1], off
	s_movk_i32 s12, 0x7f
	s_waitcnt vmcnt(0)
	v_cmp_lt_i16_e32 vcc, s12, v4
	s_mov_b64 s[12:13], 0
	s_and_saveexec_b64 s[14:15], vcc
	s_xor_b64 s[14:15], exec, s[14:15]
	s_cbranch_execz .LBB6_1121
; %bb.1118:
	s_movk_i32 s12, 0x80
	v_cmp_eq_u16_e32 vcc, s12, v4
	s_mov_b64 s[12:13], -1
	s_and_saveexec_b64 s[16:17], vcc
; %bb.1119:
	s_xor_b64 s[12:13], exec, -1
; %bb.1120:
	s_or_b64 exec, exec, s[16:17]
	s_and_b64 s[12:13], s[12:13], exec
.LBB6_1121:
	s_or_saveexec_b64 s[14:15], s[14:15]
	v_bfrev_b32_e32 v2, 4
	v_mov_b32_e32 v3, 0x7ff80000
	s_xor_b64 exec, exec, s[14:15]
; %bb.1122:
	v_cmp_ne_u16_e32 vcc, 0, v4
	v_mov_b32_e32 v2, 0
	s_andn2_b64 s[12:13], s[12:13], exec
	s_and_b64 s[16:17], vcc, exec
	v_mov_b32_e32 v3, 0
	s_or_b64 s[12:13], s[12:13], s[16:17]
; %bb.1123:
	s_or_b64 exec, exec, s[14:15]
	s_and_saveexec_b64 s[14:15], s[12:13]
	s_cbranch_execz .LBB6_1125
; %bb.1124:
	v_and_b32_e32 v3, 0xffff, v4
	v_lshlrev_b32_e32 v2, 24, v4
	v_and_b32_e32 v4, 3, v3
	v_ffbh_u32_e32 v7, v4
	v_min_u32_e32 v7, 32, v7
	v_subrev_u32_e32 v8, 29, v7
	v_bfe_u32 v5, v3, 2, 5
	v_lshlrev_b32_e32 v3, v8, v3
	v_sub_u32_e32 v7, 30, v7
	v_and_b32_e32 v3, 3, v3
	v_cmp_eq_u32_e32 vcc, 0, v5
	v_cndmask_b32_e32 v5, v5, v7, vcc
	v_cndmask_b32_e32 v3, v4, v3, vcc
	v_mov_b32_e32 v4, 0x37800000
	v_lshlrev_b32_e32 v3, 21, v3
	v_and_b32_e32 v2, 0x80000000, v2
	v_lshl_add_u32 v4, v5, 23, v4
	v_or3_b32 v2, v2, v4, v3
	v_cvt_f64_f32_e32 v[2:3], v2
.LBB6_1125:
	s_or_b64 exec, exec, s[14:15]
	s_mov_b64 s[12:13], 0
	s_branch .LBB6_1129
.LBB6_1126:
                                        ; implicit-def: $vgpr2_vgpr3
	s_mov_b64 s[12:13], 0
	s_branch .LBB6_1135
.LBB6_1127:
	s_mov_b64 s[12:13], -1
                                        ; implicit-def: $vgpr2_vgpr3
	s_branch .LBB6_1132
.LBB6_1128:
	s_mov_b64 s[12:13], -1
                                        ; implicit-def: $vgpr2_vgpr3
.LBB6_1129:
	s_and_b64 vcc, exec, s[12:13]
	s_cbranch_vccz .LBB6_1131
; %bb.1130:
	global_load_ubyte v2, v[0:1], off
	s_mov_b32 s12, 0x7f800000
	s_waitcnt vmcnt(0)
	v_lshlrev_b32_e32 v2, 24, v2
	v_and_b32_e32 v3, 0x7f000000, v2
	v_ffbh_u32_e32 v4, v3
	v_min_u32_e32 v4, 32, v4
	v_sub_u32_e64 v4, v4, 4 clamp
	v_lshlrev_b32_e32 v7, v4, v3
	v_lshlrev_b32_e32 v4, 23, v4
	v_lshrrev_b32_e32 v7, 4, v7
	v_add_u32_e32 v5, 0x1000000, v3
	v_sub_u32_e32 v4, v7, v4
	v_ashrrev_i32_e32 v5, 8, v5
	v_add_u32_e32 v4, 0x3c000000, v4
	v_and_or_b32 v4, v5, s12, v4
	v_cmp_ne_u32_e32 vcc, 0, v3
	v_cndmask_b32_e32 v3, 0, v4, vcc
	s_brev_b32 s12, 1
	v_and_or_b32 v2, v2, s12, v3
	v_cvt_f64_f32_e32 v[2:3], v2
.LBB6_1131:
	s_mov_b64 s[12:13], 0
.LBB6_1132:
	s_andn2_b64 vcc, exec, s[12:13]
	s_cbranch_vccnz .LBB6_1134
; %bb.1133:
	global_load_ubyte v2, v[0:1], off
	s_movk_i32 s12, 0x7f00
	s_brev_b32 s13, 16
	s_waitcnt vmcnt(0)
	v_lshlrev_b16_e32 v3, 8, v2
	v_lshlrev_b32_e32 v2, 25, v2
	v_lshrrev_b32_e32 v4, 4, v2
	v_and_or_b32 v5, v3, s12, 0.5
	v_or_b32_e32 v4, 0x70000000, v4
	v_add_f32_e32 v5, -0.5, v5
	v_mul_f32_e32 v4, 0x7800000, v4
	v_cmp_gt_u32_e32 vcc, s13, v2
	v_bfe_i32 v3, v3, 0, 16
	v_cndmask_b32_e32 v2, v4, v5, vcc
	s_brev_b32 s12, 1
	v_and_or_b32 v2, v3, s12, v2
	v_cvt_f64_f32_e32 v[2:3], v2
.LBB6_1134:
	s_mov_b64 s[16:17], -1
	s_mov_b64 s[12:13], 0
	s_cbranch_execnz .LBB6_1143
.LBB6_1135:
	s_cmp_gt_i32 s22, 14
	s_cbranch_scc0 .LBB6_1138
; %bb.1136:
	s_cmp_eq_u32 s22, 15
	s_cbranch_scc0 .LBB6_1139
; %bb.1137:
	global_load_ushort v2, v[0:1], off
	s_mov_b64 s[0:1], 0
	s_mov_b64 s[16:17], -1
	s_waitcnt vmcnt(0)
	v_lshlrev_b32_e32 v2, 16, v2
	v_cvt_f64_f32_e32 v[2:3], v2
	s_branch .LBB6_1140
.LBB6_1138:
	s_mov_b64 s[14:15], -1
                                        ; implicit-def: $vgpr2_vgpr3
	s_branch .LBB6_1141
.LBB6_1139:
	s_mov_b64 s[0:1], -1
                                        ; implicit-def: $vgpr2_vgpr3
.LBB6_1140:
	s_mov_b64 s[14:15], 0
.LBB6_1141:
	s_and_b64 vcc, exec, s[14:15]
	s_cbranch_vccz .LBB6_1143
; %bb.1142:
	s_cmp_lg_u32 s22, 11
	s_mov_b64 s[12:13], -1
	s_cselect_b64 s[0:1], -1, 0
.LBB6_1143:
	s_and_b64 vcc, exec, s[0:1]
	s_mov_b64 s[14:15], s[6:7]
	s_cbranch_vccnz .LBB6_1214
; %bb.1144:
	s_andn2_b64 vcc, exec, s[12:13]
	s_cbranch_vccnz .LBB6_1146
.LBB6_1145:
	global_load_ubyte v3, v[0:1], off
	v_mov_b32_e32 v4, 0x3ff00000
	v_mov_b32_e32 v2, 0
	s_mov_b64 s[16:17], -1
	s_waitcnt vmcnt(0)
	v_cmp_ne_u16_e32 vcc, 0, v3
	v_cndmask_b32_e32 v3, 0, v4, vcc
.LBB6_1146:
	s_branch .LBB6_1076
.LBB6_1147:
	s_cmp_lt_i32 s22, 5
	s_cbranch_scc1 .LBB6_1152
; %bb.1148:
	s_cmp_lt_i32 s22, 8
	s_cbranch_scc1 .LBB6_1153
; %bb.1149:
	;; [unrolled: 3-line block ×3, first 2 shown]
	s_cmp_gt_i32 s22, 9
	s_cbranch_scc0 .LBB6_1155
; %bb.1151:
	global_load_dwordx2 v[2:3], v[0:1], off
	s_mov_b64 s[0:1], 0
	s_branch .LBB6_1156
.LBB6_1152:
                                        ; implicit-def: $vgpr2_vgpr3
	s_branch .LBB6_1173
.LBB6_1153:
                                        ; implicit-def: $vgpr2_vgpr3
	s_branch .LBB6_1162
.LBB6_1154:
	s_mov_b64 s[0:1], -1
                                        ; implicit-def: $vgpr2_vgpr3
	s_branch .LBB6_1159
.LBB6_1155:
	s_mov_b64 s[0:1], -1
                                        ; implicit-def: $vgpr2_vgpr3
.LBB6_1156:
	s_andn2_b64 vcc, exec, s[0:1]
	s_cbranch_vccnz .LBB6_1158
; %bb.1157:
	global_load_dword v2, v[0:1], off
	s_waitcnt vmcnt(0)
	v_cvt_f64_f32_e32 v[2:3], v2
.LBB6_1158:
	s_mov_b64 s[0:1], 0
.LBB6_1159:
	s_andn2_b64 vcc, exec, s[0:1]
	s_cbranch_vccnz .LBB6_1161
; %bb.1160:
	global_load_dword v2, v[0:1], off
	s_waitcnt vmcnt(0)
	v_cvt_f32_f16_e32 v2, v2
	v_cvt_f64_f32_e32 v[2:3], v2
.LBB6_1161:
	s_cbranch_execnz .LBB6_1172
.LBB6_1162:
	s_cmp_lt_i32 s22, 6
	s_cbranch_scc1 .LBB6_1165
; %bb.1163:
	s_cmp_gt_i32 s22, 6
	s_cbranch_scc0 .LBB6_1166
; %bb.1164:
	global_load_dwordx2 v[2:3], v[0:1], off
	s_mov_b64 s[0:1], 0
	s_branch .LBB6_1167
.LBB6_1165:
	s_mov_b64 s[0:1], -1
                                        ; implicit-def: $vgpr2_vgpr3
	s_branch .LBB6_1170
.LBB6_1166:
	s_mov_b64 s[0:1], -1
                                        ; implicit-def: $vgpr2_vgpr3
.LBB6_1167:
	s_andn2_b64 vcc, exec, s[0:1]
	s_cbranch_vccnz .LBB6_1169
; %bb.1168:
	global_load_dword v2, v[0:1], off
	s_waitcnt vmcnt(0)
	v_cvt_f64_f32_e32 v[2:3], v2
.LBB6_1169:
	s_mov_b64 s[0:1], 0
.LBB6_1170:
	s_andn2_b64 vcc, exec, s[0:1]
	s_cbranch_vccnz .LBB6_1172
; %bb.1171:
	global_load_ushort v2, v[0:1], off
	s_waitcnt vmcnt(0)
	v_cvt_f32_f16_e32 v2, v2
	v_cvt_f64_f32_e32 v[2:3], v2
.LBB6_1172:
	s_cbranch_execnz .LBB6_1191
.LBB6_1173:
	s_cmp_lt_i32 s22, 2
	s_cbranch_scc1 .LBB6_1177
; %bb.1174:
	s_cmp_lt_i32 s22, 3
	s_cbranch_scc1 .LBB6_1178
; %bb.1175:
	s_cmp_gt_i32 s22, 3
	s_cbranch_scc0 .LBB6_1179
; %bb.1176:
	global_load_dwordx2 v[2:3], v[0:1], off
	s_mov_b64 s[0:1], 0
	s_waitcnt vmcnt(0)
	v_cvt_f64_i32_e32 v[3:4], v3
	v_cvt_f64_u32_e32 v[7:8], v2
	v_ldexp_f64 v[3:4], v[3:4], 32
	v_add_f64 v[2:3], v[3:4], v[7:8]
	s_branch .LBB6_1180
.LBB6_1177:
                                        ; implicit-def: $vgpr2_vgpr3
	s_branch .LBB6_1186
.LBB6_1178:
	s_mov_b64 s[0:1], -1
                                        ; implicit-def: $vgpr2_vgpr3
	s_branch .LBB6_1183
.LBB6_1179:
	s_mov_b64 s[0:1], -1
                                        ; implicit-def: $vgpr2_vgpr3
.LBB6_1180:
	s_andn2_b64 vcc, exec, s[0:1]
	s_cbranch_vccnz .LBB6_1182
; %bb.1181:
	global_load_dword v2, v[0:1], off
	s_waitcnt vmcnt(0)
	v_cvt_f64_i32_e32 v[2:3], v2
.LBB6_1182:
	s_mov_b64 s[0:1], 0
.LBB6_1183:
	s_andn2_b64 vcc, exec, s[0:1]
	s_cbranch_vccnz .LBB6_1185
; %bb.1184:
	global_load_sshort v2, v[0:1], off
	s_waitcnt vmcnt(0)
	v_cvt_f64_i32_e32 v[2:3], v2
.LBB6_1185:
	s_cbranch_execnz .LBB6_1191
.LBB6_1186:
	s_cmp_gt_i32 s22, 0
	s_cbranch_scc0 .LBB6_1188
; %bb.1187:
	global_load_sbyte v2, v[0:1], off
	s_mov_b64 s[0:1], 0
	s_waitcnt vmcnt(0)
	v_cvt_f64_i32_e32 v[2:3], v2
	s_branch .LBB6_1189
.LBB6_1188:
	s_mov_b64 s[0:1], -1
                                        ; implicit-def: $vgpr2_vgpr3
.LBB6_1189:
	s_andn2_b64 vcc, exec, s[0:1]
	s_cbranch_vccnz .LBB6_1191
; %bb.1190:
	global_load_ubyte v0, v[0:1], off
	s_waitcnt vmcnt(0)
	v_cvt_f64_u32_e32 v[2:3], v0
.LBB6_1191:
.LBB6_1192:
	s_mov_b32 s0, 0
	s_mov_b32 s1, 0x7ff00000
	s_waitcnt vmcnt(0)
	v_cmp_neq_f64_e64 s[0:1], |v[2:3]|, s[0:1]
	v_mov_b32_e32 v0, 0
	v_mov_b32_e32 v1, 0
	s_and_saveexec_b64 s[12:13], s[0:1]
	s_cbranch_execz .LBB6_1202
; %bb.1193:
	v_cmp_nlt_f64_e64 s[0:1], |v[2:3]|, 0.5
                                        ; implicit-def: $vgpr0_vgpr1
	s_and_saveexec_b64 s[16:17], s[0:1]
	s_xor_b64 s[16:17], exec, s[16:17]
	s_cbranch_execz .LBB6_1199
; %bb.1194:
	s_mov_b32 s0, 0
	s_mov_b32 s1, 0x41d00000
	v_cmp_nlt_f64_e64 s[0:1], |v[2:3]|, s[0:1]
                                        ; implicit-def: $vgpr7
                                        ; implicit-def: $vgpr0_vgpr1
                                        ; implicit-def: $vgpr4_vgpr5
	s_and_saveexec_b64 s[18:19], s[0:1]
	s_xor_b64 s[18:19], exec, s[18:19]
	s_cbranch_execz .LBB6_1196
; %bb.1195:
	v_trig_preop_f64 v[0:1], |v[2:3]|, 0
	s_mov_b32 s0, 0
	s_mov_b32 s1, 0x7b000000
	s_movk_i32 s20, 0xff80
	v_ldexp_f64 v[7:8], |v[2:3]|, s20
	v_cmp_ge_f64_e64 vcc, |v[2:3]|, s[0:1]
	v_trig_preop_f64 v[4:5], |v[2:3]|, 1
	v_and_b32_e32 v9, 0x7fffffff, v3
	v_trig_preop_f64 v[17:18], |v[2:3]|, 2
	s_mov_b32 s0, 0
	s_mov_b32 s1, 0x7ff00000
	v_mov_b32_e32 v13, 0x40100000
	v_mov_b32_e32 v27, 0
	v_cndmask_b32_e32 v8, v9, v8, vcc
	v_cndmask_b32_e32 v7, v2, v7, vcc
	s_mov_b32 s20, 0x33145c07
	v_mul_f64 v[9:10], v[0:1], v[7:8]
	s_mov_b32 s21, 0x3c91a626
	v_mul_f64 v[11:12], v[4:5], v[7:8]
	v_mul_f64 v[23:24], v[17:18], v[7:8]
	v_fma_f64 v[0:1], v[0:1], v[7:8], -v[9:10]
	v_fma_f64 v[4:5], v[4:5], v[7:8], -v[11:12]
	;; [unrolled: 1-line block ×3, first 2 shown]
	v_add_f64 v[15:16], v[11:12], v[0:1]
	v_add_f64 v[19:20], v[15:16], -v[11:12]
	v_add_f64 v[25:26], v[9:10], v[15:16]
	v_add_f64 v[21:22], v[15:16], -v[19:20]
	v_add_f64 v[0:1], v[0:1], -v[19:20]
	v_add_f64 v[19:20], v[23:24], v[4:5]
	v_add_f64 v[9:10], v[25:26], -v[9:10]
	v_add_f64 v[11:12], v[11:12], -v[21:22]
	v_ldexp_f64 v[21:22], v[25:26], -2
	v_add_f64 v[29:30], v[19:20], -v[23:24]
	v_add_f64 v[9:10], v[15:16], -v[9:10]
	v_add_f64 v[0:1], v[0:1], v[11:12]
	v_fract_f64_e32 v[11:12], v[21:22]
	v_cmp_neq_f64_e64 vcc, |v[21:22]|, s[0:1]
	v_add_f64 v[4:5], v[4:5], -v[29:30]
	v_add_f64 v[15:16], v[19:20], v[0:1]
	v_ldexp_f64 v[11:12], v[11:12], 2
	v_add_f64 v[21:22], v[9:10], v[15:16]
	v_cndmask_b32_e32 v12, 0, v12, vcc
	v_cndmask_b32_e32 v11, 0, v11, vcc
	v_add_f64 v[31:32], v[15:16], -v[19:20]
	v_add_f64 v[25:26], v[21:22], v[11:12]
	v_add_f64 v[9:10], v[21:22], -v[9:10]
	v_add_f64 v[33:34], v[15:16], -v[31:32]
	;; [unrolled: 1-line block ×3, first 2 shown]
	v_cmp_gt_f64_e32 vcc, 0, v[25:26]
	v_add_f64 v[25:26], v[19:20], -v[29:30]
	v_add_f64 v[9:10], v[15:16], -v[9:10]
	;; [unrolled: 1-line block ×3, first 2 shown]
	v_cndmask_b32_e32 v28, 0, v13, vcc
	v_add_f64 v[11:12], v[11:12], v[27:28]
	v_add_f64 v[25:26], v[23:24], -v[25:26]
	v_add_f64 v[0:1], v[0:1], v[19:20]
	v_add_f64 v[28:29], v[21:22], v[11:12]
	;; [unrolled: 1-line block ×3, first 2 shown]
	v_cvt_i32_f64_e32 v13, v[28:29]
	v_add_f64 v[0:1], v[4:5], v[0:1]
	v_cvt_f64_i32_e32 v[28:29], v13
	v_add_f64 v[11:12], v[11:12], -v[28:29]
	v_add_f64 v[0:1], v[7:8], v[0:1]
	v_add_f64 v[4:5], v[21:22], v[11:12]
	;; [unrolled: 1-line block ×3, first 2 shown]
	v_mov_b32_e32 v10, 0x3ff00000
	v_add_f64 v[7:8], v[4:5], -v[11:12]
	v_cmp_le_f64_e32 vcc, 0.5, v[4:5]
	v_add_f64 v[8:9], v[21:22], -v[7:8]
	v_cndmask_b32_e32 v28, 0, v10, vcc
	v_add_f64 v[4:5], v[4:5], -v[27:28]
	v_addc_co_u32_e64 v7, s[0:1], 0, v13, vcc
	s_mov_b32 s0, 0x54442d18
	s_mov_b32 s1, 0x3ff921fb
	v_add_f64 v[0:1], v[0:1], v[8:9]
	v_add_f64 v[8:9], v[4:5], v[0:1]
	v_mul_f64 v[10:11], v[8:9], s[0:1]
	v_add_f64 v[4:5], v[8:9], -v[4:5]
	v_fma_f64 v[12:13], v[8:9], s[0:1], -v[10:11]
	v_add_f64 v[0:1], v[0:1], -v[4:5]
	v_fma_f64 v[4:5], v[8:9], s[20:21], v[12:13]
	v_fma_f64 v[4:5], v[0:1], s[0:1], v[4:5]
	v_add_f64 v[0:1], v[10:11], v[4:5]
	v_add_f64 v[8:9], v[0:1], -v[10:11]
	v_add_f64 v[4:5], v[4:5], -v[8:9]
.LBB6_1196:
	s_andn2_saveexec_b64 s[0:1], s[18:19]
	s_cbranch_execz .LBB6_1198
; %bb.1197:
	s_mov_b32 s18, 0x6dc9c883
	s_mov_b32 s19, 0x3fe45f30
	v_mul_f64 v[0:1], |v[2:3]|, s[18:19]
	s_mov_b32 s18, 0x54442d18
	s_mov_b32 s19, 0xbff921fb
	;; [unrolled: 1-line block ×4, first 2 shown]
	v_rndne_f64_e32 v[7:8], v[0:1]
	v_fma_f64 v[0:1], v[7:8], s[18:19], |v[2:3]|
	v_mul_f64 v[4:5], v[7:8], s[20:21]
	s_mov_b32 s18, 0x252049c0
	s_mov_b32 s19, 0xb97b839a
	v_fma_f64 v[15:16], v[7:8], s[20:21], v[0:1]
	v_add_f64 v[9:10], v[0:1], v[4:5]
	s_mov_b32 s21, 0x3c91a626
	v_add_f64 v[11:12], v[0:1], -v[9:10]
	v_add_f64 v[9:10], v[9:10], -v[15:16]
	v_add_f64 v[0:1], v[11:12], v[4:5]
	v_fma_f64 v[4:5], v[7:8], s[20:21], v[4:5]
	v_add_f64 v[0:1], v[9:10], v[0:1]
	v_add_f64 v[0:1], v[0:1], -v[4:5]
	v_fma_f64 v[4:5], v[7:8], s[18:19], v[0:1]
	v_cvt_i32_f64_e32 v7, v[7:8]
	v_add_f64 v[0:1], v[15:16], v[4:5]
	v_add_f64 v[9:10], v[0:1], -v[15:16]
	v_add_f64 v[4:5], v[4:5], -v[9:10]
.LBB6_1198:
	s_or_b64 exec, exec, s[0:1]
	v_mul_f64 v[8:9], v[0:1], v[0:1]
	s_mov_b32 s0, 0xf9a43bb8
	v_mov_b32_e32 v10, 0xb42fdfa7
	v_mov_b32_e32 v11, 0xbe5ae600
	s_mov_b32 s1, 0x3de5e0b2
	s_mov_b32 s18, 0x796cde01
	;; [unrolled: 1-line block ×3, first 2 shown]
	v_mov_b32_e32 v12, 0x9037ab78
	v_fma_f64 v[10:11], v[8:9], s[0:1], v[10:11]
	s_mov_b32 s0, 0x46cc5e42
	v_mov_b32_e32 v13, 0x3e21eeb6
	s_mov_b32 s1, 0xbda907db
	v_fma_f64 v[12:13], v[8:9], s[0:1], v[12:13]
	v_mul_f64 v[15:16], v[8:9], 0.5
	s_mov_b32 s0, 0x19e83e5c
	s_mov_b32 s20, 0xa17f65f6
	v_fma_f64 v[10:11], v[8:9], v[10:11], s[18:19]
	s_mov_b32 s1, 0xbf2a01a0
	s_mov_b32 s21, 0xbe927e4f
	;; [unrolled: 1-line block ×3, first 2 shown]
	v_fma_f64 v[12:13], v[8:9], v[12:13], s[20:21]
	v_add_f64 v[17:18], -v[15:16], 1.0
	s_mov_b32 s19, 0x3f811111
	v_mul_f64 v[19:20], v[4:5], 0.5
	v_fma_f64 v[10:11], v[8:9], v[10:11], s[0:1]
	s_mov_b32 s0, 0x19f4ec90
	s_mov_b32 s1, 0x3efa01a0
	v_mul_f64 v[21:22], v[0:1], -v[8:9]
	v_fma_f64 v[12:13], v[8:9], v[12:13], s[0:1]
	v_add_f64 v[23:24], -v[17:18], 1.0
	s_mov_b32 s0, 0x16c16967
	s_mov_b32 s1, 0xbf56c16c
	v_fma_f64 v[10:11], v[8:9], v[10:11], s[18:19]
	v_fma_f64 v[12:13], v[8:9], v[12:13], s[0:1]
	v_add_f64 v[15:16], v[23:24], -v[15:16]
	s_mov_b32 s1, 0x3fa55555
	s_mov_b32 s0, 0x55555555
	v_fma_f64 v[10:11], v[21:22], v[10:11], v[19:20]
	v_mul_f64 v[19:20], v[8:9], v[8:9]
	v_fma_f64 v[12:13], v[8:9], v[12:13], s[0:1]
	v_fma_f64 v[15:16], v[0:1], -v[4:5], v[15:16]
	s_mov_b32 s1, 0xbfc55555
	v_fma_f64 v[4:5], v[8:9], v[10:11], -v[4:5]
	v_fma_f64 v[8:9], v[19:20], v[12:13], v[15:16]
	v_fma_f64 v[4:5], v[21:22], s[0:1], v[4:5]
	s_movk_i32 s0, 0x1f8
	v_cmp_class_f64_e64 s[0:1], v[2:3], s0
	v_add_f64 v[8:9], v[17:18], v[8:9]
	v_add_f64 v[0:1], v[0:1], -v[4:5]
	v_and_b32_e32 v4, 1, v7
	v_cmp_eq_u32_e32 vcc, 0, v4
	v_lshlrev_b32_e32 v4, 30, v7
	v_xor_b32_e32 v4, v4, v3
	v_and_b32_e32 v4, 0x80000000, v4
	v_mov_b32_e32 v5, 0x7ff80000
	v_cndmask_b32_e32 v1, v9, v1, vcc
	v_cndmask_b32_e32 v0, v8, v0, vcc
	v_xor_b32_e32 v1, v1, v4
	v_cndmask_b32_e64 v0, 0, v0, s[0:1]
	v_cndmask_b32_e64 v1, v5, v1, s[0:1]
	v_div_scale_f64 v[4:5], s[0:1], v[2:3], v[2:3], v[0:1]
	v_div_scale_f64 v[11:12], vcc, v[0:1], v[2:3], v[0:1]
	v_rcp_f64_e32 v[7:8], v[4:5]
	v_fma_f64 v[9:10], -v[4:5], v[7:8], 1.0
	v_fma_f64 v[7:8], v[7:8], v[9:10], v[7:8]
	v_fma_f64 v[9:10], -v[4:5], v[7:8], 1.0
	v_fma_f64 v[7:8], v[7:8], v[9:10], v[7:8]
	v_mul_f64 v[9:10], v[11:12], v[7:8]
	v_fma_f64 v[4:5], -v[4:5], v[9:10], v[11:12]
	v_div_fmas_f64 v[4:5], v[4:5], v[7:8], v[9:10]
	v_div_fixup_f64 v[0:1], v[4:5], v[2:3], v[0:1]
                                        ; implicit-def: $vgpr2_vgpr3
.LBB6_1199:
	s_andn2_saveexec_b64 s[0:1], s[16:17]
	s_cbranch_execz .LBB6_1201
; %bb.1200:
	v_mul_f64 v[0:1], v[2:3], v[2:3]
	s_mov_b32 s16, 0x13a86d09
	v_mov_b32_e32 v2, 0x67f544e4
	v_mov_b32_e32 v3, 0xbe5ae645
	s_mov_b32 s17, 0x3de61246
	v_fma_f64 v[2:3], v[0:1], s[16:17], v[2:3]
	s_mov_b32 s16, 0xa556c734
	s_mov_b32 s17, 0x3ec71de3
	v_fma_f64 v[2:3], v[0:1], v[2:3], s[16:17]
	s_mov_b32 s16, 0x1a01a01a
	;; [unrolled: 3-line block ×4, first 2 shown]
	s_mov_b32 s17, 0xbfc55555
	v_fma_f64 v[2:3], v[0:1], v[2:3], s[16:17]
	v_fma_f64 v[0:1], v[0:1], v[2:3], 1.0
.LBB6_1201:
	s_or_b64 exec, exec, s[0:1]
.LBB6_1202:
	s_or_b64 exec, exec, s[12:13]
	s_lshl_b32 s3, s3, 7
	v_add_u32_e32 v8, s3, v6
	v_ashrrev_i32_e32 v2, 31, v8
	v_mov_b32_e32 v3, s11
	v_add_co_u32_e32 v4, vcc, s10, v8
	s_cmp_lt_i32 s22, 11
	v_addc_co_u32_e32 v5, vcc, v3, v2, vcc
	s_cbranch_scc1 .LBB6_1209
; %bb.1203:
	s_cmp_gt_i32 s22, 25
	s_mov_b64 s[12:13], 0
	s_cbranch_scc0 .LBB6_1211
; %bb.1204:
	s_cmp_gt_i32 s22, 28
	s_cbranch_scc0 .LBB6_1212
; %bb.1205:
	s_cmp_gt_i32 s22, 43
	;; [unrolled: 3-line block ×3, first 2 shown]
	s_cbranch_scc0 .LBB6_1215
; %bb.1207:
	s_cmp_eq_u32 s22, 46
	s_mov_b64 s[18:19], 0
	s_cbranch_scc0 .LBB6_1218
; %bb.1208:
	global_load_dword v2, v[4:5], off
	s_mov_b64 s[0:1], 0
	s_mov_b64 s[16:17], -1
	s_waitcnt vmcnt(0)
	v_lshlrev_b32_e32 v2, 16, v2
	v_cvt_f64_f32_e32 v[2:3], v2
	s_branch .LBB6_1219
.LBB6_1209:
	s_mov_b64 s[16:17], 0
                                        ; implicit-def: $vgpr2_vgpr3
	s_cbranch_execnz .LBB6_1284
.LBB6_1210:
	s_andn2_b64 vcc, exec, s[16:17]
	s_cbranch_vccnz .LBB6_1698
	s_branch .LBB6_1331
.LBB6_1211:
	s_mov_b64 s[16:17], 0
	s_mov_b64 s[0:1], 0
                                        ; implicit-def: $vgpr2_vgpr3
	s_cbranch_execnz .LBB6_1250
	s_branch .LBB6_1280
.LBB6_1212:
	s_mov_b64 s[18:19], -1
	s_mov_b64 s[16:17], 0
	s_mov_b64 s[0:1], 0
                                        ; implicit-def: $vgpr2_vgpr3
	s_branch .LBB6_1229
.LBB6_1213:
	s_mov_b64 s[18:19], -1
	s_mov_b64 s[16:17], 0
	s_mov_b64 s[0:1], 0
                                        ; implicit-def: $vgpr2_vgpr3
	s_branch .LBB6_1224
.LBB6_1214:
	s_or_b64 s[14:15], s[6:7], exec
	s_trap 2
	s_cbranch_execz .LBB6_1145
	s_branch .LBB6_1146
.LBB6_1215:
	s_mov_b64 s[18:19], -1
	s_mov_b64 s[16:17], 0
	s_mov_b64 s[0:1], 0
                                        ; implicit-def: $vgpr2_vgpr3
	s_branch .LBB6_1219
.LBB6_1216:
	s_andn2_saveexec_b64 s[24:25], s[24:25]
	s_cbranch_execz .LBB6_992
.LBB6_1217:
	s_mov_b32 s28, 0x42800000
	v_add_f32_e64 v3, |v2|, s28
	v_and_b32_e32 v3, 0xff, v3
	v_cmp_ne_u32_e32 vcc, 0, v3
	s_andn2_b64 s[22:23], s[22:23], exec
	s_and_b64 s[28:29], vcc, exec
	s_or_b64 s[22:23], s[22:23], s[28:29]
	s_or_b64 exec, exec, s[24:25]
	v_mov_b32_e32 v6, 0
	s_and_saveexec_b64 s[24:25], s[22:23]
	s_cbranch_execnz .LBB6_993
	s_branch .LBB6_994
.LBB6_1218:
	s_mov_b64 s[0:1], -1
                                        ; implicit-def: $vgpr2_vgpr3
	s_mov_b64 s[16:17], 0
.LBB6_1219:
	s_and_b64 vcc, exec, s[18:19]
	s_cbranch_vccz .LBB6_1223
; %bb.1220:
	s_cmp_eq_u32 s22, 44
	s_cbranch_scc0 .LBB6_1222
; %bb.1221:
	global_load_ubyte v6, v[4:5], off
	s_movk_i32 s16, 0xff
	v_bfrev_b32_e32 v7, 4
	v_mov_b32_e32 v9, 0x7ff80000
	v_bfrev_b32_e32 v10, 28
	s_mov_b64 s[0:1], 0
	s_waitcnt vmcnt(0)
	v_lshlrev_b32_e32 v2, 23, v6
	v_cvt_f64_f32_e32 v[2:3], v2
	v_cmp_ne_u32_e32 vcc, s16, v6
	s_mov_b64 s[16:17], -1
	v_cndmask_b32_e32 v2, v7, v2, vcc
	v_cndmask_b32_e32 v3, v9, v3, vcc
	v_cmp_ne_u32_e32 vcc, 0, v6
	v_cndmask_b32_e32 v3, v10, v3, vcc
	v_cndmask_b32_e32 v2, 0, v2, vcc
	s_branch .LBB6_1223
.LBB6_1222:
	s_mov_b64 s[0:1], -1
                                        ; implicit-def: $vgpr2_vgpr3
.LBB6_1223:
	s_mov_b64 s[18:19], 0
.LBB6_1224:
	s_and_b64 vcc, exec, s[18:19]
	s_cbranch_vccz .LBB6_1228
; %bb.1225:
	s_cmp_eq_u32 s22, 29
	s_cbranch_scc0 .LBB6_1227
; %bb.1226:
	global_load_dwordx2 v[2:3], v[4:5], off
	s_mov_b64 s[0:1], 0
	s_mov_b64 s[16:17], -1
	s_mov_b64 s[18:19], 0
	s_waitcnt vmcnt(0)
	v_cvt_f64_u32_e32 v[6:7], v3
	v_cvt_f64_u32_e32 v[2:3], v2
	v_ldexp_f64 v[6:7], v[6:7], 32
	v_add_f64 v[2:3], v[6:7], v[2:3]
	s_branch .LBB6_1229
.LBB6_1227:
	s_mov_b64 s[0:1], -1
                                        ; implicit-def: $vgpr2_vgpr3
.LBB6_1228:
	s_mov_b64 s[18:19], 0
.LBB6_1229:
	s_and_b64 vcc, exec, s[18:19]
	s_cbranch_vccz .LBB6_1249
; %bb.1230:
	s_cmp_lt_i32 s22, 27
	s_cbranch_scc1 .LBB6_1233
; %bb.1231:
	s_cmp_gt_i32 s22, 27
	s_cbranch_scc0 .LBB6_1234
; %bb.1232:
	global_load_dword v2, v[4:5], off
	s_mov_b64 s[16:17], 0
	s_waitcnt vmcnt(0)
	v_cvt_f64_u32_e32 v[2:3], v2
	s_branch .LBB6_1235
.LBB6_1233:
	s_mov_b64 s[16:17], -1
                                        ; implicit-def: $vgpr2_vgpr3
	s_branch .LBB6_1238
.LBB6_1234:
	s_mov_b64 s[16:17], -1
                                        ; implicit-def: $vgpr2_vgpr3
.LBB6_1235:
	s_andn2_b64 vcc, exec, s[16:17]
	s_cbranch_vccnz .LBB6_1237
; %bb.1236:
	global_load_ushort v2, v[4:5], off
	s_waitcnt vmcnt(0)
	v_cvt_f64_u32_e32 v[2:3], v2
.LBB6_1237:
	s_mov_b64 s[16:17], 0
.LBB6_1238:
	s_andn2_b64 vcc, exec, s[16:17]
	s_cbranch_vccnz .LBB6_1248
; %bb.1239:
	global_load_ubyte v6, v[4:5], off
	s_movk_i32 s16, 0x7f
	s_waitcnt vmcnt(0)
	v_cmp_lt_i16_e32 vcc, s16, v6
	s_mov_b64 s[16:17], 0
	s_and_saveexec_b64 s[18:19], vcc
	s_xor_b64 s[18:19], exec, s[18:19]
	s_cbranch_execz .LBB6_1243
; %bb.1240:
	s_movk_i32 s16, 0x80
	v_cmp_eq_u16_e32 vcc, s16, v6
	s_mov_b64 s[16:17], -1
	s_and_saveexec_b64 s[20:21], vcc
; %bb.1241:
	s_xor_b64 s[16:17], exec, -1
; %bb.1242:
	s_or_b64 exec, exec, s[20:21]
	s_and_b64 s[16:17], s[16:17], exec
.LBB6_1243:
	s_or_saveexec_b64 s[18:19], s[18:19]
	v_bfrev_b32_e32 v2, 4
	v_mov_b32_e32 v3, 0x7ff80000
	s_xor_b64 exec, exec, s[18:19]
; %bb.1244:
	v_cmp_ne_u16_e32 vcc, 0, v6
	v_mov_b32_e32 v2, 0
	s_andn2_b64 s[16:17], s[16:17], exec
	s_and_b64 s[20:21], vcc, exec
	v_mov_b32_e32 v3, 0
	s_or_b64 s[16:17], s[16:17], s[20:21]
; %bb.1245:
	s_or_b64 exec, exec, s[18:19]
	s_and_saveexec_b64 s[18:19], s[16:17]
	s_cbranch_execz .LBB6_1247
; %bb.1246:
	v_and_b32_e32 v3, 0xffff, v6
	v_lshlrev_b32_e32 v2, 24, v6
	v_and_b32_e32 v6, 7, v3
	v_ffbh_u32_e32 v9, v6
	v_min_u32_e32 v9, 32, v9
	v_subrev_u32_e32 v10, 28, v9
	v_bfe_u32 v7, v3, 3, 4
	v_lshlrev_b32_e32 v3, v10, v3
	v_sub_u32_e32 v9, 29, v9
	v_and_b32_e32 v3, 7, v3
	v_cmp_eq_u32_e32 vcc, 0, v7
	v_cndmask_b32_e32 v7, v7, v9, vcc
	v_cndmask_b32_e32 v3, v6, v3, vcc
	v_mov_b32_e32 v6, 0x3b800000
	v_lshlrev_b32_e32 v3, 20, v3
	v_and_b32_e32 v2, 0x80000000, v2
	v_lshl_add_u32 v6, v7, 23, v6
	v_or3_b32 v2, v2, v6, v3
	v_cvt_f64_f32_e32 v[2:3], v2
.LBB6_1247:
	s_or_b64 exec, exec, s[18:19]
.LBB6_1248:
	s_mov_b64 s[16:17], -1
.LBB6_1249:
	s_branch .LBB6_1280
.LBB6_1250:
	s_cmp_gt_i32 s22, 22
	s_cbranch_scc0 .LBB6_1262
; %bb.1251:
	s_cmp_lt_i32 s22, 24
	s_cbranch_scc1 .LBB6_1263
; %bb.1252:
	s_cmp_gt_i32 s22, 24
	s_cbranch_scc0 .LBB6_1264
; %bb.1253:
	global_load_ubyte v6, v[4:5], off
	s_movk_i32 s12, 0x7f
	s_waitcnt vmcnt(0)
	v_cmp_lt_i16_e32 vcc, s12, v6
	s_mov_b64 s[12:13], 0
	s_and_saveexec_b64 s[16:17], vcc
	s_xor_b64 s[16:17], exec, s[16:17]
	s_cbranch_execz .LBB6_1257
; %bb.1254:
	s_movk_i32 s12, 0x80
	v_cmp_eq_u16_e32 vcc, s12, v6
	s_mov_b64 s[12:13], -1
	s_and_saveexec_b64 s[18:19], vcc
; %bb.1255:
	s_xor_b64 s[12:13], exec, -1
; %bb.1256:
	s_or_b64 exec, exec, s[18:19]
	s_and_b64 s[12:13], s[12:13], exec
.LBB6_1257:
	s_or_saveexec_b64 s[16:17], s[16:17]
	v_bfrev_b32_e32 v2, 4
	v_mov_b32_e32 v3, 0x7ff80000
	s_xor_b64 exec, exec, s[16:17]
; %bb.1258:
	v_cmp_ne_u16_e32 vcc, 0, v6
	v_mov_b32_e32 v2, 0
	s_andn2_b64 s[12:13], s[12:13], exec
	s_and_b64 s[18:19], vcc, exec
	v_mov_b32_e32 v3, 0
	s_or_b64 s[12:13], s[12:13], s[18:19]
; %bb.1259:
	s_or_b64 exec, exec, s[16:17]
	s_and_saveexec_b64 s[16:17], s[12:13]
	s_cbranch_execz .LBB6_1261
; %bb.1260:
	v_and_b32_e32 v3, 0xffff, v6
	v_lshlrev_b32_e32 v2, 24, v6
	v_and_b32_e32 v6, 3, v3
	v_ffbh_u32_e32 v9, v6
	v_min_u32_e32 v9, 32, v9
	v_subrev_u32_e32 v10, 29, v9
	v_bfe_u32 v7, v3, 2, 5
	v_lshlrev_b32_e32 v3, v10, v3
	v_sub_u32_e32 v9, 30, v9
	v_and_b32_e32 v3, 3, v3
	v_cmp_eq_u32_e32 vcc, 0, v7
	v_cndmask_b32_e32 v7, v7, v9, vcc
	v_cndmask_b32_e32 v3, v6, v3, vcc
	v_mov_b32_e32 v6, 0x37800000
	v_lshlrev_b32_e32 v3, 21, v3
	v_and_b32_e32 v2, 0x80000000, v2
	v_lshl_add_u32 v6, v7, 23, v6
	v_or3_b32 v2, v2, v6, v3
	v_cvt_f64_f32_e32 v[2:3], v2
.LBB6_1261:
	s_or_b64 exec, exec, s[16:17]
	s_mov_b64 s[12:13], 0
	s_branch .LBB6_1265
.LBB6_1262:
	s_mov_b64 s[12:13], -1
                                        ; implicit-def: $vgpr2_vgpr3
	s_branch .LBB6_1271
.LBB6_1263:
	s_mov_b64 s[12:13], -1
                                        ; implicit-def: $vgpr2_vgpr3
	s_branch .LBB6_1268
.LBB6_1264:
	s_mov_b64 s[12:13], -1
                                        ; implicit-def: $vgpr2_vgpr3
.LBB6_1265:
	s_and_b64 vcc, exec, s[12:13]
	s_cbranch_vccz .LBB6_1267
; %bb.1266:
	global_load_ubyte v2, v[4:5], off
	s_mov_b32 s12, 0x7f800000
	s_waitcnt vmcnt(0)
	v_lshlrev_b32_e32 v2, 24, v2
	v_and_b32_e32 v3, 0x7f000000, v2
	v_ffbh_u32_e32 v6, v3
	v_min_u32_e32 v6, 32, v6
	v_sub_u32_e64 v6, v6, 4 clamp
	v_lshlrev_b32_e32 v9, v6, v3
	v_lshlrev_b32_e32 v6, 23, v6
	v_lshrrev_b32_e32 v9, 4, v9
	v_add_u32_e32 v7, 0x1000000, v3
	v_sub_u32_e32 v6, v9, v6
	v_ashrrev_i32_e32 v7, 8, v7
	v_add_u32_e32 v6, 0x3c000000, v6
	v_and_or_b32 v6, v7, s12, v6
	v_cmp_ne_u32_e32 vcc, 0, v3
	v_cndmask_b32_e32 v3, 0, v6, vcc
	s_brev_b32 s12, 1
	v_and_or_b32 v2, v2, s12, v3
	v_cvt_f64_f32_e32 v[2:3], v2
.LBB6_1267:
	s_mov_b64 s[12:13], 0
.LBB6_1268:
	s_andn2_b64 vcc, exec, s[12:13]
	s_cbranch_vccnz .LBB6_1270
; %bb.1269:
	global_load_ubyte v2, v[4:5], off
	s_movk_i32 s12, 0x7f00
	s_brev_b32 s13, 16
	s_waitcnt vmcnt(0)
	v_lshlrev_b16_e32 v3, 8, v2
	v_lshlrev_b32_e32 v2, 25, v2
	v_lshrrev_b32_e32 v6, 4, v2
	v_and_or_b32 v7, v3, s12, 0.5
	v_or_b32_e32 v6, 0x70000000, v6
	v_add_f32_e32 v7, -0.5, v7
	v_mul_f32_e32 v6, 0x7800000, v6
	v_cmp_gt_u32_e32 vcc, s13, v2
	v_bfe_i32 v3, v3, 0, 16
	v_cndmask_b32_e32 v2, v6, v7, vcc
	s_brev_b32 s12, 1
	v_and_or_b32 v2, v3, s12, v2
	v_cvt_f64_f32_e32 v[2:3], v2
.LBB6_1270:
	s_mov_b64 s[12:13], 0
	s_mov_b64 s[16:17], -1
.LBB6_1271:
	s_andn2_b64 vcc, exec, s[12:13]
	s_mov_b64 s[12:13], 0
	s_cbranch_vccnz .LBB6_1280
; %bb.1272:
	s_cmp_gt_i32 s22, 14
	s_cbranch_scc0 .LBB6_1275
; %bb.1273:
	s_cmp_eq_u32 s22, 15
	s_cbranch_scc0 .LBB6_1276
; %bb.1274:
	global_load_ushort v2, v[4:5], off
	s_mov_b64 s[0:1], 0
	s_mov_b64 s[16:17], -1
	s_waitcnt vmcnt(0)
	v_lshlrev_b32_e32 v2, 16, v2
	v_cvt_f64_f32_e32 v[2:3], v2
	s_branch .LBB6_1277
.LBB6_1275:
	s_mov_b64 s[18:19], -1
                                        ; implicit-def: $vgpr2_vgpr3
	s_branch .LBB6_1278
.LBB6_1276:
	s_mov_b64 s[0:1], -1
                                        ; implicit-def: $vgpr2_vgpr3
.LBB6_1277:
	s_mov_b64 s[18:19], 0
.LBB6_1278:
	s_and_b64 vcc, exec, s[18:19]
	s_cbranch_vccz .LBB6_1280
; %bb.1279:
	s_cmp_lg_u32 s22, 11
	s_mov_b64 s[12:13], -1
	s_cselect_b64 s[0:1], -1, 0
.LBB6_1280:
	s_and_b64 vcc, exec, s[0:1]
	s_cbranch_vccnz .LBB6_1353
; %bb.1281:
	s_andn2_b64 vcc, exec, s[12:13]
	s_cbranch_vccnz .LBB6_1283
.LBB6_1282:
	global_load_ubyte v3, v[4:5], off
	v_mov_b32_e32 v6, 0x3ff00000
	v_mov_b32_e32 v2, 0
	s_mov_b64 s[16:17], -1
	s_waitcnt vmcnt(0)
	v_cmp_ne_u16_e32 vcc, 0, v3
	v_cndmask_b32_e32 v3, 0, v6, vcc
.LBB6_1283:
	s_branch .LBB6_1210
.LBB6_1284:
	s_cmp_lt_i32 s22, 5
	s_cbranch_scc1 .LBB6_1289
; %bb.1285:
	s_cmp_lt_i32 s22, 8
	s_cbranch_scc1 .LBB6_1290
; %bb.1286:
	;; [unrolled: 3-line block ×3, first 2 shown]
	s_cmp_gt_i32 s22, 9
	s_cbranch_scc0 .LBB6_1292
; %bb.1288:
	global_load_dwordx2 v[2:3], v[4:5], off
	s_mov_b64 s[0:1], 0
	s_branch .LBB6_1293
.LBB6_1289:
                                        ; implicit-def: $vgpr2_vgpr3
	s_branch .LBB6_1311
.LBB6_1290:
	s_mov_b64 s[0:1], -1
                                        ; implicit-def: $vgpr2_vgpr3
	s_branch .LBB6_1299
.LBB6_1291:
	s_mov_b64 s[0:1], -1
                                        ; implicit-def: $vgpr2_vgpr3
	s_branch .LBB6_1296
.LBB6_1292:
	s_mov_b64 s[0:1], -1
                                        ; implicit-def: $vgpr2_vgpr3
.LBB6_1293:
	s_andn2_b64 vcc, exec, s[0:1]
	s_cbranch_vccnz .LBB6_1295
; %bb.1294:
	global_load_dword v2, v[4:5], off
	s_waitcnt vmcnt(0)
	v_cvt_f64_f32_e32 v[2:3], v2
.LBB6_1295:
	s_mov_b64 s[0:1], 0
.LBB6_1296:
	s_andn2_b64 vcc, exec, s[0:1]
	s_cbranch_vccnz .LBB6_1298
; %bb.1297:
	global_load_dword v2, v[4:5], off
	s_waitcnt vmcnt(0)
	v_cvt_f32_f16_e32 v2, v2
	v_cvt_f64_f32_e32 v[2:3], v2
.LBB6_1298:
	s_mov_b64 s[0:1], 0
.LBB6_1299:
	s_andn2_b64 vcc, exec, s[0:1]
	s_cbranch_vccnz .LBB6_1310
; %bb.1300:
	s_cmp_lt_i32 s22, 6
	s_cbranch_scc1 .LBB6_1303
; %bb.1301:
	s_cmp_gt_i32 s22, 6
	s_cbranch_scc0 .LBB6_1304
; %bb.1302:
	global_load_dwordx2 v[2:3], v[4:5], off
	s_mov_b64 s[0:1], 0
	s_branch .LBB6_1305
.LBB6_1303:
	s_mov_b64 s[0:1], -1
                                        ; implicit-def: $vgpr2_vgpr3
	s_branch .LBB6_1308
.LBB6_1304:
	s_mov_b64 s[0:1], -1
                                        ; implicit-def: $vgpr2_vgpr3
.LBB6_1305:
	s_andn2_b64 vcc, exec, s[0:1]
	s_cbranch_vccnz .LBB6_1307
; %bb.1306:
	global_load_dword v2, v[4:5], off
	s_waitcnt vmcnt(0)
	v_cvt_f64_f32_e32 v[2:3], v2
.LBB6_1307:
	s_mov_b64 s[0:1], 0
.LBB6_1308:
	s_andn2_b64 vcc, exec, s[0:1]
	s_cbranch_vccnz .LBB6_1310
; %bb.1309:
	global_load_ushort v2, v[4:5], off
	s_waitcnt vmcnt(0)
	v_cvt_f32_f16_e32 v2, v2
	v_cvt_f64_f32_e32 v[2:3], v2
.LBB6_1310:
	s_cbranch_execnz .LBB6_1330
.LBB6_1311:
	s_cmp_lt_i32 s22, 2
	s_cbranch_scc1 .LBB6_1315
; %bb.1312:
	s_cmp_lt_i32 s22, 3
	s_cbranch_scc1 .LBB6_1316
; %bb.1313:
	s_cmp_gt_i32 s22, 3
	s_cbranch_scc0 .LBB6_1317
; %bb.1314:
	global_load_dwordx2 v[2:3], v[4:5], off
	s_mov_b64 s[0:1], 0
	s_waitcnt vmcnt(0)
	v_cvt_f64_i32_e32 v[6:7], v3
	v_cvt_f64_u32_e32 v[2:3], v2
	v_ldexp_f64 v[6:7], v[6:7], 32
	v_add_f64 v[2:3], v[6:7], v[2:3]
	s_branch .LBB6_1318
.LBB6_1315:
	s_mov_b64 s[0:1], -1
                                        ; implicit-def: $vgpr2_vgpr3
	s_branch .LBB6_1324
.LBB6_1316:
	s_mov_b64 s[0:1], -1
                                        ; implicit-def: $vgpr2_vgpr3
	s_branch .LBB6_1321
.LBB6_1317:
	s_mov_b64 s[0:1], -1
                                        ; implicit-def: $vgpr2_vgpr3
.LBB6_1318:
	s_andn2_b64 vcc, exec, s[0:1]
	s_cbranch_vccnz .LBB6_1320
; %bb.1319:
	global_load_dword v2, v[4:5], off
	s_waitcnt vmcnt(0)
	v_cvt_f64_i32_e32 v[2:3], v2
.LBB6_1320:
	s_mov_b64 s[0:1], 0
.LBB6_1321:
	s_andn2_b64 vcc, exec, s[0:1]
	s_cbranch_vccnz .LBB6_1323
; %bb.1322:
	global_load_sshort v2, v[4:5], off
	s_waitcnt vmcnt(0)
	v_cvt_f64_i32_e32 v[2:3], v2
.LBB6_1323:
	s_mov_b64 s[0:1], 0
.LBB6_1324:
	s_andn2_b64 vcc, exec, s[0:1]
	s_cbranch_vccnz .LBB6_1330
; %bb.1325:
	s_cmp_gt_i32 s22, 0
	s_cbranch_scc0 .LBB6_1327
; %bb.1326:
	global_load_sbyte v2, v[4:5], off
	s_mov_b64 s[0:1], 0
	s_waitcnt vmcnt(0)
	v_cvt_f64_i32_e32 v[2:3], v2
	s_branch .LBB6_1328
.LBB6_1327:
	s_mov_b64 s[0:1], -1
                                        ; implicit-def: $vgpr2_vgpr3
.LBB6_1328:
	s_andn2_b64 vcc, exec, s[0:1]
	s_cbranch_vccnz .LBB6_1330
; %bb.1329:
	global_load_ubyte v2, v[4:5], off
	s_waitcnt vmcnt(0)
	v_cvt_f64_u32_e32 v[2:3], v2
.LBB6_1330:
.LBB6_1331:
	s_mov_b32 s0, 0
	s_mov_b32 s1, 0x7ff00000
	s_waitcnt vmcnt(0)
	v_cmp_neq_f64_e64 s[0:1], |v[2:3]|, s[0:1]
	v_mov_b32_e32 v4, 0
	v_mov_b32_e32 v5, 0
	s_and_saveexec_b64 s[12:13], s[0:1]
	s_cbranch_execz .LBB6_1341
; %bb.1332:
	v_cmp_nlt_f64_e64 s[0:1], |v[2:3]|, 0.5
                                        ; implicit-def: $vgpr4_vgpr5
	s_and_saveexec_b64 s[16:17], s[0:1]
	s_xor_b64 s[16:17], exec, s[16:17]
	s_cbranch_execz .LBB6_1338
; %bb.1333:
	s_mov_b32 s0, 0
	s_mov_b32 s1, 0x41d00000
	v_cmp_nlt_f64_e64 s[0:1], |v[2:3]|, s[0:1]
                                        ; implicit-def: $vgpr9
                                        ; implicit-def: $vgpr4_vgpr5
                                        ; implicit-def: $vgpr6_vgpr7
	s_and_saveexec_b64 s[18:19], s[0:1]
	s_xor_b64 s[18:19], exec, s[18:19]
	s_cbranch_execz .LBB6_1335
; %bb.1334:
	v_trig_preop_f64 v[4:5], |v[2:3]|, 0
	s_mov_b32 s0, 0
	s_mov_b32 s1, 0x7b000000
	s_movk_i32 s20, 0xff80
	v_ldexp_f64 v[9:10], |v[2:3]|, s20
	v_cmp_ge_f64_e64 vcc, |v[2:3]|, s[0:1]
	v_trig_preop_f64 v[6:7], |v[2:3]|, 1
	v_and_b32_e32 v11, 0x7fffffff, v3
	v_trig_preop_f64 v[19:20], |v[2:3]|, 2
	s_mov_b32 s0, 0
	s_mov_b32 s1, 0x7ff00000
	v_mov_b32_e32 v13, 0x40100000
	v_mov_b32_e32 v29, 0
	v_cndmask_b32_e32 v10, v11, v10, vcc
	v_cndmask_b32_e32 v9, v2, v9, vcc
	s_mov_b32 s20, 0x33145c07
	v_mul_f64 v[11:12], v[4:5], v[9:10]
	s_mov_b32 s21, 0x3c91a626
	v_mul_f64 v[15:16], v[6:7], v[9:10]
	v_mul_f64 v[25:26], v[19:20], v[9:10]
	v_fma_f64 v[4:5], v[4:5], v[9:10], -v[11:12]
	v_fma_f64 v[6:7], v[6:7], v[9:10], -v[15:16]
	;; [unrolled: 1-line block ×3, first 2 shown]
	v_add_f64 v[17:18], v[15:16], v[4:5]
	v_add_f64 v[21:22], v[17:18], -v[15:16]
	v_add_f64 v[27:28], v[11:12], v[17:18]
	v_add_f64 v[23:24], v[17:18], -v[21:22]
	v_add_f64 v[4:5], v[4:5], -v[21:22]
	v_add_f64 v[21:22], v[25:26], v[6:7]
	v_add_f64 v[11:12], v[27:28], -v[11:12]
	v_add_f64 v[15:16], v[15:16], -v[23:24]
	v_ldexp_f64 v[23:24], v[27:28], -2
	v_add_f64 v[31:32], v[21:22], -v[25:26]
	v_add_f64 v[11:12], v[17:18], -v[11:12]
	v_add_f64 v[4:5], v[4:5], v[15:16]
	v_fract_f64_e32 v[15:16], v[23:24]
	v_cmp_neq_f64_e64 vcc, |v[23:24]|, s[0:1]
	v_add_f64 v[6:7], v[6:7], -v[31:32]
	v_add_f64 v[17:18], v[21:22], v[4:5]
	v_ldexp_f64 v[15:16], v[15:16], 2
	v_add_f64 v[23:24], v[11:12], v[17:18]
	v_cndmask_b32_e32 v16, 0, v16, vcc
	v_cndmask_b32_e32 v15, 0, v15, vcc
	v_add_f64 v[33:34], v[17:18], -v[21:22]
	v_add_f64 v[27:28], v[23:24], v[15:16]
	v_add_f64 v[11:12], v[23:24], -v[11:12]
	v_add_f64 v[35:36], v[17:18], -v[33:34]
	;; [unrolled: 1-line block ×3, first 2 shown]
	v_cmp_gt_f64_e32 vcc, 0, v[27:28]
	v_add_f64 v[27:28], v[21:22], -v[31:32]
	v_add_f64 v[11:12], v[17:18], -v[11:12]
	;; [unrolled: 1-line block ×3, first 2 shown]
	v_cndmask_b32_e32 v30, 0, v13, vcc
	v_add_f64 v[15:16], v[15:16], v[29:30]
	v_add_f64 v[27:28], v[25:26], -v[27:28]
	v_add_f64 v[4:5], v[4:5], v[21:22]
	v_add_f64 v[30:31], v[23:24], v[15:16]
	;; [unrolled: 1-line block ×3, first 2 shown]
	v_cvt_i32_f64_e32 v13, v[30:31]
	v_add_f64 v[4:5], v[6:7], v[4:5]
	v_cvt_f64_i32_e32 v[30:31], v13
	v_add_f64 v[15:16], v[15:16], -v[30:31]
	v_add_f64 v[4:5], v[9:10], v[4:5]
	v_add_f64 v[6:7], v[23:24], v[15:16]
	;; [unrolled: 1-line block ×3, first 2 shown]
	v_mov_b32_e32 v12, 0x3ff00000
	v_add_f64 v[9:10], v[6:7], -v[15:16]
	v_cmp_le_f64_e32 vcc, 0.5, v[6:7]
	v_add_f64 v[10:11], v[23:24], -v[9:10]
	v_cndmask_b32_e32 v30, 0, v12, vcc
	v_add_f64 v[6:7], v[6:7], -v[29:30]
	v_addc_co_u32_e64 v9, s[0:1], 0, v13, vcc
	s_mov_b32 s0, 0x54442d18
	s_mov_b32 s1, 0x3ff921fb
	v_add_f64 v[4:5], v[4:5], v[10:11]
	v_add_f64 v[10:11], v[6:7], v[4:5]
	v_mul_f64 v[12:13], v[10:11], s[0:1]
	v_add_f64 v[6:7], v[10:11], -v[6:7]
	v_fma_f64 v[15:16], v[10:11], s[0:1], -v[12:13]
	v_add_f64 v[4:5], v[4:5], -v[6:7]
	v_fma_f64 v[6:7], v[10:11], s[20:21], v[15:16]
	v_fma_f64 v[6:7], v[4:5], s[0:1], v[6:7]
	v_add_f64 v[4:5], v[12:13], v[6:7]
	v_add_f64 v[10:11], v[4:5], -v[12:13]
	v_add_f64 v[6:7], v[6:7], -v[10:11]
.LBB6_1335:
	s_andn2_saveexec_b64 s[0:1], s[18:19]
	s_cbranch_execz .LBB6_1337
; %bb.1336:
	s_mov_b32 s18, 0x6dc9c883
	s_mov_b32 s19, 0x3fe45f30
	v_mul_f64 v[4:5], |v[2:3]|, s[18:19]
	s_mov_b32 s18, 0x54442d18
	s_mov_b32 s19, 0xbff921fb
	;; [unrolled: 1-line block ×4, first 2 shown]
	v_rndne_f64_e32 v[9:10], v[4:5]
	v_fma_f64 v[4:5], v[9:10], s[18:19], |v[2:3]|
	v_mul_f64 v[6:7], v[9:10], s[20:21]
	s_mov_b32 s18, 0x252049c0
	s_mov_b32 s19, 0xb97b839a
	v_fma_f64 v[17:18], v[9:10], s[20:21], v[4:5]
	v_add_f64 v[11:12], v[4:5], v[6:7]
	s_mov_b32 s21, 0x3c91a626
	v_add_f64 v[15:16], v[4:5], -v[11:12]
	v_add_f64 v[11:12], v[11:12], -v[17:18]
	v_add_f64 v[4:5], v[15:16], v[6:7]
	v_fma_f64 v[6:7], v[9:10], s[20:21], v[6:7]
	v_add_f64 v[4:5], v[11:12], v[4:5]
	v_add_f64 v[4:5], v[4:5], -v[6:7]
	v_fma_f64 v[6:7], v[9:10], s[18:19], v[4:5]
	v_cvt_i32_f64_e32 v9, v[9:10]
	v_add_f64 v[4:5], v[17:18], v[6:7]
	v_add_f64 v[11:12], v[4:5], -v[17:18]
	v_add_f64 v[6:7], v[6:7], -v[11:12]
.LBB6_1337:
	s_or_b64 exec, exec, s[0:1]
	v_mul_f64 v[10:11], v[4:5], v[4:5]
	s_mov_b32 s0, 0xf9a43bb8
	v_mov_b32_e32 v15, 0xb42fdfa7
	v_mov_b32_e32 v16, 0xbe5ae600
	s_mov_b32 s1, 0x3de5e0b2
	s_mov_b32 s18, 0x796cde01
	v_mov_b32_e32 v12, 0x9037ab78
	v_mov_b32_e32 v13, 0x3e21eeb6
	v_fma_f64 v[15:16], v[10:11], s[0:1], v[15:16]
	s_mov_b32 s0, 0x46cc5e42
	s_mov_b32 s1, 0xbda907db
	;; [unrolled: 1-line block ×3, first 2 shown]
	v_fma_f64 v[12:13], v[10:11], s[0:1], v[12:13]
	v_mul_f64 v[17:18], v[10:11], 0.5
	s_mov_b32 s0, 0xa17f65f6
	s_mov_b32 s20, 0x19e83e5c
	v_fma_f64 v[15:16], v[10:11], v[15:16], s[18:19]
	s_mov_b32 s1, 0xbe927e4f
	s_mov_b32 s21, 0xbf2a01a0
	;; [unrolled: 1-line block ×3, first 2 shown]
	v_fma_f64 v[12:13], v[10:11], v[12:13], s[0:1]
	v_add_f64 v[19:20], -v[17:18], 1.0
	s_mov_b32 s0, 0x11110bb3
	s_mov_b32 s19, 0x3efa01a0
	v_fma_f64 v[15:16], v[10:11], v[15:16], s[20:21]
	s_mov_b32 s1, 0x3f811111
	v_mul_f64 v[21:22], v[6:7], 0.5
	v_mul_f64 v[23:24], v[4:5], -v[10:11]
	v_fma_f64 v[12:13], v[10:11], v[12:13], s[18:19]
	v_add_f64 v[25:26], -v[19:20], 1.0
	v_fma_f64 v[15:16], v[10:11], v[15:16], s[0:1]
	s_mov_b32 s0, 0x16c16967
	s_mov_b32 s1, 0xbf56c16c
	v_fma_f64 v[12:13], v[10:11], v[12:13], s[0:1]
	v_add_f64 v[17:18], v[25:26], -v[17:18]
	s_mov_b32 s1, 0x3fa55555
	s_mov_b32 s0, 0x55555555
	v_fma_f64 v[15:16], v[23:24], v[15:16], v[21:22]
	v_mul_f64 v[21:22], v[10:11], v[10:11]
	v_fma_f64 v[12:13], v[10:11], v[12:13], s[0:1]
	v_fma_f64 v[17:18], v[4:5], -v[6:7], v[17:18]
	s_mov_b32 s1, 0xbfc55555
	v_fma_f64 v[6:7], v[10:11], v[15:16], -v[6:7]
	v_fma_f64 v[10:11], v[21:22], v[12:13], v[17:18]
	v_fma_f64 v[6:7], v[23:24], s[0:1], v[6:7]
	s_movk_i32 s0, 0x1f8
	v_cmp_class_f64_e64 s[0:1], v[2:3], s0
	v_add_f64 v[10:11], v[19:20], v[10:11]
	v_add_f64 v[4:5], v[4:5], -v[6:7]
	v_and_b32_e32 v6, 1, v9
	v_cmp_eq_u32_e32 vcc, 0, v6
	v_lshlrev_b32_e32 v6, 30, v9
	v_xor_b32_e32 v6, v6, v3
	v_and_b32_e32 v6, 0x80000000, v6
	v_mov_b32_e32 v7, 0x7ff80000
	v_cndmask_b32_e32 v5, v11, v5, vcc
	v_cndmask_b32_e32 v4, v10, v4, vcc
	v_xor_b32_e32 v5, v5, v6
	v_cndmask_b32_e64 v4, 0, v4, s[0:1]
	v_cndmask_b32_e64 v5, v7, v5, s[0:1]
	v_div_scale_f64 v[6:7], s[0:1], v[2:3], v[2:3], v[4:5]
	v_div_scale_f64 v[15:16], vcc, v[4:5], v[2:3], v[4:5]
	v_rcp_f64_e32 v[9:10], v[6:7]
	v_fma_f64 v[11:12], -v[6:7], v[9:10], 1.0
	v_fma_f64 v[9:10], v[9:10], v[11:12], v[9:10]
	v_fma_f64 v[11:12], -v[6:7], v[9:10], 1.0
	v_fma_f64 v[9:10], v[9:10], v[11:12], v[9:10]
	v_mul_f64 v[11:12], v[15:16], v[9:10]
	v_fma_f64 v[6:7], -v[6:7], v[11:12], v[15:16]
	v_div_fmas_f64 v[6:7], v[6:7], v[9:10], v[11:12]
	v_div_fixup_f64 v[4:5], v[6:7], v[2:3], v[4:5]
                                        ; implicit-def: $vgpr2_vgpr3
.LBB6_1338:
	s_andn2_saveexec_b64 s[0:1], s[16:17]
	s_cbranch_execz .LBB6_1340
; %bb.1339:
	v_mul_f64 v[2:3], v[2:3], v[2:3]
	s_mov_b32 s16, 0x13a86d09
	v_mov_b32_e32 v4, 0x67f544e4
	v_mov_b32_e32 v5, 0xbe5ae645
	s_mov_b32 s17, 0x3de61246
	v_fma_f64 v[4:5], v[2:3], s[16:17], v[4:5]
	s_mov_b32 s16, 0xa556c734
	s_mov_b32 s17, 0x3ec71de3
	v_fma_f64 v[4:5], v[2:3], v[4:5], s[16:17]
	s_mov_b32 s16, 0x1a01a01a
	;; [unrolled: 3-line block ×4, first 2 shown]
	s_mov_b32 s17, 0xbfc55555
	v_fma_f64 v[4:5], v[2:3], v[4:5], s[16:17]
	v_fma_f64 v[4:5], v[2:3], v[4:5], 1.0
.LBB6_1340:
	s_or_b64 exec, exec, s[0:1]
.LBB6_1341:
	s_or_b64 exec, exec, s[12:13]
	v_add_u32_e32 v10, s3, v8
	v_ashrrev_i32_e32 v2, 31, v10
	v_mov_b32_e32 v3, s11
	v_add_co_u32_e32 v6, vcc, s10, v10
	s_cmp_lt_i32 s22, 11
	v_addc_co_u32_e32 v7, vcc, v3, v2, vcc
	s_cbranch_scc1 .LBB6_1348
; %bb.1342:
	s_cmp_gt_i32 s22, 25
	s_mov_b64 s[12:13], 0
	s_cbranch_scc0 .LBB6_1350
; %bb.1343:
	s_cmp_gt_i32 s22, 28
	s_cbranch_scc0 .LBB6_1351
; %bb.1344:
	s_cmp_gt_i32 s22, 43
	;; [unrolled: 3-line block ×3, first 2 shown]
	s_cbranch_scc0 .LBB6_1354
; %bb.1346:
	s_cmp_eq_u32 s22, 46
	s_mov_b64 s[18:19], 0
	s_cbranch_scc0 .LBB6_1355
; %bb.1347:
	global_load_dword v2, v[6:7], off
	s_mov_b64 s[0:1], 0
	s_mov_b64 s[16:17], -1
	s_waitcnt vmcnt(0)
	v_lshlrev_b32_e32 v2, 16, v2
	v_cvt_f64_f32_e32 v[2:3], v2
	s_branch .LBB6_1356
.LBB6_1348:
	s_mov_b64 s[16:17], 0
                                        ; implicit-def: $vgpr2_vgpr3
	s_cbranch_execnz .LBB6_1422
.LBB6_1349:
	s_andn2_b64 vcc, exec, s[16:17]
	s_cbranch_vccnz .LBB6_1698
	s_branch .LBB6_1470
.LBB6_1350:
	s_mov_b64 s[18:19], -1
	s_mov_b64 s[16:17], 0
	s_mov_b64 s[0:1], 0
                                        ; implicit-def: $vgpr2_vgpr3
	s_branch .LBB6_1387
.LBB6_1351:
	s_mov_b64 s[18:19], -1
	s_mov_b64 s[16:17], 0
	s_mov_b64 s[0:1], 0
                                        ; implicit-def: $vgpr2_vgpr3
	s_branch .LBB6_1366
.LBB6_1352:
	s_mov_b64 s[18:19], -1
	s_mov_b64 s[16:17], 0
	s_mov_b64 s[0:1], 0
                                        ; implicit-def: $vgpr2_vgpr3
	s_branch .LBB6_1361
.LBB6_1353:
	s_trap 2
	s_or_b64 s[14:15], s[14:15], exec
	s_cbranch_execz .LBB6_1282
	s_branch .LBB6_1283
.LBB6_1354:
	s_mov_b64 s[18:19], -1
	s_mov_b64 s[16:17], 0
	s_mov_b64 s[0:1], 0
                                        ; implicit-def: $vgpr2_vgpr3
	s_branch .LBB6_1356
.LBB6_1355:
	s_mov_b64 s[0:1], -1
                                        ; implicit-def: $vgpr2_vgpr3
	s_mov_b64 s[16:17], 0
.LBB6_1356:
	s_and_b64 vcc, exec, s[18:19]
	s_cbranch_vccz .LBB6_1360
; %bb.1357:
	s_cmp_eq_u32 s22, 44
	s_cbranch_scc0 .LBB6_1359
; %bb.1358:
	global_load_ubyte v8, v[6:7], off
	s_movk_i32 s16, 0xff
	v_bfrev_b32_e32 v9, 4
	v_mov_b32_e32 v11, 0x7ff80000
	v_bfrev_b32_e32 v12, 28
	s_mov_b64 s[0:1], 0
	s_waitcnt vmcnt(0)
	v_lshlrev_b32_e32 v2, 23, v8
	v_cvt_f64_f32_e32 v[2:3], v2
	v_cmp_ne_u32_e32 vcc, s16, v8
	s_mov_b64 s[16:17], -1
	v_cndmask_b32_e32 v2, v9, v2, vcc
	v_cndmask_b32_e32 v3, v11, v3, vcc
	v_cmp_ne_u32_e32 vcc, 0, v8
	v_cndmask_b32_e32 v3, v12, v3, vcc
	v_cndmask_b32_e32 v2, 0, v2, vcc
	s_branch .LBB6_1360
.LBB6_1359:
	s_mov_b64 s[0:1], -1
                                        ; implicit-def: $vgpr2_vgpr3
.LBB6_1360:
	s_mov_b64 s[18:19], 0
.LBB6_1361:
	s_and_b64 vcc, exec, s[18:19]
	s_cbranch_vccz .LBB6_1365
; %bb.1362:
	s_cmp_eq_u32 s22, 29
	s_cbranch_scc0 .LBB6_1364
; %bb.1363:
	global_load_dwordx2 v[2:3], v[6:7], off
	s_mov_b64 s[0:1], 0
	s_mov_b64 s[16:17], -1
	s_mov_b64 s[18:19], 0
	s_waitcnt vmcnt(0)
	v_cvt_f64_u32_e32 v[8:9], v3
	v_cvt_f64_u32_e32 v[2:3], v2
	v_ldexp_f64 v[8:9], v[8:9], 32
	v_add_f64 v[2:3], v[8:9], v[2:3]
	s_branch .LBB6_1366
.LBB6_1364:
	s_mov_b64 s[0:1], -1
                                        ; implicit-def: $vgpr2_vgpr3
.LBB6_1365:
	s_mov_b64 s[18:19], 0
.LBB6_1366:
	s_and_b64 vcc, exec, s[18:19]
	s_cbranch_vccz .LBB6_1386
; %bb.1367:
	s_cmp_lt_i32 s22, 27
	s_cbranch_scc1 .LBB6_1370
; %bb.1368:
	s_cmp_gt_i32 s22, 27
	s_cbranch_scc0 .LBB6_1371
; %bb.1369:
	global_load_dword v2, v[6:7], off
	s_mov_b64 s[16:17], 0
	s_waitcnt vmcnt(0)
	v_cvt_f64_u32_e32 v[2:3], v2
	s_branch .LBB6_1372
.LBB6_1370:
	s_mov_b64 s[16:17], -1
                                        ; implicit-def: $vgpr2_vgpr3
	s_branch .LBB6_1375
.LBB6_1371:
	s_mov_b64 s[16:17], -1
                                        ; implicit-def: $vgpr2_vgpr3
.LBB6_1372:
	s_andn2_b64 vcc, exec, s[16:17]
	s_cbranch_vccnz .LBB6_1374
; %bb.1373:
	global_load_ushort v2, v[6:7], off
	s_waitcnt vmcnt(0)
	v_cvt_f64_u32_e32 v[2:3], v2
.LBB6_1374:
	s_mov_b64 s[16:17], 0
.LBB6_1375:
	s_andn2_b64 vcc, exec, s[16:17]
	s_cbranch_vccnz .LBB6_1385
; %bb.1376:
	global_load_ubyte v8, v[6:7], off
	s_movk_i32 s16, 0x7f
	s_waitcnt vmcnt(0)
	v_cmp_lt_i16_e32 vcc, s16, v8
	s_mov_b64 s[16:17], 0
	s_and_saveexec_b64 s[18:19], vcc
	s_xor_b64 s[18:19], exec, s[18:19]
	s_cbranch_execz .LBB6_1380
; %bb.1377:
	s_movk_i32 s16, 0x80
	v_cmp_eq_u16_e32 vcc, s16, v8
	s_mov_b64 s[16:17], -1
	s_and_saveexec_b64 s[20:21], vcc
; %bb.1378:
	s_xor_b64 s[16:17], exec, -1
; %bb.1379:
	s_or_b64 exec, exec, s[20:21]
	s_and_b64 s[16:17], s[16:17], exec
.LBB6_1380:
	s_or_saveexec_b64 s[18:19], s[18:19]
	v_bfrev_b32_e32 v2, 4
	v_mov_b32_e32 v3, 0x7ff80000
	s_xor_b64 exec, exec, s[18:19]
; %bb.1381:
	v_cmp_ne_u16_e32 vcc, 0, v8
	v_mov_b32_e32 v2, 0
	s_andn2_b64 s[16:17], s[16:17], exec
	s_and_b64 s[20:21], vcc, exec
	v_mov_b32_e32 v3, 0
	s_or_b64 s[16:17], s[16:17], s[20:21]
; %bb.1382:
	s_or_b64 exec, exec, s[18:19]
	s_and_saveexec_b64 s[18:19], s[16:17]
	s_cbranch_execz .LBB6_1384
; %bb.1383:
	v_and_b32_e32 v3, 0xffff, v8
	v_lshlrev_b32_e32 v2, 24, v8
	v_and_b32_e32 v8, 7, v3
	v_ffbh_u32_e32 v11, v8
	v_min_u32_e32 v11, 32, v11
	v_subrev_u32_e32 v12, 28, v11
	v_bfe_u32 v9, v3, 3, 4
	v_lshlrev_b32_e32 v3, v12, v3
	v_sub_u32_e32 v11, 29, v11
	v_and_b32_e32 v3, 7, v3
	v_cmp_eq_u32_e32 vcc, 0, v9
	v_cndmask_b32_e32 v9, v9, v11, vcc
	v_cndmask_b32_e32 v3, v8, v3, vcc
	v_mov_b32_e32 v8, 0x3b800000
	v_lshlrev_b32_e32 v3, 20, v3
	v_and_b32_e32 v2, 0x80000000, v2
	v_lshl_add_u32 v8, v9, 23, v8
	v_or3_b32 v2, v2, v8, v3
	v_cvt_f64_f32_e32 v[2:3], v2
.LBB6_1384:
	s_or_b64 exec, exec, s[18:19]
.LBB6_1385:
	s_mov_b64 s[16:17], -1
.LBB6_1386:
	s_mov_b64 s[18:19], 0
.LBB6_1387:
	s_and_b64 vcc, exec, s[18:19]
	s_cbranch_vccz .LBB6_1418
; %bb.1388:
	s_cmp_gt_i32 s22, 22
	s_cbranch_scc0 .LBB6_1400
; %bb.1389:
	s_cmp_lt_i32 s22, 24
	s_cbranch_scc1 .LBB6_1401
; %bb.1390:
	s_cmp_gt_i32 s22, 24
	s_cbranch_scc0 .LBB6_1402
; %bb.1391:
	global_load_ubyte v8, v[6:7], off
	s_movk_i32 s12, 0x7f
	s_waitcnt vmcnt(0)
	v_cmp_lt_i16_e32 vcc, s12, v8
	s_mov_b64 s[12:13], 0
	s_and_saveexec_b64 s[16:17], vcc
	s_xor_b64 s[16:17], exec, s[16:17]
	s_cbranch_execz .LBB6_1395
; %bb.1392:
	s_movk_i32 s12, 0x80
	v_cmp_eq_u16_e32 vcc, s12, v8
	s_mov_b64 s[12:13], -1
	s_and_saveexec_b64 s[18:19], vcc
; %bb.1393:
	s_xor_b64 s[12:13], exec, -1
; %bb.1394:
	s_or_b64 exec, exec, s[18:19]
	s_and_b64 s[12:13], s[12:13], exec
.LBB6_1395:
	s_or_saveexec_b64 s[16:17], s[16:17]
	v_bfrev_b32_e32 v2, 4
	v_mov_b32_e32 v3, 0x7ff80000
	s_xor_b64 exec, exec, s[16:17]
; %bb.1396:
	v_cmp_ne_u16_e32 vcc, 0, v8
	v_mov_b32_e32 v2, 0
	s_andn2_b64 s[12:13], s[12:13], exec
	s_and_b64 s[18:19], vcc, exec
	v_mov_b32_e32 v3, 0
	s_or_b64 s[12:13], s[12:13], s[18:19]
; %bb.1397:
	s_or_b64 exec, exec, s[16:17]
	s_and_saveexec_b64 s[16:17], s[12:13]
	s_cbranch_execz .LBB6_1399
; %bb.1398:
	v_and_b32_e32 v3, 0xffff, v8
	v_lshlrev_b32_e32 v2, 24, v8
	v_and_b32_e32 v8, 3, v3
	v_ffbh_u32_e32 v11, v8
	v_min_u32_e32 v11, 32, v11
	v_subrev_u32_e32 v12, 29, v11
	v_bfe_u32 v9, v3, 2, 5
	v_lshlrev_b32_e32 v3, v12, v3
	v_sub_u32_e32 v11, 30, v11
	v_and_b32_e32 v3, 3, v3
	v_cmp_eq_u32_e32 vcc, 0, v9
	v_cndmask_b32_e32 v9, v9, v11, vcc
	v_cndmask_b32_e32 v3, v8, v3, vcc
	v_mov_b32_e32 v8, 0x37800000
	v_lshlrev_b32_e32 v3, 21, v3
	v_and_b32_e32 v2, 0x80000000, v2
	v_lshl_add_u32 v8, v9, 23, v8
	v_or3_b32 v2, v2, v8, v3
	v_cvt_f64_f32_e32 v[2:3], v2
.LBB6_1399:
	s_or_b64 exec, exec, s[16:17]
	s_mov_b64 s[12:13], 0
	s_branch .LBB6_1403
.LBB6_1400:
	s_mov_b64 s[12:13], -1
                                        ; implicit-def: $vgpr2_vgpr3
	s_branch .LBB6_1409
.LBB6_1401:
	s_mov_b64 s[12:13], -1
                                        ; implicit-def: $vgpr2_vgpr3
	s_branch .LBB6_1406
.LBB6_1402:
	s_mov_b64 s[12:13], -1
                                        ; implicit-def: $vgpr2_vgpr3
.LBB6_1403:
	s_and_b64 vcc, exec, s[12:13]
	s_cbranch_vccz .LBB6_1405
; %bb.1404:
	global_load_ubyte v2, v[6:7], off
	s_mov_b32 s12, 0x7f800000
	s_waitcnt vmcnt(0)
	v_lshlrev_b32_e32 v2, 24, v2
	v_and_b32_e32 v3, 0x7f000000, v2
	v_ffbh_u32_e32 v8, v3
	v_min_u32_e32 v8, 32, v8
	v_sub_u32_e64 v8, v8, 4 clamp
	v_lshlrev_b32_e32 v11, v8, v3
	v_lshlrev_b32_e32 v8, 23, v8
	v_lshrrev_b32_e32 v11, 4, v11
	v_add_u32_e32 v9, 0x1000000, v3
	v_sub_u32_e32 v8, v11, v8
	v_ashrrev_i32_e32 v9, 8, v9
	v_add_u32_e32 v8, 0x3c000000, v8
	v_and_or_b32 v8, v9, s12, v8
	v_cmp_ne_u32_e32 vcc, 0, v3
	v_cndmask_b32_e32 v3, 0, v8, vcc
	s_brev_b32 s12, 1
	v_and_or_b32 v2, v2, s12, v3
	v_cvt_f64_f32_e32 v[2:3], v2
.LBB6_1405:
	s_mov_b64 s[12:13], 0
.LBB6_1406:
	s_andn2_b64 vcc, exec, s[12:13]
	s_cbranch_vccnz .LBB6_1408
; %bb.1407:
	global_load_ubyte v2, v[6:7], off
	s_movk_i32 s12, 0x7f00
	s_brev_b32 s13, 16
	s_waitcnt vmcnt(0)
	v_lshlrev_b16_e32 v3, 8, v2
	v_lshlrev_b32_e32 v2, 25, v2
	v_lshrrev_b32_e32 v8, 4, v2
	v_and_or_b32 v9, v3, s12, 0.5
	v_or_b32_e32 v8, 0x70000000, v8
	v_add_f32_e32 v9, -0.5, v9
	v_mul_f32_e32 v8, 0x7800000, v8
	v_cmp_gt_u32_e32 vcc, s13, v2
	v_bfe_i32 v3, v3, 0, 16
	v_cndmask_b32_e32 v2, v8, v9, vcc
	s_brev_b32 s12, 1
	v_and_or_b32 v2, v3, s12, v2
	v_cvt_f64_f32_e32 v[2:3], v2
.LBB6_1408:
	s_mov_b64 s[12:13], 0
	s_mov_b64 s[16:17], -1
.LBB6_1409:
	s_andn2_b64 vcc, exec, s[12:13]
	s_mov_b64 s[12:13], 0
	s_cbranch_vccnz .LBB6_1418
; %bb.1410:
	s_cmp_gt_i32 s22, 14
	s_cbranch_scc0 .LBB6_1413
; %bb.1411:
	s_cmp_eq_u32 s22, 15
	s_cbranch_scc0 .LBB6_1414
; %bb.1412:
	global_load_ushort v2, v[6:7], off
	s_mov_b64 s[0:1], 0
	s_mov_b64 s[16:17], -1
	s_waitcnt vmcnt(0)
	v_lshlrev_b32_e32 v2, 16, v2
	v_cvt_f64_f32_e32 v[2:3], v2
	s_branch .LBB6_1415
.LBB6_1413:
	s_mov_b64 s[18:19], -1
                                        ; implicit-def: $vgpr2_vgpr3
	s_branch .LBB6_1416
.LBB6_1414:
	s_mov_b64 s[0:1], -1
                                        ; implicit-def: $vgpr2_vgpr3
.LBB6_1415:
	s_mov_b64 s[18:19], 0
.LBB6_1416:
	s_and_b64 vcc, exec, s[18:19]
	s_cbranch_vccz .LBB6_1418
; %bb.1417:
	s_cmp_lg_u32 s22, 11
	s_mov_b64 s[12:13], -1
	s_cselect_b64 s[0:1], -1, 0
.LBB6_1418:
	s_and_b64 vcc, exec, s[0:1]
	s_cbranch_vccnz .LBB6_1491
; %bb.1419:
	s_andn2_b64 vcc, exec, s[12:13]
	s_cbranch_vccnz .LBB6_1421
.LBB6_1420:
	global_load_ubyte v3, v[6:7], off
	v_mov_b32_e32 v8, 0x3ff00000
	v_mov_b32_e32 v2, 0
	s_mov_b64 s[16:17], -1
	s_waitcnt vmcnt(0)
	v_cmp_ne_u16_e32 vcc, 0, v3
	v_cndmask_b32_e32 v3, 0, v8, vcc
.LBB6_1421:
	s_branch .LBB6_1349
.LBB6_1422:
	s_cmp_lt_i32 s22, 5
	s_cbranch_scc1 .LBB6_1427
; %bb.1423:
	s_cmp_lt_i32 s22, 8
	s_cbranch_scc1 .LBB6_1428
; %bb.1424:
	;; [unrolled: 3-line block ×3, first 2 shown]
	s_cmp_gt_i32 s22, 9
	s_cbranch_scc0 .LBB6_1430
; %bb.1426:
	global_load_dwordx2 v[2:3], v[6:7], off
	s_mov_b64 s[0:1], 0
	s_branch .LBB6_1431
.LBB6_1427:
	s_mov_b64 s[0:1], -1
                                        ; implicit-def: $vgpr2_vgpr3
	s_branch .LBB6_1449
.LBB6_1428:
	s_mov_b64 s[0:1], -1
                                        ; implicit-def: $vgpr2_vgpr3
	s_branch .LBB6_1437
.LBB6_1429:
	s_mov_b64 s[0:1], -1
                                        ; implicit-def: $vgpr2_vgpr3
	s_branch .LBB6_1434
.LBB6_1430:
	s_mov_b64 s[0:1], -1
                                        ; implicit-def: $vgpr2_vgpr3
.LBB6_1431:
	s_andn2_b64 vcc, exec, s[0:1]
	s_cbranch_vccnz .LBB6_1433
; %bb.1432:
	global_load_dword v2, v[6:7], off
	s_waitcnt vmcnt(0)
	v_cvt_f64_f32_e32 v[2:3], v2
.LBB6_1433:
	s_mov_b64 s[0:1], 0
.LBB6_1434:
	s_andn2_b64 vcc, exec, s[0:1]
	s_cbranch_vccnz .LBB6_1436
; %bb.1435:
	global_load_dword v2, v[6:7], off
	s_waitcnt vmcnt(0)
	v_cvt_f32_f16_e32 v2, v2
	v_cvt_f64_f32_e32 v[2:3], v2
.LBB6_1436:
	s_mov_b64 s[0:1], 0
.LBB6_1437:
	s_andn2_b64 vcc, exec, s[0:1]
	s_cbranch_vccnz .LBB6_1448
; %bb.1438:
	s_cmp_lt_i32 s22, 6
	s_cbranch_scc1 .LBB6_1441
; %bb.1439:
	s_cmp_gt_i32 s22, 6
	s_cbranch_scc0 .LBB6_1442
; %bb.1440:
	global_load_dwordx2 v[2:3], v[6:7], off
	s_mov_b64 s[0:1], 0
	s_branch .LBB6_1443
.LBB6_1441:
	s_mov_b64 s[0:1], -1
                                        ; implicit-def: $vgpr2_vgpr3
	s_branch .LBB6_1446
.LBB6_1442:
	s_mov_b64 s[0:1], -1
                                        ; implicit-def: $vgpr2_vgpr3
.LBB6_1443:
	s_andn2_b64 vcc, exec, s[0:1]
	s_cbranch_vccnz .LBB6_1445
; %bb.1444:
	global_load_dword v2, v[6:7], off
	s_waitcnt vmcnt(0)
	v_cvt_f64_f32_e32 v[2:3], v2
.LBB6_1445:
	s_mov_b64 s[0:1], 0
.LBB6_1446:
	s_andn2_b64 vcc, exec, s[0:1]
	s_cbranch_vccnz .LBB6_1448
; %bb.1447:
	global_load_ushort v2, v[6:7], off
	s_waitcnt vmcnt(0)
	v_cvt_f32_f16_e32 v2, v2
	v_cvt_f64_f32_e32 v[2:3], v2
.LBB6_1448:
	s_mov_b64 s[0:1], 0
.LBB6_1449:
	s_andn2_b64 vcc, exec, s[0:1]
	s_cbranch_vccnz .LBB6_1469
; %bb.1450:
	s_cmp_lt_i32 s22, 2
	s_cbranch_scc1 .LBB6_1454
; %bb.1451:
	s_cmp_lt_i32 s22, 3
	s_cbranch_scc1 .LBB6_1455
; %bb.1452:
	s_cmp_gt_i32 s22, 3
	s_cbranch_scc0 .LBB6_1456
; %bb.1453:
	global_load_dwordx2 v[2:3], v[6:7], off
	s_mov_b64 s[0:1], 0
	s_waitcnt vmcnt(0)
	v_cvt_f64_i32_e32 v[8:9], v3
	v_cvt_f64_u32_e32 v[2:3], v2
	v_ldexp_f64 v[8:9], v[8:9], 32
	v_add_f64 v[2:3], v[8:9], v[2:3]
	s_branch .LBB6_1457
.LBB6_1454:
	s_mov_b64 s[0:1], -1
                                        ; implicit-def: $vgpr2_vgpr3
	s_branch .LBB6_1463
.LBB6_1455:
	s_mov_b64 s[0:1], -1
                                        ; implicit-def: $vgpr2_vgpr3
	s_branch .LBB6_1460
.LBB6_1456:
	s_mov_b64 s[0:1], -1
                                        ; implicit-def: $vgpr2_vgpr3
.LBB6_1457:
	s_andn2_b64 vcc, exec, s[0:1]
	s_cbranch_vccnz .LBB6_1459
; %bb.1458:
	global_load_dword v2, v[6:7], off
	s_waitcnt vmcnt(0)
	v_cvt_f64_i32_e32 v[2:3], v2
.LBB6_1459:
	s_mov_b64 s[0:1], 0
.LBB6_1460:
	s_andn2_b64 vcc, exec, s[0:1]
	s_cbranch_vccnz .LBB6_1462
; %bb.1461:
	global_load_sshort v2, v[6:7], off
	s_waitcnt vmcnt(0)
	v_cvt_f64_i32_e32 v[2:3], v2
.LBB6_1462:
	s_mov_b64 s[0:1], 0
.LBB6_1463:
	s_andn2_b64 vcc, exec, s[0:1]
	s_cbranch_vccnz .LBB6_1469
; %bb.1464:
	s_cmp_gt_i32 s22, 0
	s_cbranch_scc0 .LBB6_1466
; %bb.1465:
	global_load_sbyte v2, v[6:7], off
	s_mov_b64 s[0:1], 0
	s_waitcnt vmcnt(0)
	v_cvt_f64_i32_e32 v[2:3], v2
	s_branch .LBB6_1467
.LBB6_1466:
	s_mov_b64 s[0:1], -1
                                        ; implicit-def: $vgpr2_vgpr3
.LBB6_1467:
	s_andn2_b64 vcc, exec, s[0:1]
	s_cbranch_vccnz .LBB6_1469
; %bb.1468:
	global_load_ubyte v2, v[6:7], off
	s_waitcnt vmcnt(0)
	v_cvt_f64_u32_e32 v[2:3], v2
.LBB6_1469:
.LBB6_1470:
	s_mov_b32 s0, 0
	s_mov_b32 s1, 0x7ff00000
	s_waitcnt vmcnt(0)
	v_cmp_neq_f64_e64 s[0:1], |v[2:3]|, s[0:1]
	v_mov_b32_e32 v8, 0
	v_mov_b32_e32 v9, 0
	s_and_saveexec_b64 s[12:13], s[0:1]
	s_cbranch_execz .LBB6_1480
; %bb.1471:
	v_cmp_nlt_f64_e64 s[0:1], |v[2:3]|, 0.5
                                        ; implicit-def: $vgpr8_vgpr9
	s_and_saveexec_b64 s[16:17], s[0:1]
	s_xor_b64 s[16:17], exec, s[16:17]
	s_cbranch_execz .LBB6_1477
; %bb.1472:
	s_mov_b32 s0, 0
	s_mov_b32 s1, 0x41d00000
	v_cmp_nlt_f64_e64 s[0:1], |v[2:3]|, s[0:1]
                                        ; implicit-def: $vgpr11
                                        ; implicit-def: $vgpr6_vgpr7
                                        ; implicit-def: $vgpr8_vgpr9
	s_and_saveexec_b64 s[18:19], s[0:1]
	s_xor_b64 s[18:19], exec, s[18:19]
	s_cbranch_execz .LBB6_1474
; %bb.1473:
	v_trig_preop_f64 v[6:7], |v[2:3]|, 0
	s_mov_b32 s0, 0
	s_mov_b32 s1, 0x7b000000
	s_movk_i32 s20, 0xff80
	v_ldexp_f64 v[11:12], |v[2:3]|, s20
	v_cmp_ge_f64_e64 vcc, |v[2:3]|, s[0:1]
	v_trig_preop_f64 v[8:9], |v[2:3]|, 1
	v_and_b32_e32 v13, 0x7fffffff, v3
	v_trig_preop_f64 v[21:22], |v[2:3]|, 2
	s_mov_b32 s0, 0
	s_mov_b32 s1, 0x7ff00000
	v_mov_b32_e32 v31, 0
	s_mov_b32 s20, 0x33145c07
	v_cndmask_b32_e32 v12, v13, v12, vcc
	v_cndmask_b32_e32 v11, v2, v11, vcc
	v_mov_b32_e32 v13, 0x40100000
	v_mul_f64 v[15:16], v[6:7], v[11:12]
	s_mov_b32 s21, 0x3c91a626
	v_mul_f64 v[17:18], v[8:9], v[11:12]
	v_mul_f64 v[27:28], v[21:22], v[11:12]
	v_fma_f64 v[6:7], v[6:7], v[11:12], -v[15:16]
	v_fma_f64 v[8:9], v[8:9], v[11:12], -v[17:18]
	;; [unrolled: 1-line block ×3, first 2 shown]
	v_add_f64 v[19:20], v[17:18], v[6:7]
	v_add_f64 v[23:24], v[19:20], -v[17:18]
	v_add_f64 v[29:30], v[15:16], v[19:20]
	v_add_f64 v[25:26], v[19:20], -v[23:24]
	v_add_f64 v[6:7], v[6:7], -v[23:24]
	v_add_f64 v[23:24], v[27:28], v[8:9]
	v_add_f64 v[15:16], v[29:30], -v[15:16]
	v_add_f64 v[17:18], v[17:18], -v[25:26]
	v_ldexp_f64 v[25:26], v[29:30], -2
	v_add_f64 v[33:34], v[23:24], -v[27:28]
	v_add_f64 v[15:16], v[19:20], -v[15:16]
	v_add_f64 v[6:7], v[6:7], v[17:18]
	v_fract_f64_e32 v[17:18], v[25:26]
	v_cmp_neq_f64_e64 vcc, |v[25:26]|, s[0:1]
	v_add_f64 v[8:9], v[8:9], -v[33:34]
	v_add_f64 v[19:20], v[23:24], v[6:7]
	v_ldexp_f64 v[17:18], v[17:18], 2
	v_add_f64 v[25:26], v[15:16], v[19:20]
	v_cndmask_b32_e32 v18, 0, v18, vcc
	v_cndmask_b32_e32 v17, 0, v17, vcc
	v_add_f64 v[35:36], v[19:20], -v[23:24]
	v_add_f64 v[29:30], v[25:26], v[17:18]
	v_add_f64 v[15:16], v[25:26], -v[15:16]
	v_add_f64 v[37:38], v[19:20], -v[35:36]
	;; [unrolled: 1-line block ×3, first 2 shown]
	v_cmp_gt_f64_e32 vcc, 0, v[29:30]
	v_add_f64 v[29:30], v[23:24], -v[33:34]
	v_add_f64 v[15:16], v[19:20], -v[15:16]
	;; [unrolled: 1-line block ×3, first 2 shown]
	v_cndmask_b32_e32 v32, 0, v13, vcc
	v_add_f64 v[17:18], v[17:18], v[31:32]
	v_add_f64 v[29:30], v[27:28], -v[29:30]
	v_add_f64 v[6:7], v[6:7], v[23:24]
	v_add_f64 v[39:40], v[25:26], v[17:18]
	;; [unrolled: 1-line block ×3, first 2 shown]
	v_cvt_i32_f64_e32 v34, v[39:40]
	v_add_f64 v[6:7], v[8:9], v[6:7]
	v_cvt_f64_i32_e32 v[32:33], v34
	v_add_f64 v[17:18], v[17:18], -v[32:33]
	v_add_f64 v[6:7], v[11:12], v[6:7]
	v_add_f64 v[8:9], v[25:26], v[17:18]
	;; [unrolled: 1-line block ×3, first 2 shown]
	v_mov_b32_e32 v15, 0x3ff00000
	v_add_f64 v[11:12], v[8:9], -v[17:18]
	v_cmp_le_f64_e32 vcc, 0.5, v[8:9]
	v_add_f64 v[12:13], v[25:26], -v[11:12]
	v_cndmask_b32_e32 v32, 0, v15, vcc
	v_add_f64 v[8:9], v[8:9], -v[31:32]
	v_addc_co_u32_e64 v11, s[0:1], 0, v34, vcc
	s_mov_b32 s0, 0x54442d18
	s_mov_b32 s1, 0x3ff921fb
	v_add_f64 v[6:7], v[6:7], v[12:13]
	v_add_f64 v[12:13], v[8:9], v[6:7]
	v_mul_f64 v[15:16], v[12:13], s[0:1]
	v_add_f64 v[8:9], v[12:13], -v[8:9]
	v_fma_f64 v[17:18], v[12:13], s[0:1], -v[15:16]
	v_add_f64 v[6:7], v[6:7], -v[8:9]
	v_fma_f64 v[8:9], v[12:13], s[20:21], v[17:18]
	v_fma_f64 v[8:9], v[6:7], s[0:1], v[8:9]
	v_add_f64 v[6:7], v[15:16], v[8:9]
	v_add_f64 v[12:13], v[6:7], -v[15:16]
	v_add_f64 v[8:9], v[8:9], -v[12:13]
.LBB6_1474:
	s_andn2_saveexec_b64 s[0:1], s[18:19]
	s_cbranch_execz .LBB6_1476
; %bb.1475:
	s_mov_b32 s18, 0x6dc9c883
	s_mov_b32 s19, 0x3fe45f30
	v_mul_f64 v[6:7], |v[2:3]|, s[18:19]
	s_mov_b32 s18, 0x54442d18
	s_mov_b32 s19, 0xbff921fb
	;; [unrolled: 1-line block ×4, first 2 shown]
	v_rndne_f64_e32 v[11:12], v[6:7]
	v_fma_f64 v[6:7], v[11:12], s[18:19], |v[2:3]|
	v_mul_f64 v[8:9], v[11:12], s[20:21]
	s_mov_b32 s18, 0x252049c0
	s_mov_b32 s19, 0xb97b839a
	v_fma_f64 v[19:20], v[11:12], s[20:21], v[6:7]
	v_add_f64 v[15:16], v[6:7], v[8:9]
	s_mov_b32 s21, 0x3c91a626
	v_add_f64 v[17:18], v[6:7], -v[15:16]
	v_add_f64 v[15:16], v[15:16], -v[19:20]
	v_add_f64 v[6:7], v[17:18], v[8:9]
	v_fma_f64 v[8:9], v[11:12], s[20:21], v[8:9]
	v_add_f64 v[6:7], v[15:16], v[6:7]
	v_add_f64 v[6:7], v[6:7], -v[8:9]
	v_fma_f64 v[8:9], v[11:12], s[18:19], v[6:7]
	v_cvt_i32_f64_e32 v11, v[11:12]
	v_add_f64 v[6:7], v[19:20], v[8:9]
	v_add_f64 v[15:16], v[6:7], -v[19:20]
	v_add_f64 v[8:9], v[8:9], -v[15:16]
.LBB6_1476:
	s_or_b64 exec, exec, s[0:1]
	v_mul_f64 v[12:13], v[6:7], v[6:7]
	s_mov_b32 s0, 0xf9a43bb8
	v_mov_b32_e32 v16, 0xb42fdfa7
	v_mov_b32_e32 v17, 0xbe5ae600
	s_mov_b32 s1, 0x3de5e0b2
	s_mov_b32 s18, 0x796cde01
	v_mov_b32_e32 v15, 0x9037ab78
	s_mov_b32 s19, 0x3ec71de3
	v_fma_f64 v[17:18], v[12:13], s[0:1], v[16:17]
	s_mov_b32 s0, 0x46cc5e42
	v_mov_b32_e32 v16, 0x3e21eeb6
	s_mov_b32 s1, 0xbda907db
	v_fma_f64 v[15:16], v[12:13], s[0:1], v[15:16]
	v_mul_f64 v[19:20], v[12:13], 0.5
	s_mov_b32 s0, 0xa17f65f6
	s_mov_b32 s20, 0x19e83e5c
	v_fma_f64 v[17:18], v[12:13], v[17:18], s[18:19]
	s_mov_b32 s1, 0xbe927e4f
	s_mov_b32 s21, 0xbf2a01a0
	;; [unrolled: 1-line block ×3, first 2 shown]
	v_fma_f64 v[15:16], v[12:13], v[15:16], s[0:1]
	v_add_f64 v[21:22], -v[19:20], 1.0
	s_mov_b32 s0, 0x11110bb3
	s_mov_b32 s19, 0x3efa01a0
	v_fma_f64 v[17:18], v[12:13], v[17:18], s[20:21]
	s_mov_b32 s1, 0x3f811111
	v_mul_f64 v[23:24], v[8:9], 0.5
	v_mul_f64 v[25:26], v[6:7], -v[12:13]
	v_fma_f64 v[15:16], v[12:13], v[15:16], s[18:19]
	v_add_f64 v[27:28], -v[21:22], 1.0
	v_fma_f64 v[17:18], v[12:13], v[17:18], s[0:1]
	s_mov_b32 s0, 0x16c16967
	s_mov_b32 s1, 0xbf56c16c
	v_fma_f64 v[15:16], v[12:13], v[15:16], s[0:1]
	v_add_f64 v[19:20], v[27:28], -v[19:20]
	s_mov_b32 s1, 0x3fa55555
	s_mov_b32 s0, 0x55555555
	v_fma_f64 v[17:18], v[25:26], v[17:18], v[23:24]
	v_mul_f64 v[23:24], v[12:13], v[12:13]
	v_fma_f64 v[15:16], v[12:13], v[15:16], s[0:1]
	v_fma_f64 v[19:20], v[6:7], -v[8:9], v[19:20]
	s_mov_b32 s1, 0xbfc55555
	v_fma_f64 v[8:9], v[12:13], v[17:18], -v[8:9]
	v_fma_f64 v[12:13], v[23:24], v[15:16], v[19:20]
	v_fma_f64 v[8:9], v[25:26], s[0:1], v[8:9]
	s_movk_i32 s0, 0x1f8
	v_cmp_class_f64_e64 s[0:1], v[2:3], s0
	v_add_f64 v[12:13], v[21:22], v[12:13]
	v_add_f64 v[6:7], v[6:7], -v[8:9]
	v_and_b32_e32 v8, 1, v11
	v_cmp_eq_u32_e32 vcc, 0, v8
	v_lshlrev_b32_e32 v8, 30, v11
	v_xor_b32_e32 v8, v8, v3
	v_and_b32_e32 v8, 0x80000000, v8
	v_mov_b32_e32 v9, 0x7ff80000
	v_cndmask_b32_e32 v7, v13, v7, vcc
	v_cndmask_b32_e32 v6, v12, v6, vcc
	v_xor_b32_e32 v7, v7, v8
	v_cndmask_b32_e64 v6, 0, v6, s[0:1]
	v_cndmask_b32_e64 v7, v9, v7, s[0:1]
	v_div_scale_f64 v[8:9], s[0:1], v[2:3], v[2:3], v[6:7]
	v_div_scale_f64 v[17:18], vcc, v[6:7], v[2:3], v[6:7]
	v_rcp_f64_e32 v[11:12], v[8:9]
	v_fma_f64 v[15:16], -v[8:9], v[11:12], 1.0
	v_fma_f64 v[11:12], v[11:12], v[15:16], v[11:12]
	v_fma_f64 v[15:16], -v[8:9], v[11:12], 1.0
	v_fma_f64 v[11:12], v[11:12], v[15:16], v[11:12]
	v_mul_f64 v[15:16], v[17:18], v[11:12]
	v_fma_f64 v[8:9], -v[8:9], v[15:16], v[17:18]
	v_div_fmas_f64 v[8:9], v[8:9], v[11:12], v[15:16]
	v_div_fixup_f64 v[8:9], v[8:9], v[2:3], v[6:7]
                                        ; implicit-def: $vgpr2_vgpr3
.LBB6_1477:
	s_andn2_saveexec_b64 s[0:1], s[16:17]
	s_cbranch_execz .LBB6_1479
; %bb.1478:
	v_mul_f64 v[2:3], v[2:3], v[2:3]
	s_mov_b32 s16, 0x13a86d09
	v_mov_b32_e32 v6, 0x67f544e4
	v_mov_b32_e32 v7, 0xbe5ae645
	s_mov_b32 s17, 0x3de61246
	v_fma_f64 v[6:7], v[2:3], s[16:17], v[6:7]
	s_mov_b32 s16, 0xa556c734
	s_mov_b32 s17, 0x3ec71de3
	v_fma_f64 v[6:7], v[2:3], v[6:7], s[16:17]
	s_mov_b32 s16, 0x1a01a01a
	s_mov_b32 s17, 0xbf2a01a0
	v_fma_f64 v[6:7], v[2:3], v[6:7], s[16:17]
	s_mov_b32 s16, 0x11111111
	s_mov_b32 s17, 0x3f811111
	v_fma_f64 v[6:7], v[2:3], v[6:7], s[16:17]
	s_mov_b32 s16, 0x55555555
	s_mov_b32 s17, 0xbfc55555
	v_fma_f64 v[6:7], v[2:3], v[6:7], s[16:17]
	v_fma_f64 v[8:9], v[2:3], v[6:7], 1.0
.LBB6_1479:
	s_or_b64 exec, exec, s[0:1]
.LBB6_1480:
	s_or_b64 exec, exec, s[12:13]
	v_add_u32_e32 v2, s3, v10
	v_ashrrev_i32_e32 v3, 31, v2
	v_mov_b32_e32 v7, s11
	v_add_co_u32_e32 v6, vcc, s10, v2
	s_cmp_lt_i32 s22, 11
	v_addc_co_u32_e32 v7, vcc, v7, v3, vcc
	s_cbranch_scc1 .LBB6_1487
; %bb.1481:
	s_cmp_gt_i32 s22, 25
	s_mov_b64 s[10:11], 0
	s_cbranch_scc0 .LBB6_1488
; %bb.1482:
	s_cmp_gt_i32 s22, 28
	s_cbranch_scc0 .LBB6_1489
; %bb.1483:
	s_cmp_gt_i32 s22, 43
	;; [unrolled: 3-line block ×3, first 2 shown]
	s_cbranch_scc0 .LBB6_1492
; %bb.1485:
	s_cmp_eq_u32 s22, 46
	s_mov_b64 s[16:17], 0
	s_cbranch_scc0 .LBB6_1493
; %bb.1486:
	global_load_dword v2, v[6:7], off
	s_mov_b64 s[0:1], 0
	s_mov_b64 s[12:13], -1
	s_waitcnt vmcnt(0)
	v_lshlrev_b32_e32 v2, 16, v2
	v_cvt_f64_f32_e32 v[2:3], v2
	s_branch .LBB6_1494
.LBB6_1487:
	s_mov_b64 s[0:1], -1
	s_mov_b64 s[12:13], 0
                                        ; implicit-def: $vgpr2_vgpr3
	s_branch .LBB6_1560
.LBB6_1488:
	s_mov_b64 s[16:17], -1
	s_mov_b64 s[12:13], 0
	s_mov_b64 s[0:1], 0
                                        ; implicit-def: $vgpr2_vgpr3
	s_branch .LBB6_1525
.LBB6_1489:
	s_mov_b64 s[16:17], -1
	s_mov_b64 s[12:13], 0
	s_mov_b64 s[0:1], 0
                                        ; implicit-def: $vgpr2_vgpr3
	s_branch .LBB6_1504
.LBB6_1490:
	s_mov_b64 s[16:17], -1
	s_mov_b64 s[12:13], 0
	s_mov_b64 s[0:1], 0
                                        ; implicit-def: $vgpr2_vgpr3
	s_branch .LBB6_1499
.LBB6_1491:
	s_trap 2
	s_or_b64 s[14:15], s[14:15], exec
	s_cbranch_execz .LBB6_1420
	s_branch .LBB6_1421
.LBB6_1492:
	s_mov_b64 s[16:17], -1
	s_mov_b64 s[12:13], 0
	s_mov_b64 s[0:1], 0
                                        ; implicit-def: $vgpr2_vgpr3
	s_branch .LBB6_1494
.LBB6_1493:
	s_mov_b64 s[0:1], -1
                                        ; implicit-def: $vgpr2_vgpr3
	s_mov_b64 s[12:13], 0
.LBB6_1494:
	s_and_b64 vcc, exec, s[16:17]
	s_cbranch_vccz .LBB6_1498
; %bb.1495:
	s_cmp_eq_u32 s22, 44
	s_cbranch_scc0 .LBB6_1497
; %bb.1496:
	global_load_ubyte v10, v[6:7], off
	s_movk_i32 s3, 0xff
	v_bfrev_b32_e32 v11, 4
	v_mov_b32_e32 v12, 0x7ff80000
	v_bfrev_b32_e32 v13, 28
	s_mov_b64 s[0:1], 0
	s_mov_b64 s[12:13], -1
	s_waitcnt vmcnt(0)
	v_lshlrev_b32_e32 v2, 23, v10
	v_cvt_f64_f32_e32 v[2:3], v2
	v_cmp_ne_u32_e32 vcc, s3, v10
	v_cndmask_b32_e32 v2, v11, v2, vcc
	v_cndmask_b32_e32 v3, v12, v3, vcc
	v_cmp_ne_u32_e32 vcc, 0, v10
	v_cndmask_b32_e32 v3, v13, v3, vcc
	v_cndmask_b32_e32 v2, 0, v2, vcc
	s_branch .LBB6_1498
.LBB6_1497:
	s_mov_b64 s[0:1], -1
                                        ; implicit-def: $vgpr2_vgpr3
.LBB6_1498:
	s_mov_b64 s[16:17], 0
.LBB6_1499:
	s_and_b64 vcc, exec, s[16:17]
	s_cbranch_vccz .LBB6_1503
; %bb.1500:
	s_cmp_eq_u32 s22, 29
	s_cbranch_scc0 .LBB6_1502
; %bb.1501:
	global_load_dwordx2 v[2:3], v[6:7], off
	s_mov_b64 s[0:1], 0
	s_mov_b64 s[12:13], -1
	s_mov_b64 s[16:17], 0
	s_waitcnt vmcnt(0)
	v_cvt_f64_u32_e32 v[10:11], v3
	v_cvt_f64_u32_e32 v[2:3], v2
	v_ldexp_f64 v[10:11], v[10:11], 32
	v_add_f64 v[2:3], v[10:11], v[2:3]
	s_branch .LBB6_1504
.LBB6_1502:
	s_mov_b64 s[0:1], -1
                                        ; implicit-def: $vgpr2_vgpr3
.LBB6_1503:
	s_mov_b64 s[16:17], 0
.LBB6_1504:
	s_and_b64 vcc, exec, s[16:17]
	s_cbranch_vccz .LBB6_1524
; %bb.1505:
	s_cmp_lt_i32 s22, 27
	s_cbranch_scc1 .LBB6_1508
; %bb.1506:
	s_cmp_gt_i32 s22, 27
	s_cbranch_scc0 .LBB6_1509
; %bb.1507:
	global_load_dword v2, v[6:7], off
	s_mov_b64 s[12:13], 0
	s_waitcnt vmcnt(0)
	v_cvt_f64_u32_e32 v[2:3], v2
	s_branch .LBB6_1510
.LBB6_1508:
	s_mov_b64 s[12:13], -1
                                        ; implicit-def: $vgpr2_vgpr3
	s_branch .LBB6_1513
.LBB6_1509:
	s_mov_b64 s[12:13], -1
                                        ; implicit-def: $vgpr2_vgpr3
.LBB6_1510:
	s_andn2_b64 vcc, exec, s[12:13]
	s_cbranch_vccnz .LBB6_1512
; %bb.1511:
	global_load_ushort v2, v[6:7], off
	s_waitcnt vmcnt(0)
	v_cvt_f64_u32_e32 v[2:3], v2
.LBB6_1512:
	s_mov_b64 s[12:13], 0
.LBB6_1513:
	s_andn2_b64 vcc, exec, s[12:13]
	s_cbranch_vccnz .LBB6_1523
; %bb.1514:
	global_load_ubyte v10, v[6:7], off
	s_movk_i32 s3, 0x7f
	s_mov_b64 s[12:13], 0
	s_waitcnt vmcnt(0)
	v_cmp_lt_i16_e32 vcc, s3, v10
	s_and_saveexec_b64 s[16:17], vcc
	s_xor_b64 s[16:17], exec, s[16:17]
	s_cbranch_execz .LBB6_1518
; %bb.1515:
	s_movk_i32 s3, 0x80
	v_cmp_eq_u16_e32 vcc, s3, v10
	s_mov_b64 s[12:13], -1
	s_and_saveexec_b64 s[18:19], vcc
; %bb.1516:
	s_xor_b64 s[12:13], exec, -1
; %bb.1517:
	s_or_b64 exec, exec, s[18:19]
	s_and_b64 s[12:13], s[12:13], exec
.LBB6_1518:
	s_or_saveexec_b64 s[16:17], s[16:17]
	v_bfrev_b32_e32 v2, 4
	v_mov_b32_e32 v3, 0x7ff80000
	s_xor_b64 exec, exec, s[16:17]
; %bb.1519:
	v_cmp_ne_u16_e32 vcc, 0, v10
	v_mov_b32_e32 v2, 0
	s_andn2_b64 s[12:13], s[12:13], exec
	s_and_b64 s[18:19], vcc, exec
	v_mov_b32_e32 v3, 0
	s_or_b64 s[12:13], s[12:13], s[18:19]
; %bb.1520:
	s_or_b64 exec, exec, s[16:17]
	s_and_saveexec_b64 s[16:17], s[12:13]
	s_cbranch_execz .LBB6_1522
; %bb.1521:
	v_and_b32_e32 v3, 0xffff, v10
	v_lshlrev_b32_e32 v2, 24, v10
	v_and_b32_e32 v10, 7, v3
	v_ffbh_u32_e32 v12, v10
	v_min_u32_e32 v12, 32, v12
	v_subrev_u32_e32 v13, 28, v12
	v_bfe_u32 v11, v3, 3, 4
	v_lshlrev_b32_e32 v3, v13, v3
	v_sub_u32_e32 v12, 29, v12
	v_and_b32_e32 v3, 7, v3
	v_cmp_eq_u32_e32 vcc, 0, v11
	v_cndmask_b32_e32 v11, v11, v12, vcc
	v_cndmask_b32_e32 v3, v10, v3, vcc
	v_mov_b32_e32 v10, 0x3b800000
	v_lshlrev_b32_e32 v3, 20, v3
	v_and_b32_e32 v2, 0x80000000, v2
	v_lshl_add_u32 v10, v11, 23, v10
	v_or3_b32 v2, v2, v10, v3
	v_cvt_f64_f32_e32 v[2:3], v2
.LBB6_1522:
	s_or_b64 exec, exec, s[16:17]
.LBB6_1523:
	s_mov_b64 s[12:13], -1
.LBB6_1524:
	s_mov_b64 s[16:17], 0
.LBB6_1525:
	s_and_b64 vcc, exec, s[16:17]
	s_cbranch_vccz .LBB6_1556
; %bb.1526:
	s_cmp_gt_i32 s22, 22
	s_cbranch_scc0 .LBB6_1538
; %bb.1527:
	s_cmp_lt_i32 s22, 24
	s_cbranch_scc1 .LBB6_1539
; %bb.1528:
	s_cmp_gt_i32 s22, 24
	s_cbranch_scc0 .LBB6_1540
; %bb.1529:
	global_load_ubyte v10, v[6:7], off
	s_movk_i32 s3, 0x7f
	s_waitcnt vmcnt(0)
	v_cmp_lt_i16_e32 vcc, s3, v10
	s_and_saveexec_b64 s[12:13], vcc
	s_xor_b64 s[12:13], exec, s[12:13]
	s_cbranch_execz .LBB6_1533
; %bb.1530:
	s_movk_i32 s3, 0x80
	v_cmp_eq_u16_e32 vcc, s3, v10
	s_mov_b64 s[10:11], -1
	s_and_saveexec_b64 s[16:17], vcc
; %bb.1531:
	s_xor_b64 s[10:11], exec, -1
; %bb.1532:
	s_or_b64 exec, exec, s[16:17]
	s_and_b64 s[10:11], s[10:11], exec
.LBB6_1533:
	s_or_saveexec_b64 s[12:13], s[12:13]
	v_bfrev_b32_e32 v2, 4
	v_mov_b32_e32 v3, 0x7ff80000
	s_xor_b64 exec, exec, s[12:13]
; %bb.1534:
	v_cmp_ne_u16_e32 vcc, 0, v10
	v_mov_b32_e32 v2, 0
	s_andn2_b64 s[10:11], s[10:11], exec
	s_and_b64 s[16:17], vcc, exec
	v_mov_b32_e32 v3, 0
	s_or_b64 s[10:11], s[10:11], s[16:17]
; %bb.1535:
	s_or_b64 exec, exec, s[12:13]
	s_and_saveexec_b64 s[12:13], s[10:11]
	s_cbranch_execz .LBB6_1537
; %bb.1536:
	v_and_b32_e32 v3, 0xffff, v10
	v_lshlrev_b32_e32 v2, 24, v10
	v_and_b32_e32 v10, 3, v3
	v_ffbh_u32_e32 v12, v10
	v_min_u32_e32 v12, 32, v12
	v_subrev_u32_e32 v13, 29, v12
	v_bfe_u32 v11, v3, 2, 5
	v_lshlrev_b32_e32 v3, v13, v3
	v_sub_u32_e32 v12, 30, v12
	v_and_b32_e32 v3, 3, v3
	v_cmp_eq_u32_e32 vcc, 0, v11
	v_cndmask_b32_e32 v11, v11, v12, vcc
	v_cndmask_b32_e32 v3, v10, v3, vcc
	v_mov_b32_e32 v10, 0x37800000
	v_lshlrev_b32_e32 v3, 21, v3
	v_and_b32_e32 v2, 0x80000000, v2
	v_lshl_add_u32 v10, v11, 23, v10
	v_or3_b32 v2, v2, v10, v3
	v_cvt_f64_f32_e32 v[2:3], v2
.LBB6_1537:
	s_or_b64 exec, exec, s[12:13]
	s_mov_b64 s[10:11], 0
	s_branch .LBB6_1541
.LBB6_1538:
	s_mov_b64 s[10:11], -1
                                        ; implicit-def: $vgpr2_vgpr3
	s_branch .LBB6_1547
.LBB6_1539:
	s_mov_b64 s[10:11], -1
                                        ; implicit-def: $vgpr2_vgpr3
	s_branch .LBB6_1544
.LBB6_1540:
	s_mov_b64 s[10:11], -1
                                        ; implicit-def: $vgpr2_vgpr3
.LBB6_1541:
	s_and_b64 vcc, exec, s[10:11]
	s_cbranch_vccz .LBB6_1543
; %bb.1542:
	global_load_ubyte v2, v[6:7], off
	s_mov_b32 s3, 0x7f800000
	s_waitcnt vmcnt(0)
	v_lshlrev_b32_e32 v2, 24, v2
	v_and_b32_e32 v3, 0x7f000000, v2
	v_ffbh_u32_e32 v10, v3
	v_min_u32_e32 v10, 32, v10
	v_sub_u32_e64 v10, v10, 4 clamp
	v_lshlrev_b32_e32 v12, v10, v3
	v_lshlrev_b32_e32 v10, 23, v10
	v_lshrrev_b32_e32 v12, 4, v12
	v_add_u32_e32 v11, 0x1000000, v3
	v_sub_u32_e32 v10, v12, v10
	v_ashrrev_i32_e32 v11, 8, v11
	v_add_u32_e32 v10, 0x3c000000, v10
	v_and_or_b32 v10, v11, s3, v10
	v_cmp_ne_u32_e32 vcc, 0, v3
	v_cndmask_b32_e32 v3, 0, v10, vcc
	s_brev_b32 s3, 1
	v_and_or_b32 v2, v2, s3, v3
	v_cvt_f64_f32_e32 v[2:3], v2
.LBB6_1543:
	s_mov_b64 s[10:11], 0
.LBB6_1544:
	s_andn2_b64 vcc, exec, s[10:11]
	s_cbranch_vccnz .LBB6_1546
; %bb.1545:
	global_load_ubyte v2, v[6:7], off
	s_movk_i32 s3, 0x7f00
	s_brev_b32 s10, 16
	s_waitcnt vmcnt(0)
	v_lshlrev_b16_e32 v3, 8, v2
	v_lshlrev_b32_e32 v2, 25, v2
	v_lshrrev_b32_e32 v10, 4, v2
	v_and_or_b32 v11, v3, s3, 0.5
	v_or_b32_e32 v10, 0x70000000, v10
	v_add_f32_e32 v11, -0.5, v11
	v_mul_f32_e32 v10, 0x7800000, v10
	v_cmp_gt_u32_e32 vcc, s10, v2
	v_bfe_i32 v3, v3, 0, 16
	v_cndmask_b32_e32 v2, v10, v11, vcc
	s_brev_b32 s3, 1
	v_and_or_b32 v2, v3, s3, v2
	v_cvt_f64_f32_e32 v[2:3], v2
.LBB6_1546:
	s_mov_b64 s[10:11], 0
	s_mov_b64 s[12:13], -1
.LBB6_1547:
	s_andn2_b64 vcc, exec, s[10:11]
	s_mov_b64 s[10:11], 0
	s_cbranch_vccnz .LBB6_1556
; %bb.1548:
	s_cmp_gt_i32 s22, 14
	s_cbranch_scc0 .LBB6_1551
; %bb.1549:
	s_cmp_eq_u32 s22, 15
	s_cbranch_scc0 .LBB6_1552
; %bb.1550:
	global_load_ushort v2, v[6:7], off
	s_mov_b64 s[0:1], 0
	s_mov_b64 s[12:13], -1
	s_waitcnt vmcnt(0)
	v_lshlrev_b32_e32 v2, 16, v2
	v_cvt_f64_f32_e32 v[2:3], v2
	s_branch .LBB6_1553
.LBB6_1551:
	s_mov_b64 s[16:17], -1
                                        ; implicit-def: $vgpr2_vgpr3
	s_branch .LBB6_1554
.LBB6_1552:
	s_mov_b64 s[0:1], -1
                                        ; implicit-def: $vgpr2_vgpr3
.LBB6_1553:
	s_mov_b64 s[16:17], 0
.LBB6_1554:
	s_and_b64 vcc, exec, s[16:17]
	s_cbranch_vccz .LBB6_1556
; %bb.1555:
	s_cmp_lg_u32 s22, 11
	s_mov_b64 s[10:11], -1
	s_cselect_b64 s[0:1], -1, 0
.LBB6_1556:
	s_and_b64 vcc, exec, s[0:1]
	s_cbranch_vccnz .LBB6_2101
; %bb.1557:
	s_andn2_b64 vcc, exec, s[10:11]
	s_cbranch_vccnz .LBB6_1559
.LBB6_1558:
	global_load_ubyte v3, v[6:7], off
	v_mov_b32_e32 v10, 0x3ff00000
	v_mov_b32_e32 v2, 0
	s_mov_b64 s[12:13], -1
	s_waitcnt vmcnt(0)
	v_cmp_ne_u16_e32 vcc, 0, v3
	v_cndmask_b32_e32 v3, 0, v10, vcc
.LBB6_1559:
	s_mov_b64 s[0:1], 0
.LBB6_1560:
	s_and_b64 vcc, exec, s[0:1]
	s_cbranch_vccz .LBB6_1609
; %bb.1561:
	s_cmp_lt_i32 s22, 5
	s_cbranch_scc1 .LBB6_1566
; %bb.1562:
	s_cmp_lt_i32 s22, 8
	s_cbranch_scc1 .LBB6_1567
	;; [unrolled: 3-line block ×3, first 2 shown]
; %bb.1564:
	s_cmp_gt_i32 s22, 9
	s_cbranch_scc0 .LBB6_1569
; %bb.1565:
	global_load_dwordx2 v[2:3], v[6:7], off
	s_mov_b64 s[0:1], 0
	s_branch .LBB6_1570
.LBB6_1566:
	s_mov_b64 s[0:1], -1
                                        ; implicit-def: $vgpr2_vgpr3
	s_branch .LBB6_1588
.LBB6_1567:
	s_mov_b64 s[0:1], -1
                                        ; implicit-def: $vgpr2_vgpr3
	s_branch .LBB6_1576
.LBB6_1568:
	s_mov_b64 s[0:1], -1
                                        ; implicit-def: $vgpr2_vgpr3
	s_branch .LBB6_1573
.LBB6_1569:
	s_mov_b64 s[0:1], -1
                                        ; implicit-def: $vgpr2_vgpr3
.LBB6_1570:
	s_andn2_b64 vcc, exec, s[0:1]
	s_cbranch_vccnz .LBB6_1572
; %bb.1571:
	global_load_dword v2, v[6:7], off
	s_waitcnt vmcnt(0)
	v_cvt_f64_f32_e32 v[2:3], v2
.LBB6_1572:
	s_mov_b64 s[0:1], 0
.LBB6_1573:
	s_andn2_b64 vcc, exec, s[0:1]
	s_cbranch_vccnz .LBB6_1575
; %bb.1574:
	global_load_dword v2, v[6:7], off
	s_waitcnt vmcnt(0)
	v_cvt_f32_f16_e32 v2, v2
	v_cvt_f64_f32_e32 v[2:3], v2
.LBB6_1575:
	s_mov_b64 s[0:1], 0
.LBB6_1576:
	s_andn2_b64 vcc, exec, s[0:1]
	s_cbranch_vccnz .LBB6_1587
; %bb.1577:
	s_cmp_lt_i32 s22, 6
	s_cbranch_scc1 .LBB6_1580
; %bb.1578:
	s_cmp_gt_i32 s22, 6
	s_cbranch_scc0 .LBB6_1581
; %bb.1579:
	global_load_dwordx2 v[2:3], v[6:7], off
	s_mov_b64 s[0:1], 0
	s_branch .LBB6_1582
.LBB6_1580:
	s_mov_b64 s[0:1], -1
                                        ; implicit-def: $vgpr2_vgpr3
	s_branch .LBB6_1585
.LBB6_1581:
	s_mov_b64 s[0:1], -1
                                        ; implicit-def: $vgpr2_vgpr3
.LBB6_1582:
	s_andn2_b64 vcc, exec, s[0:1]
	s_cbranch_vccnz .LBB6_1584
; %bb.1583:
	global_load_dword v2, v[6:7], off
	s_waitcnt vmcnt(0)
	v_cvt_f64_f32_e32 v[2:3], v2
.LBB6_1584:
	s_mov_b64 s[0:1], 0
.LBB6_1585:
	s_andn2_b64 vcc, exec, s[0:1]
	s_cbranch_vccnz .LBB6_1587
; %bb.1586:
	global_load_ushort v2, v[6:7], off
	s_waitcnt vmcnt(0)
	v_cvt_f32_f16_e32 v2, v2
	v_cvt_f64_f32_e32 v[2:3], v2
.LBB6_1587:
	s_mov_b64 s[0:1], 0
.LBB6_1588:
	s_andn2_b64 vcc, exec, s[0:1]
	s_cbranch_vccnz .LBB6_1608
; %bb.1589:
	s_cmp_lt_i32 s22, 2
	s_cbranch_scc1 .LBB6_1593
; %bb.1590:
	s_cmp_lt_i32 s22, 3
	s_cbranch_scc1 .LBB6_1594
; %bb.1591:
	s_cmp_gt_i32 s22, 3
	s_cbranch_scc0 .LBB6_1595
; %bb.1592:
	global_load_dwordx2 v[2:3], v[6:7], off
	s_mov_b64 s[0:1], 0
	s_waitcnt vmcnt(0)
	v_cvt_f64_i32_e32 v[10:11], v3
	v_cvt_f64_u32_e32 v[2:3], v2
	v_ldexp_f64 v[10:11], v[10:11], 32
	v_add_f64 v[2:3], v[10:11], v[2:3]
	s_branch .LBB6_1596
.LBB6_1593:
	s_mov_b64 s[0:1], -1
                                        ; implicit-def: $vgpr2_vgpr3
	s_branch .LBB6_1602
.LBB6_1594:
	s_mov_b64 s[0:1], -1
                                        ; implicit-def: $vgpr2_vgpr3
	s_branch .LBB6_1599
.LBB6_1595:
	s_mov_b64 s[0:1], -1
                                        ; implicit-def: $vgpr2_vgpr3
.LBB6_1596:
	s_andn2_b64 vcc, exec, s[0:1]
	s_cbranch_vccnz .LBB6_1598
; %bb.1597:
	global_load_dword v2, v[6:7], off
	s_waitcnt vmcnt(0)
	v_cvt_f64_i32_e32 v[2:3], v2
.LBB6_1598:
	s_mov_b64 s[0:1], 0
.LBB6_1599:
	s_andn2_b64 vcc, exec, s[0:1]
	s_cbranch_vccnz .LBB6_1601
; %bb.1600:
	global_load_sshort v2, v[6:7], off
	s_waitcnt vmcnt(0)
	v_cvt_f64_i32_e32 v[2:3], v2
.LBB6_1601:
	s_mov_b64 s[0:1], 0
.LBB6_1602:
	s_andn2_b64 vcc, exec, s[0:1]
	s_cbranch_vccnz .LBB6_1608
; %bb.1603:
	s_cmp_gt_i32 s22, 0
	s_cbranch_scc0 .LBB6_1605
; %bb.1604:
	global_load_sbyte v2, v[6:7], off
	s_mov_b64 s[0:1], 0
	s_waitcnt vmcnt(0)
	v_cvt_f64_i32_e32 v[2:3], v2
	s_branch .LBB6_1606
.LBB6_1605:
	s_mov_b64 s[0:1], -1
                                        ; implicit-def: $vgpr2_vgpr3
.LBB6_1606:
	s_andn2_b64 vcc, exec, s[0:1]
	s_cbranch_vccnz .LBB6_1608
; %bb.1607:
	global_load_ubyte v2, v[6:7], off
	s_waitcnt vmcnt(0)
	v_cvt_f64_u32_e32 v[2:3], v2
.LBB6_1608:
	s_mov_b64 s[12:13], -1
.LBB6_1609:
	s_andn2_b64 vcc, exec, s[12:13]
	s_cbranch_vccnz .LBB6_1698
; %bb.1610:
	s_mov_b32 s0, 0
	s_mov_b32 s1, 0x7ff00000
	s_waitcnt vmcnt(0)
	v_cmp_neq_f64_e64 s[0:1], |v[2:3]|, s[0:1]
	v_mov_b32_e32 v12, 0
	v_mov_b32_e32 v13, 0
	s_and_saveexec_b64 s[10:11], s[0:1]
	s_cbranch_execz .LBB6_1620
; %bb.1611:
	v_cmp_nlt_f64_e64 s[0:1], |v[2:3]|, 0.5
                                        ; implicit-def: $vgpr12_vgpr13
	s_and_saveexec_b64 s[12:13], s[0:1]
	s_xor_b64 s[12:13], exec, s[12:13]
	s_cbranch_execz .LBB6_1617
; %bb.1612:
	s_mov_b32 s0, 0
	s_mov_b32 s1, 0x41d00000
	v_cmp_nlt_f64_e64 s[0:1], |v[2:3]|, s[0:1]
                                        ; implicit-def: $vgpr12
                                        ; implicit-def: $vgpr6_vgpr7
                                        ; implicit-def: $vgpr10_vgpr11
	s_and_saveexec_b64 s[16:17], s[0:1]
	s_xor_b64 s[0:1], exec, s[16:17]
	s_cbranch_execz .LBB6_1614
; %bb.1613:
	v_trig_preop_f64 v[10:11], |v[2:3]|, 0
	s_mov_b32 s16, 0
	s_mov_b32 s17, 0x7b000000
	s_movk_i32 s3, 0xff80
	v_ldexp_f64 v[6:7], |v[2:3]|, s3
	v_cmp_ge_f64_e64 vcc, |v[2:3]|, s[16:17]
	v_trig_preop_f64 v[12:13], |v[2:3]|, 1
	v_and_b32_e32 v15, 0x7fffffff, v3
	v_trig_preop_f64 v[21:22], |v[2:3]|, 2
	s_mov_b32 s16, 0
	s_mov_b32 s17, 0x7ff00000
	v_mov_b32_e32 v32, 0x40100000
	v_mov_b32_e32 v31, 0
	v_cndmask_b32_e32 v7, v15, v7, vcc
	v_cndmask_b32_e32 v6, v2, v6, vcc
	s_mov_b32 s18, 0x33145c07
	v_mul_f64 v[15:16], v[10:11], v[6:7]
	s_mov_b32 s19, 0x3c91a626
	v_mul_f64 v[17:18], v[12:13], v[6:7]
	v_mul_f64 v[27:28], v[21:22], v[6:7]
	v_fma_f64 v[10:11], v[10:11], v[6:7], -v[15:16]
	v_fma_f64 v[12:13], v[12:13], v[6:7], -v[17:18]
	;; [unrolled: 1-line block ×3, first 2 shown]
	v_add_f64 v[19:20], v[17:18], v[10:11]
	v_add_f64 v[23:24], v[19:20], -v[17:18]
	v_add_f64 v[29:30], v[15:16], v[19:20]
	v_add_f64 v[25:26], v[19:20], -v[23:24]
	v_add_f64 v[10:11], v[10:11], -v[23:24]
	v_add_f64 v[23:24], v[27:28], v[12:13]
	v_add_f64 v[15:16], v[29:30], -v[15:16]
	v_add_f64 v[17:18], v[17:18], -v[25:26]
	v_ldexp_f64 v[25:26], v[29:30], -2
	v_add_f64 v[33:34], v[23:24], -v[27:28]
	v_add_f64 v[15:16], v[19:20], -v[15:16]
	v_add_f64 v[10:11], v[10:11], v[17:18]
	v_fract_f64_e32 v[17:18], v[25:26]
	v_cmp_neq_f64_e64 vcc, |v[25:26]|, s[16:17]
	v_add_f64 v[12:13], v[12:13], -v[33:34]
	s_mov_b32 s16, 0x54442d18
	s_mov_b32 s17, 0x3ff921fb
	v_add_f64 v[19:20], v[23:24], v[10:11]
	v_ldexp_f64 v[17:18], v[17:18], 2
	v_add_f64 v[25:26], v[15:16], v[19:20]
	v_cndmask_b32_e32 v18, 0, v18, vcc
	v_cndmask_b32_e32 v17, 0, v17, vcc
	v_add_f64 v[35:36], v[19:20], -v[23:24]
	v_add_f64 v[29:30], v[25:26], v[17:18]
	v_add_f64 v[15:16], v[25:26], -v[15:16]
	v_add_f64 v[37:38], v[19:20], -v[35:36]
	;; [unrolled: 1-line block ×3, first 2 shown]
	v_cmp_gt_f64_e32 vcc, 0, v[29:30]
	v_add_f64 v[29:30], v[23:24], -v[33:34]
	v_add_f64 v[15:16], v[19:20], -v[15:16]
	;; [unrolled: 1-line block ×3, first 2 shown]
	v_cndmask_b32_e32 v32, 0, v32, vcc
	v_add_f64 v[17:18], v[17:18], v[31:32]
	v_add_f64 v[29:30], v[27:28], -v[29:30]
	v_add_f64 v[10:11], v[10:11], v[23:24]
	v_add_f64 v[39:40], v[25:26], v[17:18]
	v_add_f64 v[12:13], v[12:13], v[29:30]
	v_cvt_i32_f64_e32 v34, v[39:40]
	v_add_f64 v[10:11], v[12:13], v[10:11]
	v_cvt_f64_i32_e32 v[32:33], v34
	v_add_f64 v[17:18], v[17:18], -v[32:33]
	v_add_f64 v[6:7], v[6:7], v[10:11]
	v_add_f64 v[12:13], v[25:26], v[17:18]
	;; [unrolled: 1-line block ×3, first 2 shown]
	v_mov_b32_e32 v15, 0x3ff00000
	v_add_f64 v[10:11], v[12:13], -v[17:18]
	v_cmp_le_f64_e32 vcc, 0.5, v[12:13]
	v_add_f64 v[10:11], v[25:26], -v[10:11]
	v_cndmask_b32_e32 v32, 0, v15, vcc
	v_add_f64 v[6:7], v[6:7], v[10:11]
	v_add_f64 v[10:11], v[12:13], -v[31:32]
	v_add_f64 v[12:13], v[10:11], v[6:7]
	v_mul_f64 v[15:16], v[12:13], s[16:17]
	v_add_f64 v[10:11], v[12:13], -v[10:11]
	v_fma_f64 v[17:18], v[12:13], s[16:17], -v[15:16]
	v_add_f64 v[6:7], v[6:7], -v[10:11]
	v_fma_f64 v[10:11], v[12:13], s[18:19], v[17:18]
	v_fma_f64 v[10:11], v[6:7], s[16:17], v[10:11]
	v_add_f64 v[6:7], v[15:16], v[10:11]
	v_add_f64 v[12:13], v[6:7], -v[15:16]
	v_add_f64 v[10:11], v[10:11], -v[12:13]
	v_addc_co_u32_e32 v12, vcc, 0, v34, vcc
.LBB6_1614:
	s_andn2_saveexec_b64 s[0:1], s[0:1]
	s_cbranch_execz .LBB6_1616
; %bb.1615:
	s_mov_b32 s16, 0x6dc9c883
	s_mov_b32 s17, 0x3fe45f30
	v_mul_f64 v[6:7], |v[2:3]|, s[16:17]
	s_mov_b32 s16, 0x54442d18
	s_mov_b32 s17, 0xbff921fb
	s_mov_b32 s19, 0xbc91a626
	s_mov_b32 s18, 0x33145c00
	v_rndne_f64_e32 v[12:13], v[6:7]
	v_fma_f64 v[6:7], v[12:13], s[16:17], |v[2:3]|
	v_mul_f64 v[10:11], v[12:13], s[18:19]
	s_mov_b32 s16, 0x252049c0
	s_mov_b32 s17, 0xb97b839a
	v_fma_f64 v[19:20], v[12:13], s[18:19], v[6:7]
	v_add_f64 v[15:16], v[6:7], v[10:11]
	s_mov_b32 s19, 0x3c91a626
	v_add_f64 v[17:18], v[6:7], -v[15:16]
	v_add_f64 v[15:16], v[15:16], -v[19:20]
	v_add_f64 v[6:7], v[17:18], v[10:11]
	v_fma_f64 v[10:11], v[12:13], s[18:19], v[10:11]
	v_add_f64 v[6:7], v[15:16], v[6:7]
	v_add_f64 v[6:7], v[6:7], -v[10:11]
	v_fma_f64 v[10:11], v[12:13], s[16:17], v[6:7]
	v_cvt_i32_f64_e32 v12, v[12:13]
	v_add_f64 v[6:7], v[19:20], v[10:11]
	v_add_f64 v[15:16], v[6:7], -v[19:20]
	v_add_f64 v[10:11], v[10:11], -v[15:16]
.LBB6_1616:
	s_or_b64 exec, exec, s[0:1]
	v_mul_f64 v[15:16], v[6:7], v[6:7]
	s_mov_b32 s0, 0xf9a43bb8
	v_mov_b32_e32 v18, 0xb42fdfa7
	v_mov_b32_e32 v19, 0xbe5ae600
	s_mov_b32 s1, 0x3de5e0b2
	s_mov_b32 s16, 0x796cde01
	v_mov_b32_e32 v17, 0x9037ab78
	s_mov_b32 s17, 0x3ec71de3
	v_fma_f64 v[19:20], v[15:16], s[0:1], v[18:19]
	s_mov_b32 s0, 0x46cc5e42
	v_mov_b32_e32 v18, 0x3e21eeb6
	s_mov_b32 s1, 0xbda907db
	v_fma_f64 v[17:18], v[15:16], s[0:1], v[17:18]
	v_mul_f64 v[21:22], v[15:16], 0.5
	s_mov_b32 s0, 0xa17f65f6
	s_mov_b32 s18, 0x19e83e5c
	v_fma_f64 v[19:20], v[15:16], v[19:20], s[16:17]
	s_mov_b32 s1, 0xbe927e4f
	s_mov_b32 s19, 0xbf2a01a0
	;; [unrolled: 1-line block ×3, first 2 shown]
	v_fma_f64 v[17:18], v[15:16], v[17:18], s[0:1]
	v_add_f64 v[23:24], -v[21:22], 1.0
	s_mov_b32 s0, 0x11110bb3
	s_mov_b32 s17, 0x3efa01a0
	v_fma_f64 v[19:20], v[15:16], v[19:20], s[18:19]
	s_mov_b32 s1, 0x3f811111
	v_mul_f64 v[25:26], v[10:11], 0.5
	v_mul_f64 v[27:28], v[6:7], -v[15:16]
	v_fma_f64 v[17:18], v[15:16], v[17:18], s[16:17]
	v_add_f64 v[29:30], -v[23:24], 1.0
	v_fma_f64 v[19:20], v[15:16], v[19:20], s[0:1]
	s_mov_b32 s0, 0x16c16967
	s_mov_b32 s1, 0xbf56c16c
	v_fma_f64 v[17:18], v[15:16], v[17:18], s[0:1]
	v_add_f64 v[21:22], v[29:30], -v[21:22]
	s_mov_b32 s1, 0x3fa55555
	s_mov_b32 s0, 0x55555555
	v_fma_f64 v[19:20], v[27:28], v[19:20], v[25:26]
	v_mul_f64 v[25:26], v[15:16], v[15:16]
	v_fma_f64 v[17:18], v[15:16], v[17:18], s[0:1]
	v_fma_f64 v[21:22], v[6:7], -v[10:11], v[21:22]
	s_mov_b32 s1, 0xbfc55555
	v_fma_f64 v[10:11], v[15:16], v[19:20], -v[10:11]
	v_fma_f64 v[15:16], v[25:26], v[17:18], v[21:22]
	v_fma_f64 v[10:11], v[27:28], s[0:1], v[10:11]
	s_movk_i32 s0, 0x1f8
	v_cmp_class_f64_e64 s[0:1], v[2:3], s0
	v_add_f64 v[15:16], v[23:24], v[15:16]
	v_add_f64 v[6:7], v[6:7], -v[10:11]
	v_and_b32_e32 v10, 1, v12
	v_cmp_eq_u32_e32 vcc, 0, v10
	v_lshlrev_b32_e32 v10, 30, v12
	v_xor_b32_e32 v10, v10, v3
	v_and_b32_e32 v10, 0x80000000, v10
	v_mov_b32_e32 v11, 0x7ff80000
	v_cndmask_b32_e32 v7, v16, v7, vcc
	v_cndmask_b32_e32 v6, v15, v6, vcc
	v_xor_b32_e32 v7, v7, v10
	v_cndmask_b32_e64 v6, 0, v6, s[0:1]
	v_cndmask_b32_e64 v7, v11, v7, s[0:1]
	v_div_scale_f64 v[10:11], s[0:1], v[2:3], v[2:3], v[6:7]
	v_div_scale_f64 v[17:18], vcc, v[6:7], v[2:3], v[6:7]
	v_rcp_f64_e32 v[12:13], v[10:11]
	v_fma_f64 v[15:16], -v[10:11], v[12:13], 1.0
	v_fma_f64 v[12:13], v[12:13], v[15:16], v[12:13]
	v_fma_f64 v[15:16], -v[10:11], v[12:13], 1.0
	v_fma_f64 v[12:13], v[12:13], v[15:16], v[12:13]
	v_mul_f64 v[15:16], v[17:18], v[12:13]
	v_fma_f64 v[10:11], -v[10:11], v[15:16], v[17:18]
	v_div_fmas_f64 v[10:11], v[10:11], v[12:13], v[15:16]
	v_div_fixup_f64 v[12:13], v[10:11], v[2:3], v[6:7]
                                        ; implicit-def: $vgpr2_vgpr3
.LBB6_1617:
	s_andn2_saveexec_b64 s[0:1], s[12:13]
	s_cbranch_execz .LBB6_1619
; %bb.1618:
	v_mul_f64 v[2:3], v[2:3], v[2:3]
	s_mov_b32 s12, 0x13a86d09
	v_mov_b32_e32 v6, 0x67f544e4
	v_mov_b32_e32 v7, 0xbe5ae645
	s_mov_b32 s13, 0x3de61246
	v_fma_f64 v[6:7], v[2:3], s[12:13], v[6:7]
	s_mov_b32 s12, 0xa556c734
	s_mov_b32 s13, 0x3ec71de3
	v_fma_f64 v[6:7], v[2:3], v[6:7], s[12:13]
	s_mov_b32 s12, 0x1a01a01a
	;; [unrolled: 3-line block ×4, first 2 shown]
	s_mov_b32 s13, 0xbfc55555
	v_fma_f64 v[6:7], v[2:3], v[6:7], s[12:13]
	v_fma_f64 v[12:13], v[2:3], v[6:7], 1.0
.LBB6_1619:
	s_or_b64 exec, exec, s[0:1]
.LBB6_1620:
	s_or_b64 exec, exec, s[10:11]
	v_mul_lo_u32 v10, s2, v14
	v_mov_b32_e32 v2, s9
	s_and_b32 s20, s33, 0xff
	s_cmp_lt_i32 s20, 11
	v_ashrrev_i32_e32 v3, 31, v10
	v_add_co_u32_e32 v6, vcc, s8, v10
	v_addc_co_u32_e32 v7, vcc, v2, v3, vcc
	s_cbranch_scc1 .LBB6_1744
; %bb.1621:
	s_and_b32 s3, 0xffff, s20
	s_mov_b64 s[16:17], -1
	s_mov_b64 s[10:11], 0
	s_cmp_gt_i32 s3, 25
	s_mov_b64 s[12:13], 0
	s_mov_b64 s[0:1], 0
	s_cbranch_scc0 .LBB6_1654
; %bb.1622:
	s_cmp_gt_i32 s3, 28
	s_cbranch_scc0 .LBB6_1637
; %bb.1623:
	s_cmp_gt_i32 s3, 43
	;; [unrolled: 3-line block ×3, first 2 shown]
	s_cbranch_scc0 .LBB6_1627
; %bb.1625:
	s_mov_b64 s[0:1], -1
	s_mov_b64 s[16:17], 0
	s_cmp_eq_u32 s3, 46
	s_cbranch_scc0 .LBB6_1627
; %bb.1626:
	v_cvt_f32_f64_e32 v2, v[0:1]
	s_movk_i32 s0, 0x7fff
	v_mov_b32_e32 v3, 0x7fc0
	s_mov_b64 s[12:13], -1
	v_bfe_u32 v11, v2, 16, 1
	v_cmp_o_f32_e32 vcc, v2, v2
	v_add3_u32 v2, v2, v11, s0
	v_cndmask_b32_sdwa v2, v3, v2, vcc dst_sel:DWORD dst_unused:UNUSED_PAD src0_sel:DWORD src1_sel:WORD_1
	global_store_dword v[6:7], v2, off
	s_mov_b64 s[0:1], 0
.LBB6_1627:
	s_and_b64 vcc, exec, s[16:17]
	s_cbranch_vccz .LBB6_1632
; %bb.1628:
	s_cmp_eq_u32 s3, 44
	s_mov_b64 s[0:1], -1
	s_cbranch_scc0 .LBB6_1632
; %bb.1629:
	v_cvt_f32_f64_e32 v2, v[0:1]
	s_movk_i32 s0, 0xff
	v_mov_b32_e32 v11, 0xff
	v_bfe_u32 v3, v2, 23, 8
	v_cmp_ne_u32_e32 vcc, s0, v3
	s_and_saveexec_b64 s[12:13], vcc
; %bb.1630:
	s_mov_b32 s0, 0x3fffff
	v_lshrrev_b32_e32 v11, 23, v2
	v_and_b32_e32 v14, 0x400000, v2
	v_and_or_b32 v2, v2, s0, v3
	v_cmp_ne_u32_e32 vcc, 0, v14
	v_cmp_ne_u32_e64 s[0:1], 0, v2
	s_and_b64 s[0:1], vcc, s[0:1]
	v_cndmask_b32_e64 v2, 0, 1, s[0:1]
	v_add_u32_e32 v11, v11, v2
; %bb.1631:
	s_or_b64 exec, exec, s[12:13]
	s_mov_b64 s[0:1], 0
	s_mov_b64 s[12:13], -1
	global_store_byte v[6:7], v11, off
.LBB6_1632:
	s_mov_b64 s[16:17], 0
.LBB6_1633:
	s_and_b64 vcc, exec, s[16:17]
	s_cbranch_vccz .LBB6_1636
; %bb.1634:
	s_cmp_eq_u32 s3, 29
	s_mov_b64 s[0:1], -1
	s_cbranch_scc0 .LBB6_1636
; %bb.1635:
	v_trunc_f64_e32 v[2:3], v[0:1]
	s_movk_i32 s0, 0xffe0
	s_mov_b64 s[12:13], -1
	v_ldexp_f64 v[14:15], v[2:3], s0
	s_mov_b32 s0, 0
	s_mov_b32 s1, 0xc1f00000
	v_floor_f64_e32 v[14:15], v[14:15]
	v_fma_f64 v[2:3], v[14:15], s[0:1], v[2:3]
	v_cvt_u32_f64_e32 v15, v[14:15]
	s_mov_b64 s[0:1], 0
	v_cvt_u32_f64_e32 v14, v[2:3]
	global_store_dwordx2 v[6:7], v[14:15], off
.LBB6_1636:
	s_mov_b64 s[16:17], 0
.LBB6_1637:
	s_and_b64 vcc, exec, s[16:17]
	s_cbranch_vccz .LBB6_1653
; %bb.1638:
	s_cmp_lt_i32 s3, 27
	s_mov_b64 s[12:13], -1
	s_cbranch_scc1 .LBB6_1644
; %bb.1639:
	v_cvt_u32_f64_e32 v2, v[0:1]
	s_cmp_gt_i32 s3, 27
	s_cbranch_scc0 .LBB6_1641
; %bb.1640:
	s_mov_b64 s[12:13], 0
	global_store_dword v[6:7], v2, off
.LBB6_1641:
	s_andn2_b64 vcc, exec, s[12:13]
	s_cbranch_vccnz .LBB6_1643
; %bb.1642:
	global_store_short v[6:7], v2, off
.LBB6_1643:
	s_mov_b64 s[12:13], 0
.LBB6_1644:
	s_andn2_b64 vcc, exec, s[12:13]
	s_cbranch_vccnz .LBB6_1652
; %bb.1645:
	v_cvt_f32_f64_e32 v2, v[0:1]
	s_mov_b32 s12, 0x43800000
	v_mov_b32_e32 v11, 0x80
	v_and_b32_e32 v3, 0x7fffffff, v2
	v_cmp_gt_u32_e32 vcc, s12, v3
	s_and_saveexec_b64 s[12:13], vcc
	s_cbranch_execz .LBB6_1651
; %bb.1646:
	s_mov_b32 s16, 0x3bffffff
	v_cmp_lt_u32_e32 vcc, s16, v3
	s_mov_b64 s[16:17], 0
                                        ; implicit-def: $vgpr3
	s_and_saveexec_b64 s[18:19], vcc
	s_xor_b64 s[18:19], exec, s[18:19]
	s_cbranch_execz .LBB6_2102
; %bb.1647:
	v_bfe_u32 v3, v2, 20, 1
	s_mov_b32 s21, 0x487ffff
	v_add3_u32 v3, v2, v3, s21
	s_mov_b64 s[16:17], exec
	v_lshrrev_b32_e32 v3, 20, v3
	s_andn2_saveexec_b64 s[18:19], s[18:19]
	s_cbranch_execnz .LBB6_2103
.LBB6_1648:
	s_or_b64 exec, exec, s[18:19]
	v_mov_b32_e32 v11, 0
	s_and_saveexec_b64 s[18:19], s[16:17]
.LBB6_1649:
	v_lshrrev_b32_e32 v2, 24, v2
	s_movk_i32 s16, 0x80
	v_and_or_b32 v11, v2, s16, v3
.LBB6_1650:
	s_or_b64 exec, exec, s[18:19]
.LBB6_1651:
	s_or_b64 exec, exec, s[12:13]
	global_store_byte v[6:7], v11, off
.LBB6_1652:
	s_mov_b64 s[12:13], -1
.LBB6_1653:
	s_mov_b64 s[16:17], 0
.LBB6_1654:
	s_and_b64 vcc, exec, s[16:17]
	s_cbranch_vccz .LBB6_1694
; %bb.1655:
	s_cmp_gt_i32 s3, 22
	s_mov_b64 s[10:11], -1
	s_cbranch_scc0 .LBB6_1687
; %bb.1656:
	s_cmp_lt_i32 s3, 24
	s_cbranch_scc1 .LBB6_1676
; %bb.1657:
	s_cmp_gt_i32 s3, 24
	s_cbranch_scc0 .LBB6_1665
; %bb.1658:
	v_cvt_f32_f64_e32 v2, v[0:1]
	s_mov_b32 s10, 0x47800000
	v_mov_b32_e32 v11, 0x80
	v_and_b32_e32 v3, 0x7fffffff, v2
	v_cmp_gt_u32_e32 vcc, s10, v3
	s_and_saveexec_b64 s[10:11], vcc
	s_cbranch_execz .LBB6_1664
; %bb.1659:
	s_mov_b32 s12, 0x37ffffff
	v_cmp_lt_u32_e32 vcc, s12, v3
	s_mov_b64 s[12:13], 0
                                        ; implicit-def: $vgpr3
	s_and_saveexec_b64 s[16:17], vcc
	s_xor_b64 s[16:17], exec, s[16:17]
	s_cbranch_execz .LBB6_2105
; %bb.1660:
	v_bfe_u32 v3, v2, 21, 1
	s_mov_b32 s18, 0x88fffff
	v_add3_u32 v3, v2, v3, s18
	s_mov_b64 s[12:13], exec
	v_lshrrev_b32_e32 v3, 21, v3
	s_andn2_saveexec_b64 s[16:17], s[16:17]
	s_cbranch_execnz .LBB6_2106
.LBB6_1661:
	s_or_b64 exec, exec, s[16:17]
	v_mov_b32_e32 v11, 0
	s_and_saveexec_b64 s[16:17], s[12:13]
.LBB6_1662:
	v_lshrrev_b32_e32 v2, 24, v2
	s_movk_i32 s12, 0x80
	v_and_or_b32 v11, v2, s12, v3
.LBB6_1663:
	s_or_b64 exec, exec, s[16:17]
.LBB6_1664:
	s_or_b64 exec, exec, s[10:11]
	s_mov_b64 s[10:11], 0
	global_store_byte v[6:7], v11, off
.LBB6_1665:
	s_and_b64 vcc, exec, s[10:11]
	s_cbranch_vccz .LBB6_1675
; %bb.1666:
	v_cvt_f32_f64_e32 v2, v[0:1]
	s_mov_b32 s10, 0x43f00000
                                        ; implicit-def: $vgpr3
	v_and_b32_e32 v11, 0x7fffffff, v2
	v_cmp_gt_u32_e32 vcc, s10, v11
	s_and_saveexec_b64 s[10:11], vcc
	s_xor_b64 s[10:11], exec, s[10:11]
	s_cbranch_execz .LBB6_1672
; %bb.1667:
	s_mov_b32 s12, 0x3c7fffff
	v_cmp_lt_u32_e32 vcc, s12, v11
                                        ; implicit-def: $vgpr3
	s_and_saveexec_b64 s[12:13], vcc
	s_xor_b64 s[12:13], exec, s[12:13]
; %bb.1668:
	v_bfe_u32 v3, v2, 20, 1
	s_mov_b32 s16, 0x407ffff
	v_add3_u32 v3, v2, v3, s16
	v_lshrrev_b32_e32 v11, 20, v3
	v_and_b32_e32 v3, 0xff00000, v3
	s_mov_b32 s16, 0x7f00000
	v_mov_b32_e32 v14, 0x7e
	v_cmp_ne_u32_e32 vcc, s16, v3
	v_cndmask_b32_e32 v3, v14, v11, vcc
; %bb.1669:
	s_andn2_saveexec_b64 s[12:13], s[12:13]
; %bb.1670:
	s_mov_b32 s16, 0x46800000
	v_add_f32_e64 v3, |v2|, s16
; %bb.1671:
	s_or_b64 exec, exec, s[12:13]
                                        ; implicit-def: $vgpr11
.LBB6_1672:
	s_andn2_saveexec_b64 s[10:11], s[10:11]
; %bb.1673:
	s_mov_b32 s12, 0x7f800000
	v_mov_b32_e32 v3, 0x7e
	v_mov_b32_e32 v14, 0x7f
	v_cmp_lt_u32_e32 vcc, s12, v11
	v_cndmask_b32_e32 v3, v3, v14, vcc
; %bb.1674:
	s_or_b64 exec, exec, s[10:11]
	v_lshrrev_b32_e32 v2, 24, v2
	s_movk_i32 s10, 0x80
	v_and_or_b32 v2, v2, s10, v3
	global_store_byte v[6:7], v2, off
.LBB6_1675:
	s_mov_b64 s[10:11], 0
.LBB6_1676:
	s_andn2_b64 vcc, exec, s[10:11]
	s_cbranch_vccnz .LBB6_1686
; %bb.1677:
	v_cvt_f32_f64_e32 v2, v[0:1]
	s_mov_b32 s10, 0x47800000
                                        ; implicit-def: $vgpr3
	v_and_b32_e32 v11, 0x7fffffff, v2
	v_cmp_gt_u32_e32 vcc, s10, v11
	s_and_saveexec_b64 s[10:11], vcc
	s_xor_b64 s[10:11], exec, s[10:11]
	s_cbranch_execz .LBB6_1683
; %bb.1678:
	s_mov_b32 s12, 0x387fffff
	v_cmp_lt_u32_e32 vcc, s12, v11
                                        ; implicit-def: $vgpr3
	s_and_saveexec_b64 s[12:13], vcc
	s_xor_b64 s[12:13], exec, s[12:13]
; %bb.1679:
	v_bfe_u32 v3, v2, 21, 1
	s_mov_b32 s16, 0x80fffff
	v_add3_u32 v3, v2, v3, s16
	v_lshrrev_b32_e32 v3, 21, v3
; %bb.1680:
	s_andn2_saveexec_b64 s[12:13], s[12:13]
; %bb.1681:
	s_mov_b32 s16, 0x43000000
	v_add_f32_e64 v3, |v2|, s16
; %bb.1682:
	s_or_b64 exec, exec, s[12:13]
                                        ; implicit-def: $vgpr11
.LBB6_1683:
	s_andn2_saveexec_b64 s[10:11], s[10:11]
; %bb.1684:
	s_mov_b32 s12, 0x7f800000
	v_mov_b32_e32 v3, 0x7c
	v_mov_b32_e32 v14, 0x7f
	v_cmp_lt_u32_e32 vcc, s12, v11
	v_cndmask_b32_e32 v3, v3, v14, vcc
; %bb.1685:
	s_or_b64 exec, exec, s[10:11]
	v_lshrrev_b32_e32 v2, 24, v2
	s_movk_i32 s10, 0x80
	v_and_or_b32 v2, v2, s10, v3
	global_store_byte v[6:7], v2, off
.LBB6_1686:
	s_mov_b64 s[10:11], 0
	s_mov_b64 s[12:13], -1
.LBB6_1687:
	s_andn2_b64 vcc, exec, s[10:11]
	s_mov_b64 s[10:11], 0
	s_cbranch_vccnz .LBB6_1694
; %bb.1688:
	s_cmp_gt_i32 s3, 14
	s_mov_b64 s[16:17], -1
	s_cbranch_scc0 .LBB6_1692
; %bb.1689:
	s_cmp_eq_u32 s3, 15
	s_mov_b64 s[0:1], -1
	s_cbranch_scc0 .LBB6_1691
; %bb.1690:
	v_cvt_f32_f64_e32 v2, v[0:1]
	s_movk_i32 s0, 0x7fff
	v_mov_b32_e32 v3, 0x7fc0
	s_mov_b64 s[12:13], -1
	v_bfe_u32 v11, v2, 16, 1
	v_cmp_o_f32_e32 vcc, v2, v2
	v_add3_u32 v2, v2, v11, s0
	v_cndmask_b32_sdwa v2, v3, v2, vcc dst_sel:DWORD dst_unused:UNUSED_PAD src0_sel:DWORD src1_sel:WORD_1
	global_store_short v[6:7], v2, off
	s_mov_b64 s[0:1], 0
.LBB6_1691:
	s_mov_b64 s[16:17], 0
.LBB6_1692:
	s_and_b64 vcc, exec, s[16:17]
	s_cbranch_vccz .LBB6_1694
; %bb.1693:
	s_cmp_lg_u32 s3, 11
	s_mov_b64 s[10:11], -1
	s_cselect_b64 s[0:1], -1, 0
.LBB6_1694:
	s_and_b64 vcc, exec, s[0:1]
	s_cbranch_vccnz .LBB6_2104
; %bb.1695:
	s_andn2_b64 vcc, exec, s[10:11]
	s_cbranch_vccnz .LBB6_1697
.LBB6_1696:
	v_cmp_neq_f64_e32 vcc, 0, v[0:1]
	s_mov_b64 s[12:13], -1
	v_cndmask_b32_e64 v2, 0, 1, vcc
	global_store_byte v[6:7], v2, off
.LBB6_1697:
	s_mov_b64 s[0:1], 0
	s_branch .LBB6_1745
.LBB6_1698:
	s_mov_b64 s[0:1], 0
                                        ; implicit-def: $sgpr20
                                        ; implicit-def: $vgpr0_vgpr1
                                        ; implicit-def: $vgpr12_vgpr13
.LBB6_1699:
	s_mov_b64 s[2:3], 0
.LBB6_1700:
	s_and_b64 s[12:13], s[2:3], exec
	s_andn2_b64 s[2:3], s[6:7], exec
	s_and_b64 s[6:7], s[14:15], exec
	s_and_b64 s[0:1], s[0:1], exec
	s_or_b64 s[6:7], s[2:3], s[6:7]
.LBB6_1701:
	s_or_b64 exec, exec, s[4:5]
	s_and_saveexec_b64 s[2:3], s[6:7]
	s_cbranch_execz .LBB6_1704
; %bb.1702:
	; divergent unreachable
	s_or_b64 exec, exec, s[2:3]
	s_and_saveexec_b64 s[2:3], s[12:13]
	s_xor_b64 s[2:3], exec, s[2:3]
	s_cbranch_execnz .LBB6_1705
.LBB6_1703:
	s_or_b64 exec, exec, s[2:3]
	s_and_saveexec_b64 s[2:3], s[0:1]
	s_cbranch_execnz .LBB6_1706
	s_branch .LBB6_1743
.LBB6_1704:
	s_or_b64 exec, exec, s[2:3]
	s_and_saveexec_b64 s[2:3], s[12:13]
	s_xor_b64 s[2:3], exec, s[2:3]
	s_cbranch_execz .LBB6_1703
.LBB6_1705:
	v_cmp_neq_f64_e32 vcc, 0, v[12:13]
	s_waitcnt vmcnt(0)
	v_cndmask_b32_e64 v2, 0, 1, vcc
	global_store_byte v[0:1], v2, off
	s_or_b64 exec, exec, s[2:3]
	s_and_saveexec_b64 s[2:3], s[0:1]
	s_cbranch_execz .LBB6_1743
.LBB6_1706:
	s_sext_i32_i16 s2, s20
	s_cmp_lt_i32 s2, 5
	s_mov_b64 s[0:1], -1
	s_cbranch_scc1 .LBB6_1727
; %bb.1707:
	s_cmp_lt_i32 s2, 8
	s_cbranch_scc1 .LBB6_1717
; %bb.1708:
	s_cmp_lt_i32 s2, 9
	s_cbranch_scc1 .LBB6_1714
; %bb.1709:
	s_cmp_gt_i32 s2, 9
	s_cbranch_scc0 .LBB6_1711
; %bb.1710:
	v_mov_b32_e32 v14, 0
	v_mov_b32_e32 v15, v14
	global_store_dwordx4 v[0:1], v[12:15], off
	s_mov_b64 s[0:1], 0
.LBB6_1711:
	s_andn2_b64 vcc, exec, s[0:1]
	s_cbranch_vccnz .LBB6_1713
; %bb.1712:
	s_waitcnt vmcnt(0)
	v_cvt_f32_f64_e32 v2, v[12:13]
	v_mov_b32_e32 v3, 0
	global_store_dwordx2 v[0:1], v[2:3], off
.LBB6_1713:
	s_mov_b64 s[0:1], 0
.LBB6_1714:
	s_andn2_b64 vcc, exec, s[0:1]
	s_cbranch_vccnz .LBB6_1716
; %bb.1715:
	s_movk_i32 s0, 0x1ff
	s_waitcnt vmcnt(0)
	v_and_or_b32 v2, v13, s0, v12
	v_cmp_ne_u32_e32 vcc, 0, v2
	v_cndmask_b32_e64 v2, 0, 1, vcc
	v_lshrrev_b32_e32 v3, 8, v13
	s_movk_i32 s0, 0xffe
	v_bfe_u32 v4, v13, 20, 11
	v_and_or_b32 v2, v3, s0, v2
	v_sub_u32_e32 v5, 0x3f1, v4
	v_or_b32_e32 v3, 0x1000, v2
	v_med3_i32 v5, v5, 0, 13
	v_lshrrev_b32_e32 v6, v5, v3
	v_lshlrev_b32_e32 v5, v5, v6
	v_cmp_ne_u32_e32 vcc, v5, v3
	v_cndmask_b32_e64 v3, 0, 1, vcc
	v_add_u32_e32 v4, 0xfffffc10, v4
	v_or_b32_e32 v3, v6, v3
	v_lshl_or_b32 v5, v4, 12, v2
	v_cmp_gt_i32_e32 vcc, 1, v4
	v_cndmask_b32_e32 v3, v5, v3, vcc
	v_and_b32_e32 v5, 7, v3
	v_cmp_lt_i32_e32 vcc, 5, v5
	v_cndmask_b32_e64 v6, 0, 1, vcc
	v_cmp_eq_u32_e32 vcc, 3, v5
	v_cndmask_b32_e64 v5, 0, 1, vcc
	v_or_b32_e32 v5, v5, v6
	v_lshrrev_b32_e32 v3, 2, v3
	v_add_u32_e32 v3, v3, v5
	v_mov_b32_e32 v5, 0x7c00
	v_cmp_gt_i32_e32 vcc, 31, v4
	v_cndmask_b32_e32 v3, v5, v3, vcc
	v_mov_b32_e32 v6, 0x7e00
	v_cmp_ne_u32_e32 vcc, 0, v2
	s_movk_i32 s0, 0x40f
	v_cndmask_b32_e32 v2, v5, v6, vcc
	v_cmp_eq_u32_e32 vcc, s0, v4
	v_cndmask_b32_e32 v2, v3, v2, vcc
	v_lshrrev_b32_e32 v3, 16, v13
	s_mov_b32 s0, 0x8000
	v_and_or_b32 v2, v3, s0, v2
	v_and_b32_e32 v2, 0xffff, v2
	global_store_dword v[0:1], v2, off
.LBB6_1716:
	s_mov_b64 s[0:1], 0
.LBB6_1717:
	s_andn2_b64 vcc, exec, s[0:1]
	s_cbranch_vccnz .LBB6_1726
; %bb.1718:
	s_sext_i32_i16 s2, s20
	s_cmp_lt_i32 s2, 6
	s_mov_b64 s[0:1], -1
	s_cbranch_scc1 .LBB6_1724
; %bb.1719:
	s_cmp_gt_i32 s2, 6
	s_cbranch_scc0 .LBB6_1721
; %bb.1720:
	global_store_dwordx2 v[0:1], v[12:13], off
	s_mov_b64 s[0:1], 0
.LBB6_1721:
	s_andn2_b64 vcc, exec, s[0:1]
	s_cbranch_vccnz .LBB6_1723
; %bb.1722:
	s_waitcnt vmcnt(0)
	v_cvt_f32_f64_e32 v2, v[12:13]
	global_store_dword v[0:1], v2, off
.LBB6_1723:
	s_mov_b64 s[0:1], 0
.LBB6_1724:
	s_andn2_b64 vcc, exec, s[0:1]
	s_cbranch_vccnz .LBB6_1726
; %bb.1725:
	s_movk_i32 s0, 0x1ff
	s_waitcnt vmcnt(0)
	v_and_or_b32 v2, v13, s0, v12
	v_cmp_ne_u32_e32 vcc, 0, v2
	v_cndmask_b32_e64 v2, 0, 1, vcc
	v_lshrrev_b32_e32 v3, 8, v13
	s_movk_i32 s0, 0xffe
	v_bfe_u32 v4, v13, 20, 11
	v_and_or_b32 v2, v3, s0, v2
	v_sub_u32_e32 v5, 0x3f1, v4
	v_or_b32_e32 v3, 0x1000, v2
	v_med3_i32 v5, v5, 0, 13
	v_lshrrev_b32_e32 v6, v5, v3
	v_lshlrev_b32_e32 v5, v5, v6
	v_cmp_ne_u32_e32 vcc, v5, v3
	v_cndmask_b32_e64 v3, 0, 1, vcc
	v_add_u32_e32 v4, 0xfffffc10, v4
	v_or_b32_e32 v3, v6, v3
	v_lshl_or_b32 v5, v4, 12, v2
	v_cmp_gt_i32_e32 vcc, 1, v4
	v_cndmask_b32_e32 v3, v5, v3, vcc
	v_and_b32_e32 v5, 7, v3
	v_cmp_lt_i32_e32 vcc, 5, v5
	v_cndmask_b32_e64 v6, 0, 1, vcc
	v_cmp_eq_u32_e32 vcc, 3, v5
	v_cndmask_b32_e64 v5, 0, 1, vcc
	v_or_b32_e32 v5, v5, v6
	v_lshrrev_b32_e32 v3, 2, v3
	v_add_u32_e32 v3, v3, v5
	v_mov_b32_e32 v5, 0x7c00
	v_cmp_gt_i32_e32 vcc, 31, v4
	v_cndmask_b32_e32 v3, v5, v3, vcc
	v_mov_b32_e32 v6, 0x7e00
	v_cmp_ne_u32_e32 vcc, 0, v2
	s_movk_i32 s0, 0x40f
	v_cndmask_b32_e32 v2, v5, v6, vcc
	v_cmp_eq_u32_e32 vcc, s0, v4
	v_cndmask_b32_e32 v2, v3, v2, vcc
	v_lshrrev_b32_e32 v3, 16, v13
	s_mov_b32 s0, 0x8000
	v_and_or_b32 v2, v3, s0, v2
	global_store_short v[0:1], v2, off
.LBB6_1726:
	s_mov_b64 s[0:1], 0
.LBB6_1727:
	s_andn2_b64 vcc, exec, s[0:1]
	s_cbranch_vccnz .LBB6_1743
; %bb.1728:
	s_sext_i32_i16 s2, s20
	s_cmp_lt_i32 s2, 2
	s_mov_b64 s[0:1], -1
	s_cbranch_scc1 .LBB6_1738
; %bb.1729:
	s_cmp_lt_i32 s2, 3
	s_cbranch_scc1 .LBB6_1735
; %bb.1730:
	s_cmp_gt_i32 s2, 3
	s_cbranch_scc0 .LBB6_1732
; %bb.1731:
	s_waitcnt vmcnt(0)
	v_trunc_f64_e32 v[2:3], v[12:13]
	s_movk_i32 s0, 0xffe0
	v_ldexp_f64 v[4:5], v[2:3], s0
	s_mov_b32 s0, 0
	s_mov_b32 s1, 0xc1f00000
	v_floor_f64_e32 v[4:5], v[4:5]
	v_fma_f64 v[2:3], v[4:5], s[0:1], v[2:3]
	v_cvt_i32_f64_e32 v4, v[4:5]
	s_mov_b64 s[0:1], 0
	v_cvt_u32_f64_e32 v3, v[2:3]
	global_store_dwordx2 v[0:1], v[3:4], off
.LBB6_1732:
	s_andn2_b64 vcc, exec, s[0:1]
	s_cbranch_vccnz .LBB6_1734
; %bb.1733:
	s_waitcnt vmcnt(0)
	v_cvt_i32_f64_e32 v2, v[12:13]
	global_store_dword v[0:1], v2, off
.LBB6_1734:
	s_mov_b64 s[0:1], 0
.LBB6_1735:
	s_andn2_b64 vcc, exec, s[0:1]
	s_cbranch_vccnz .LBB6_1737
; %bb.1736:
	s_waitcnt vmcnt(0)
	v_cvt_i32_f64_e32 v2, v[12:13]
	global_store_short v[0:1], v2, off
.LBB6_1737:
	s_mov_b64 s[0:1], 0
.LBB6_1738:
	s_andn2_b64 vcc, exec, s[0:1]
	s_cbranch_vccnz .LBB6_1743
; %bb.1739:
	s_sext_i32_i16 s0, s20
	s_cmp_gt_i32 s0, 0
	s_mov_b64 s[0:1], -1
	s_cbranch_scc0 .LBB6_1741
; %bb.1740:
	s_waitcnt vmcnt(0)
	v_cvt_i32_f64_e32 v2, v[12:13]
	s_mov_b64 s[0:1], 0
	global_store_byte v[0:1], v2, off
.LBB6_1741:
	s_andn2_b64 vcc, exec, s[0:1]
	s_cbranch_vccnz .LBB6_1743
; %bb.1742:
	s_waitcnt vmcnt(0)
	v_trunc_f64_e32 v[2:3], v[12:13]
	s_movk_i32 s0, 0xffe0
	v_ldexp_f64 v[4:5], v[2:3], s0
	s_mov_b32 s0, 0
	s_mov_b32 s1, 0xc1f00000
	v_floor_f64_e32 v[4:5], v[4:5]
	v_fma_f64 v[2:3], v[4:5], s[0:1], v[2:3]
	v_cvt_u32_f64_e32 v2, v[2:3]
	global_store_byte v[0:1], v2, off
	s_endpgm
.LBB6_1743:
	s_endpgm
.LBB6_1744:
	s_mov_b64 s[0:1], -1
	s_mov_b64 s[12:13], 0
.LBB6_1745:
	s_and_b64 vcc, exec, s[0:1]
	s_cbranch_vccz .LBB6_1784
; %bb.1746:
	s_and_b32 s3, 0xffff, s20
	s_cmp_lt_i32 s3, 5
	s_mov_b64 s[0:1], -1
	s_cbranch_scc1 .LBB6_1767
; %bb.1747:
	s_cmp_lt_i32 s3, 8
	s_cbranch_scc1 .LBB6_1757
; %bb.1748:
	s_cmp_lt_i32 s3, 9
	s_cbranch_scc1 .LBB6_1754
; %bb.1749:
	s_cmp_gt_i32 s3, 9
	s_cbranch_scc0 .LBB6_1751
; %bb.1750:
	v_mov_b32_e32 v2, 0
	v_mov_b32_e32 v3, v2
	global_store_dwordx4 v[6:7], v[0:3], off
	s_mov_b64 s[0:1], 0
.LBB6_1751:
	s_andn2_b64 vcc, exec, s[0:1]
	s_cbranch_vccnz .LBB6_1753
; %bb.1752:
	v_cvt_f32_f64_e32 v2, v[0:1]
	v_mov_b32_e32 v3, 0
	global_store_dwordx2 v[6:7], v[2:3], off
.LBB6_1753:
	s_mov_b64 s[0:1], 0
.LBB6_1754:
	s_andn2_b64 vcc, exec, s[0:1]
	s_cbranch_vccnz .LBB6_1756
; %bb.1755:
	s_movk_i32 s0, 0x1ff
	v_and_or_b32 v2, v1, s0, v0
	v_cmp_ne_u32_e32 vcc, 0, v2
	v_cndmask_b32_e64 v2, 0, 1, vcc
	v_lshrrev_b32_e32 v3, 8, v1
	s_movk_i32 s0, 0xffe
	v_bfe_u32 v11, v1, 20, 11
	v_and_or_b32 v2, v3, s0, v2
	v_sub_u32_e32 v14, 0x3f1, v11
	v_or_b32_e32 v3, 0x1000, v2
	v_med3_i32 v14, v14, 0, 13
	v_lshrrev_b32_e32 v15, v14, v3
	v_lshlrev_b32_e32 v14, v14, v15
	v_cmp_ne_u32_e32 vcc, v14, v3
	v_cndmask_b32_e64 v3, 0, 1, vcc
	v_add_u32_e32 v11, 0xfffffc10, v11
	v_or_b32_e32 v3, v15, v3
	v_lshl_or_b32 v14, v11, 12, v2
	v_cmp_gt_i32_e32 vcc, 1, v11
	v_cndmask_b32_e32 v3, v14, v3, vcc
	v_and_b32_e32 v14, 7, v3
	v_cmp_lt_i32_e32 vcc, 5, v14
	v_cndmask_b32_e64 v15, 0, 1, vcc
	v_cmp_eq_u32_e32 vcc, 3, v14
	v_cndmask_b32_e64 v14, 0, 1, vcc
	v_or_b32_e32 v14, v14, v15
	v_lshrrev_b32_e32 v3, 2, v3
	v_add_u32_e32 v3, v3, v14
	v_mov_b32_e32 v14, 0x7c00
	v_cmp_gt_i32_e32 vcc, 31, v11
	v_cndmask_b32_e32 v3, v14, v3, vcc
	v_mov_b32_e32 v15, 0x7e00
	v_cmp_ne_u32_e32 vcc, 0, v2
	s_movk_i32 s0, 0x40f
	v_cndmask_b32_e32 v2, v14, v15, vcc
	v_cmp_eq_u32_e32 vcc, s0, v11
	v_cndmask_b32_e32 v2, v3, v2, vcc
	v_lshrrev_b32_e32 v3, 16, v1
	s_mov_b32 s0, 0x8000
	v_and_or_b32 v2, v3, s0, v2
	v_and_b32_e32 v2, 0xffff, v2
	global_store_dword v[6:7], v2, off
.LBB6_1756:
	s_mov_b64 s[0:1], 0
.LBB6_1757:
	s_andn2_b64 vcc, exec, s[0:1]
	s_cbranch_vccnz .LBB6_1766
; %bb.1758:
	s_cmp_lt_i32 s3, 6
	s_mov_b64 s[0:1], -1
	s_cbranch_scc1 .LBB6_1764
; %bb.1759:
	s_cmp_gt_i32 s3, 6
	s_cbranch_scc0 .LBB6_1761
; %bb.1760:
	global_store_dwordx2 v[6:7], v[0:1], off
	s_mov_b64 s[0:1], 0
.LBB6_1761:
	s_andn2_b64 vcc, exec, s[0:1]
	s_cbranch_vccnz .LBB6_1763
; %bb.1762:
	v_cvt_f32_f64_e32 v2, v[0:1]
	global_store_dword v[6:7], v2, off
.LBB6_1763:
	s_mov_b64 s[0:1], 0
.LBB6_1764:
	s_andn2_b64 vcc, exec, s[0:1]
	s_cbranch_vccnz .LBB6_1766
; %bb.1765:
	s_movk_i32 s0, 0x1ff
	v_and_or_b32 v2, v1, s0, v0
	v_cmp_ne_u32_e32 vcc, 0, v2
	v_cndmask_b32_e64 v2, 0, 1, vcc
	v_lshrrev_b32_e32 v3, 8, v1
	s_movk_i32 s0, 0xffe
	v_bfe_u32 v11, v1, 20, 11
	v_and_or_b32 v2, v3, s0, v2
	v_sub_u32_e32 v14, 0x3f1, v11
	v_or_b32_e32 v3, 0x1000, v2
	v_med3_i32 v14, v14, 0, 13
	v_lshrrev_b32_e32 v15, v14, v3
	v_lshlrev_b32_e32 v14, v14, v15
	v_cmp_ne_u32_e32 vcc, v14, v3
	v_cndmask_b32_e64 v3, 0, 1, vcc
	v_add_u32_e32 v11, 0xfffffc10, v11
	v_or_b32_e32 v3, v15, v3
	v_lshl_or_b32 v14, v11, 12, v2
	v_cmp_gt_i32_e32 vcc, 1, v11
	v_cndmask_b32_e32 v3, v14, v3, vcc
	v_and_b32_e32 v14, 7, v3
	v_cmp_lt_i32_e32 vcc, 5, v14
	v_cndmask_b32_e64 v15, 0, 1, vcc
	v_cmp_eq_u32_e32 vcc, 3, v14
	v_cndmask_b32_e64 v14, 0, 1, vcc
	v_or_b32_e32 v14, v14, v15
	v_lshrrev_b32_e32 v3, 2, v3
	v_add_u32_e32 v3, v3, v14
	v_mov_b32_e32 v14, 0x7c00
	v_cmp_gt_i32_e32 vcc, 31, v11
	v_cndmask_b32_e32 v3, v14, v3, vcc
	v_mov_b32_e32 v15, 0x7e00
	v_cmp_ne_u32_e32 vcc, 0, v2
	s_movk_i32 s0, 0x40f
	v_cndmask_b32_e32 v2, v14, v15, vcc
	v_cmp_eq_u32_e32 vcc, s0, v11
	v_cndmask_b32_e32 v2, v3, v2, vcc
	v_lshrrev_b32_e32 v3, 16, v1
	s_mov_b32 s0, 0x8000
	v_and_or_b32 v2, v3, s0, v2
	global_store_short v[6:7], v2, off
.LBB6_1766:
	s_mov_b64 s[0:1], 0
.LBB6_1767:
	s_andn2_b64 vcc, exec, s[0:1]
	s_cbranch_vccnz .LBB6_1783
; %bb.1768:
	s_cmp_lt_i32 s3, 2
	s_mov_b64 s[0:1], -1
	s_cbranch_scc1 .LBB6_1778
; %bb.1769:
	s_cmp_lt_i32 s3, 3
	s_cbranch_scc1 .LBB6_1775
; %bb.1770:
	s_cmp_gt_i32 s3, 3
	s_cbranch_scc0 .LBB6_1772
; %bb.1771:
	v_trunc_f64_e32 v[2:3], v[0:1]
	s_movk_i32 s0, 0xffe0
	v_ldexp_f64 v[14:15], v[2:3], s0
	s_mov_b32 s0, 0
	s_mov_b32 s1, 0xc1f00000
	v_floor_f64_e32 v[14:15], v[14:15]
	v_fma_f64 v[2:3], v[14:15], s[0:1], v[2:3]
	v_cvt_i32_f64_e32 v15, v[14:15]
	s_mov_b64 s[0:1], 0
	v_cvt_u32_f64_e32 v14, v[2:3]
	global_store_dwordx2 v[6:7], v[14:15], off
.LBB6_1772:
	s_andn2_b64 vcc, exec, s[0:1]
	s_cbranch_vccnz .LBB6_1774
; %bb.1773:
	v_cvt_i32_f64_e32 v2, v[0:1]
	global_store_dword v[6:7], v2, off
.LBB6_1774:
	s_mov_b64 s[0:1], 0
.LBB6_1775:
	s_andn2_b64 vcc, exec, s[0:1]
	s_cbranch_vccnz .LBB6_1777
; %bb.1776:
	v_cvt_i32_f64_e32 v2, v[0:1]
	global_store_short v[6:7], v2, off
.LBB6_1777:
	s_mov_b64 s[0:1], 0
.LBB6_1778:
	s_andn2_b64 vcc, exec, s[0:1]
	s_cbranch_vccnz .LBB6_1783
; %bb.1779:
	s_cmp_gt_i32 s3, 0
	s_mov_b64 s[0:1], -1
	s_cbranch_scc0 .LBB6_1781
; %bb.1780:
	v_cvt_i32_f64_e32 v2, v[0:1]
	s_mov_b64 s[0:1], 0
	global_store_byte v[6:7], v2, off
.LBB6_1781:
	s_andn2_b64 vcc, exec, s[0:1]
	s_cbranch_vccnz .LBB6_1783
; %bb.1782:
	v_trunc_f64_e32 v[0:1], v[0:1]
	s_movk_i32 s0, 0xffe0
	v_ldexp_f64 v[2:3], v[0:1], s0
	s_mov_b32 s0, 0
	s_mov_b32 s1, 0xc1f00000
	v_floor_f64_e32 v[2:3], v[2:3]
	v_fma_f64 v[0:1], v[2:3], s[0:1], v[0:1]
	v_cvt_u32_f64_e32 v0, v[0:1]
	global_store_byte v[6:7], v0, off
.LBB6_1783:
	s_mov_b64 s[12:13], -1
.LBB6_1784:
	s_andn2_b64 vcc, exec, s[12:13]
	s_cbranch_vccnz .LBB6_2099
; %bb.1785:
	s_lshl_b32 s18, s2, 7
	v_add_u32_e32 v2, s18, v10
	v_ashrrev_i32_e32 v1, 31, v2
	v_mov_b32_e32 v3, s9
	v_add_co_u32_e32 v0, vcc, s8, v2
	s_cmp_lt_i32 s20, 11
	v_addc_co_u32_e32 v1, vcc, v3, v1, vcc
	s_cbranch_scc1 .LBB6_1863
; %bb.1786:
	s_and_b32 s19, 0xffff, s20
	s_mov_b64 s[12:13], -1
	s_mov_b64 s[2:3], 0
	s_cmp_gt_i32 s19, 25
	s_mov_b64 s[10:11], 0
	s_mov_b64 s[0:1], 0
	s_cbranch_scc0 .LBB6_1819
; %bb.1787:
	s_cmp_gt_i32 s19, 28
	s_cbranch_scc0 .LBB6_1802
; %bb.1788:
	s_cmp_gt_i32 s19, 43
	;; [unrolled: 3-line block ×3, first 2 shown]
	s_cbranch_scc0 .LBB6_1792
; %bb.1790:
	s_mov_b64 s[0:1], -1
	s_mov_b64 s[12:13], 0
	s_cmp_eq_u32 s19, 46
	s_cbranch_scc0 .LBB6_1792
; %bb.1791:
	v_cvt_f32_f64_e32 v3, v[4:5]
	s_movk_i32 s0, 0x7fff
	v_mov_b32_e32 v6, 0x7fc0
	s_mov_b64 s[10:11], -1
	v_bfe_u32 v7, v3, 16, 1
	v_cmp_o_f32_e32 vcc, v3, v3
	v_add3_u32 v3, v3, v7, s0
	v_cndmask_b32_sdwa v3, v6, v3, vcc dst_sel:DWORD dst_unused:UNUSED_PAD src0_sel:DWORD src1_sel:WORD_1
	global_store_dword v[0:1], v3, off
	s_mov_b64 s[0:1], 0
.LBB6_1792:
	s_and_b64 vcc, exec, s[12:13]
	s_cbranch_vccz .LBB6_1797
; %bb.1793:
	s_cmp_eq_u32 s19, 44
	s_mov_b64 s[0:1], -1
	s_cbranch_scc0 .LBB6_1797
; %bb.1794:
	v_cvt_f32_f64_e32 v3, v[4:5]
	s_movk_i32 s0, 0xff
	v_mov_b32_e32 v7, 0xff
	v_bfe_u32 v6, v3, 23, 8
	v_cmp_ne_u32_e32 vcc, s0, v6
	s_and_saveexec_b64 s[10:11], vcc
; %bb.1795:
	s_mov_b32 s0, 0x3fffff
	v_lshrrev_b32_e32 v7, 23, v3
	v_and_b32_e32 v10, 0x400000, v3
	v_and_or_b32 v3, v3, s0, v6
	v_cmp_ne_u32_e32 vcc, 0, v10
	v_cmp_ne_u32_e64 s[0:1], 0, v3
	s_and_b64 s[0:1], vcc, s[0:1]
	v_cndmask_b32_e64 v3, 0, 1, s[0:1]
	v_add_u32_e32 v7, v7, v3
; %bb.1796:
	s_or_b64 exec, exec, s[10:11]
	s_mov_b64 s[0:1], 0
	s_mov_b64 s[10:11], -1
	global_store_byte v[0:1], v7, off
.LBB6_1797:
	s_mov_b64 s[12:13], 0
.LBB6_1798:
	s_and_b64 vcc, exec, s[12:13]
	s_cbranch_vccz .LBB6_1801
; %bb.1799:
	s_cmp_eq_u32 s19, 29
	s_mov_b64 s[0:1], -1
	s_cbranch_scc0 .LBB6_1801
; %bb.1800:
	v_trunc_f64_e32 v[6:7], v[4:5]
	s_movk_i32 s0, 0xffe0
	s_mov_b64 s[10:11], -1
	v_ldexp_f64 v[10:11], v[6:7], s0
	s_mov_b32 s0, 0
	s_mov_b32 s1, 0xc1f00000
	v_floor_f64_e32 v[10:11], v[10:11]
	v_fma_f64 v[6:7], v[10:11], s[0:1], v[6:7]
	v_cvt_u32_f64_e32 v11, v[10:11]
	s_mov_b64 s[0:1], 0
	v_cvt_u32_f64_e32 v10, v[6:7]
	global_store_dwordx2 v[0:1], v[10:11], off
.LBB6_1801:
	s_mov_b64 s[12:13], 0
.LBB6_1802:
	s_and_b64 vcc, exec, s[12:13]
	s_cbranch_vccz .LBB6_1818
; %bb.1803:
	s_cmp_lt_i32 s19, 27
	s_mov_b64 s[10:11], -1
	s_cbranch_scc1 .LBB6_1809
; %bb.1804:
	v_cvt_u32_f64_e32 v3, v[4:5]
	s_cmp_gt_i32 s19, 27
	s_cbranch_scc0 .LBB6_1806
; %bb.1805:
	s_mov_b64 s[10:11], 0
	global_store_dword v[0:1], v3, off
.LBB6_1806:
	s_andn2_b64 vcc, exec, s[10:11]
	s_cbranch_vccnz .LBB6_1808
; %bb.1807:
	global_store_short v[0:1], v3, off
.LBB6_1808:
	s_mov_b64 s[10:11], 0
.LBB6_1809:
	s_andn2_b64 vcc, exec, s[10:11]
	s_cbranch_vccnz .LBB6_1817
; %bb.1810:
	v_cvt_f32_f64_e32 v3, v[4:5]
	s_mov_b32 s10, 0x43800000
	v_mov_b32_e32 v7, 0x80
	v_and_b32_e32 v6, 0x7fffffff, v3
	v_cmp_gt_u32_e32 vcc, s10, v6
	s_and_saveexec_b64 s[10:11], vcc
	s_cbranch_execz .LBB6_1816
; %bb.1811:
	s_mov_b32 s12, 0x3bffffff
	v_cmp_lt_u32_e32 vcc, s12, v6
	s_mov_b64 s[12:13], 0
                                        ; implicit-def: $vgpr6
	s_and_saveexec_b64 s[16:17], vcc
	s_xor_b64 s[16:17], exec, s[16:17]
	s_cbranch_execz .LBB6_2107
; %bb.1812:
	v_bfe_u32 v6, v3, 20, 1
	s_mov_b32 s21, 0x487ffff
	v_add3_u32 v6, v3, v6, s21
	s_mov_b64 s[12:13], exec
	v_lshrrev_b32_e32 v6, 20, v6
	s_andn2_saveexec_b64 s[16:17], s[16:17]
	s_cbranch_execnz .LBB6_2108
.LBB6_1813:
	s_or_b64 exec, exec, s[16:17]
	v_mov_b32_e32 v7, 0
	s_and_saveexec_b64 s[16:17], s[12:13]
.LBB6_1814:
	v_lshrrev_b32_e32 v3, 24, v3
	s_movk_i32 s12, 0x80
	v_and_or_b32 v7, v3, s12, v6
.LBB6_1815:
	s_or_b64 exec, exec, s[16:17]
.LBB6_1816:
	s_or_b64 exec, exec, s[10:11]
	global_store_byte v[0:1], v7, off
.LBB6_1817:
	s_mov_b64 s[10:11], -1
.LBB6_1818:
	s_mov_b64 s[12:13], 0
.LBB6_1819:
	s_and_b64 vcc, exec, s[12:13]
	s_cbranch_vccz .LBB6_1859
; %bb.1820:
	s_cmp_gt_i32 s19, 22
	s_mov_b64 s[2:3], -1
	s_cbranch_scc0 .LBB6_1852
; %bb.1821:
	s_cmp_lt_i32 s19, 24
	s_cbranch_scc1 .LBB6_1841
; %bb.1822:
	s_cmp_gt_i32 s19, 24
	s_cbranch_scc0 .LBB6_1830
; %bb.1823:
	v_cvt_f32_f64_e32 v3, v[4:5]
	s_mov_b32 s2, 0x47800000
	v_mov_b32_e32 v7, 0x80
	v_and_b32_e32 v6, 0x7fffffff, v3
	v_cmp_gt_u32_e32 vcc, s2, v6
	s_and_saveexec_b64 s[2:3], vcc
	s_cbranch_execz .LBB6_1829
; %bb.1824:
	s_mov_b32 s10, 0x37ffffff
	v_cmp_lt_u32_e32 vcc, s10, v6
	s_mov_b64 s[10:11], 0
                                        ; implicit-def: $vgpr6
	s_and_saveexec_b64 s[12:13], vcc
	s_xor_b64 s[12:13], exec, s[12:13]
	s_cbranch_execz .LBB6_2110
; %bb.1825:
	v_bfe_u32 v6, v3, 21, 1
	s_mov_b32 s16, 0x88fffff
	v_add3_u32 v6, v3, v6, s16
	s_mov_b64 s[10:11], exec
	v_lshrrev_b32_e32 v6, 21, v6
	s_andn2_saveexec_b64 s[12:13], s[12:13]
	s_cbranch_execnz .LBB6_2111
.LBB6_1826:
	s_or_b64 exec, exec, s[12:13]
	v_mov_b32_e32 v7, 0
	s_and_saveexec_b64 s[12:13], s[10:11]
.LBB6_1827:
	v_lshrrev_b32_e32 v3, 24, v3
	s_movk_i32 s10, 0x80
	v_and_or_b32 v7, v3, s10, v6
.LBB6_1828:
	s_or_b64 exec, exec, s[12:13]
.LBB6_1829:
	s_or_b64 exec, exec, s[2:3]
	s_mov_b64 s[2:3], 0
	global_store_byte v[0:1], v7, off
.LBB6_1830:
	s_and_b64 vcc, exec, s[2:3]
	s_cbranch_vccz .LBB6_1840
; %bb.1831:
	v_cvt_f32_f64_e32 v3, v[4:5]
	s_mov_b32 s2, 0x43f00000
                                        ; implicit-def: $vgpr6
	v_and_b32_e32 v7, 0x7fffffff, v3
	v_cmp_gt_u32_e32 vcc, s2, v7
	s_and_saveexec_b64 s[2:3], vcc
	s_xor_b64 s[2:3], exec, s[2:3]
	s_cbranch_execz .LBB6_1837
; %bb.1832:
	s_mov_b32 s10, 0x3c7fffff
	v_cmp_lt_u32_e32 vcc, s10, v7
                                        ; implicit-def: $vgpr6
	s_and_saveexec_b64 s[10:11], vcc
	s_xor_b64 s[10:11], exec, s[10:11]
; %bb.1833:
	v_bfe_u32 v6, v3, 20, 1
	s_mov_b32 s12, 0x407ffff
	v_add3_u32 v6, v3, v6, s12
	v_lshrrev_b32_e32 v7, 20, v6
	v_and_b32_e32 v6, 0xff00000, v6
	s_mov_b32 s12, 0x7f00000
	v_mov_b32_e32 v10, 0x7e
	v_cmp_ne_u32_e32 vcc, s12, v6
	v_cndmask_b32_e32 v6, v10, v7, vcc
; %bb.1834:
	s_andn2_saveexec_b64 s[10:11], s[10:11]
; %bb.1835:
	s_mov_b32 s12, 0x46800000
	v_add_f32_e64 v6, |v3|, s12
; %bb.1836:
	s_or_b64 exec, exec, s[10:11]
                                        ; implicit-def: $vgpr7
.LBB6_1837:
	s_andn2_saveexec_b64 s[2:3], s[2:3]
; %bb.1838:
	s_mov_b32 s10, 0x7f800000
	v_mov_b32_e32 v6, 0x7e
	v_mov_b32_e32 v10, 0x7f
	v_cmp_lt_u32_e32 vcc, s10, v7
	v_cndmask_b32_e32 v6, v6, v10, vcc
; %bb.1839:
	s_or_b64 exec, exec, s[2:3]
	v_lshrrev_b32_e32 v3, 24, v3
	s_movk_i32 s2, 0x80
	v_and_or_b32 v3, v3, s2, v6
	global_store_byte v[0:1], v3, off
.LBB6_1840:
	s_mov_b64 s[2:3], 0
.LBB6_1841:
	s_andn2_b64 vcc, exec, s[2:3]
	s_cbranch_vccnz .LBB6_1851
; %bb.1842:
	v_cvt_f32_f64_e32 v3, v[4:5]
	s_mov_b32 s2, 0x47800000
                                        ; implicit-def: $vgpr6
	v_and_b32_e32 v7, 0x7fffffff, v3
	v_cmp_gt_u32_e32 vcc, s2, v7
	s_and_saveexec_b64 s[2:3], vcc
	s_xor_b64 s[2:3], exec, s[2:3]
	s_cbranch_execz .LBB6_1848
; %bb.1843:
	s_mov_b32 s10, 0x387fffff
	v_cmp_lt_u32_e32 vcc, s10, v7
                                        ; implicit-def: $vgpr6
	s_and_saveexec_b64 s[10:11], vcc
	s_xor_b64 s[10:11], exec, s[10:11]
; %bb.1844:
	v_bfe_u32 v6, v3, 21, 1
	s_mov_b32 s12, 0x80fffff
	v_add3_u32 v6, v3, v6, s12
	v_lshrrev_b32_e32 v6, 21, v6
; %bb.1845:
	s_andn2_saveexec_b64 s[10:11], s[10:11]
; %bb.1846:
	s_mov_b32 s12, 0x43000000
	v_add_f32_e64 v6, |v3|, s12
; %bb.1847:
	s_or_b64 exec, exec, s[10:11]
                                        ; implicit-def: $vgpr7
.LBB6_1848:
	s_andn2_saveexec_b64 s[2:3], s[2:3]
; %bb.1849:
	s_mov_b32 s10, 0x7f800000
	v_mov_b32_e32 v6, 0x7c
	v_mov_b32_e32 v10, 0x7f
	v_cmp_lt_u32_e32 vcc, s10, v7
	v_cndmask_b32_e32 v6, v6, v10, vcc
; %bb.1850:
	s_or_b64 exec, exec, s[2:3]
	v_lshrrev_b32_e32 v3, 24, v3
	s_movk_i32 s2, 0x80
	v_and_or_b32 v3, v3, s2, v6
	global_store_byte v[0:1], v3, off
.LBB6_1851:
	s_mov_b64 s[2:3], 0
	s_mov_b64 s[10:11], -1
.LBB6_1852:
	s_andn2_b64 vcc, exec, s[2:3]
	s_mov_b64 s[2:3], 0
	s_cbranch_vccnz .LBB6_1859
; %bb.1853:
	s_cmp_gt_i32 s19, 14
	s_mov_b64 s[12:13], -1
	s_cbranch_scc0 .LBB6_1857
; %bb.1854:
	s_cmp_eq_u32 s19, 15
	s_mov_b64 s[0:1], -1
	s_cbranch_scc0 .LBB6_1856
; %bb.1855:
	v_cvt_f32_f64_e32 v3, v[4:5]
	s_movk_i32 s0, 0x7fff
	v_mov_b32_e32 v6, 0x7fc0
	s_mov_b64 s[10:11], -1
	v_bfe_u32 v7, v3, 16, 1
	v_cmp_o_f32_e32 vcc, v3, v3
	v_add3_u32 v3, v3, v7, s0
	v_cndmask_b32_sdwa v3, v6, v3, vcc dst_sel:DWORD dst_unused:UNUSED_PAD src0_sel:DWORD src1_sel:WORD_1
	global_store_short v[0:1], v3, off
	s_mov_b64 s[0:1], 0
.LBB6_1856:
	s_mov_b64 s[12:13], 0
.LBB6_1857:
	s_and_b64 vcc, exec, s[12:13]
	s_cbranch_vccz .LBB6_1859
; %bb.1858:
	s_cmp_lg_u32 s19, 11
	s_mov_b64 s[2:3], -1
	s_cselect_b64 s[0:1], -1, 0
.LBB6_1859:
	s_and_b64 vcc, exec, s[0:1]
	s_cbranch_vccnz .LBB6_2109
; %bb.1860:
	s_andn2_b64 vcc, exec, s[2:3]
	s_cbranch_vccnz .LBB6_1862
.LBB6_1861:
	v_cmp_neq_f64_e32 vcc, 0, v[4:5]
	s_mov_b64 s[10:11], -1
	v_cndmask_b32_e64 v3, 0, 1, vcc
	global_store_byte v[0:1], v3, off
.LBB6_1862:
	s_mov_b64 s[0:1], 0
	s_branch .LBB6_1864
.LBB6_1863:
	s_mov_b64 s[0:1], -1
	s_mov_b64 s[10:11], 0
.LBB6_1864:
	s_and_b64 vcc, exec, s[0:1]
	s_cbranch_vccz .LBB6_1903
; %bb.1865:
	s_and_b32 s2, 0xffff, s20
	s_cmp_lt_i32 s2, 5
	s_mov_b64 s[0:1], -1
	s_cbranch_scc1 .LBB6_1886
; %bb.1866:
	s_cmp_lt_i32 s2, 8
	s_cbranch_scc1 .LBB6_1876
; %bb.1867:
	s_cmp_lt_i32 s2, 9
	s_cbranch_scc1 .LBB6_1873
; %bb.1868:
	s_cmp_gt_i32 s2, 9
	s_cbranch_scc0 .LBB6_1870
; %bb.1869:
	v_mov_b32_e32 v6, 0
	v_mov_b32_e32 v7, v6
	global_store_dwordx4 v[0:1], v[4:7], off
	s_mov_b64 s[0:1], 0
.LBB6_1870:
	s_andn2_b64 vcc, exec, s[0:1]
	s_cbranch_vccnz .LBB6_1872
; %bb.1871:
	v_cvt_f32_f64_e32 v6, v[4:5]
	v_mov_b32_e32 v7, 0
	global_store_dwordx2 v[0:1], v[6:7], off
.LBB6_1872:
	s_mov_b64 s[0:1], 0
.LBB6_1873:
	s_andn2_b64 vcc, exec, s[0:1]
	s_cbranch_vccnz .LBB6_1875
; %bb.1874:
	s_movk_i32 s0, 0x1ff
	v_and_or_b32 v3, v5, s0, v4
	v_cmp_ne_u32_e32 vcc, 0, v3
	v_cndmask_b32_e64 v3, 0, 1, vcc
	v_lshrrev_b32_e32 v6, 8, v5
	s_movk_i32 s0, 0xffe
	v_bfe_u32 v7, v5, 20, 11
	v_and_or_b32 v3, v6, s0, v3
	v_sub_u32_e32 v10, 0x3f1, v7
	v_or_b32_e32 v6, 0x1000, v3
	v_med3_i32 v10, v10, 0, 13
	v_lshrrev_b32_e32 v11, v10, v6
	v_lshlrev_b32_e32 v10, v10, v11
	v_cmp_ne_u32_e32 vcc, v10, v6
	v_cndmask_b32_e64 v6, 0, 1, vcc
	v_add_u32_e32 v7, 0xfffffc10, v7
	v_or_b32_e32 v6, v11, v6
	v_lshl_or_b32 v10, v7, 12, v3
	v_cmp_gt_i32_e32 vcc, 1, v7
	v_cndmask_b32_e32 v6, v10, v6, vcc
	v_and_b32_e32 v10, 7, v6
	v_cmp_lt_i32_e32 vcc, 5, v10
	v_cndmask_b32_e64 v11, 0, 1, vcc
	v_cmp_eq_u32_e32 vcc, 3, v10
	v_cndmask_b32_e64 v10, 0, 1, vcc
	v_or_b32_e32 v10, v10, v11
	v_lshrrev_b32_e32 v6, 2, v6
	v_add_u32_e32 v6, v6, v10
	v_mov_b32_e32 v10, 0x7c00
	v_cmp_gt_i32_e32 vcc, 31, v7
	v_cndmask_b32_e32 v6, v10, v6, vcc
	v_mov_b32_e32 v11, 0x7e00
	v_cmp_ne_u32_e32 vcc, 0, v3
	s_movk_i32 s0, 0x40f
	v_cndmask_b32_e32 v3, v10, v11, vcc
	v_cmp_eq_u32_e32 vcc, s0, v7
	v_cndmask_b32_e32 v3, v6, v3, vcc
	v_lshrrev_b32_e32 v6, 16, v5
	s_mov_b32 s0, 0x8000
	v_and_or_b32 v3, v6, s0, v3
	v_and_b32_e32 v3, 0xffff, v3
	global_store_dword v[0:1], v3, off
.LBB6_1875:
	s_mov_b64 s[0:1], 0
.LBB6_1876:
	s_andn2_b64 vcc, exec, s[0:1]
	s_cbranch_vccnz .LBB6_1885
; %bb.1877:
	s_cmp_lt_i32 s2, 6
	s_mov_b64 s[0:1], -1
	s_cbranch_scc1 .LBB6_1883
; %bb.1878:
	s_cmp_gt_i32 s2, 6
	s_cbranch_scc0 .LBB6_1880
; %bb.1879:
	global_store_dwordx2 v[0:1], v[4:5], off
	s_mov_b64 s[0:1], 0
.LBB6_1880:
	s_andn2_b64 vcc, exec, s[0:1]
	s_cbranch_vccnz .LBB6_1882
; %bb.1881:
	v_cvt_f32_f64_e32 v3, v[4:5]
	global_store_dword v[0:1], v3, off
.LBB6_1882:
	s_mov_b64 s[0:1], 0
.LBB6_1883:
	s_andn2_b64 vcc, exec, s[0:1]
	s_cbranch_vccnz .LBB6_1885
; %bb.1884:
	s_movk_i32 s0, 0x1ff
	v_and_or_b32 v3, v5, s0, v4
	v_cmp_ne_u32_e32 vcc, 0, v3
	v_cndmask_b32_e64 v3, 0, 1, vcc
	v_lshrrev_b32_e32 v6, 8, v5
	s_movk_i32 s0, 0xffe
	v_bfe_u32 v7, v5, 20, 11
	v_and_or_b32 v3, v6, s0, v3
	v_sub_u32_e32 v10, 0x3f1, v7
	v_or_b32_e32 v6, 0x1000, v3
	v_med3_i32 v10, v10, 0, 13
	v_lshrrev_b32_e32 v11, v10, v6
	v_lshlrev_b32_e32 v10, v10, v11
	v_cmp_ne_u32_e32 vcc, v10, v6
	v_cndmask_b32_e64 v6, 0, 1, vcc
	v_add_u32_e32 v7, 0xfffffc10, v7
	v_or_b32_e32 v6, v11, v6
	v_lshl_or_b32 v10, v7, 12, v3
	v_cmp_gt_i32_e32 vcc, 1, v7
	v_cndmask_b32_e32 v6, v10, v6, vcc
	v_and_b32_e32 v10, 7, v6
	v_cmp_lt_i32_e32 vcc, 5, v10
	v_cndmask_b32_e64 v11, 0, 1, vcc
	v_cmp_eq_u32_e32 vcc, 3, v10
	v_cndmask_b32_e64 v10, 0, 1, vcc
	v_or_b32_e32 v10, v10, v11
	v_lshrrev_b32_e32 v6, 2, v6
	v_add_u32_e32 v6, v6, v10
	v_mov_b32_e32 v10, 0x7c00
	v_cmp_gt_i32_e32 vcc, 31, v7
	v_cndmask_b32_e32 v6, v10, v6, vcc
	v_mov_b32_e32 v11, 0x7e00
	v_cmp_ne_u32_e32 vcc, 0, v3
	s_movk_i32 s0, 0x40f
	v_cndmask_b32_e32 v3, v10, v11, vcc
	v_cmp_eq_u32_e32 vcc, s0, v7
	v_cndmask_b32_e32 v3, v6, v3, vcc
	v_lshrrev_b32_e32 v6, 16, v5
	s_mov_b32 s0, 0x8000
	v_and_or_b32 v3, v6, s0, v3
	global_store_short v[0:1], v3, off
.LBB6_1885:
	s_mov_b64 s[0:1], 0
.LBB6_1886:
	s_andn2_b64 vcc, exec, s[0:1]
	s_cbranch_vccnz .LBB6_1902
; %bb.1887:
	s_cmp_lt_i32 s2, 2
	s_mov_b64 s[0:1], -1
	s_cbranch_scc1 .LBB6_1897
; %bb.1888:
	s_cmp_lt_i32 s2, 3
	s_cbranch_scc1 .LBB6_1894
; %bb.1889:
	s_cmp_gt_i32 s2, 3
	s_cbranch_scc0 .LBB6_1891
; %bb.1890:
	v_trunc_f64_e32 v[6:7], v[4:5]
	s_movk_i32 s0, 0xffe0
	v_ldexp_f64 v[10:11], v[6:7], s0
	s_mov_b32 s0, 0
	s_mov_b32 s1, 0xc1f00000
	v_floor_f64_e32 v[10:11], v[10:11]
	v_fma_f64 v[6:7], v[10:11], s[0:1], v[6:7]
	v_cvt_i32_f64_e32 v11, v[10:11]
	s_mov_b64 s[0:1], 0
	v_cvt_u32_f64_e32 v10, v[6:7]
	global_store_dwordx2 v[0:1], v[10:11], off
.LBB6_1891:
	s_andn2_b64 vcc, exec, s[0:1]
	s_cbranch_vccnz .LBB6_1893
; %bb.1892:
	v_cvt_i32_f64_e32 v3, v[4:5]
	global_store_dword v[0:1], v3, off
.LBB6_1893:
	s_mov_b64 s[0:1], 0
.LBB6_1894:
	s_andn2_b64 vcc, exec, s[0:1]
	s_cbranch_vccnz .LBB6_1896
; %bb.1895:
	v_cvt_i32_f64_e32 v3, v[4:5]
	global_store_short v[0:1], v3, off
.LBB6_1896:
	s_mov_b64 s[0:1], 0
.LBB6_1897:
	s_andn2_b64 vcc, exec, s[0:1]
	s_cbranch_vccnz .LBB6_1902
; %bb.1898:
	s_cmp_gt_i32 s2, 0
	s_mov_b64 s[0:1], -1
	s_cbranch_scc0 .LBB6_1900
; %bb.1899:
	v_cvt_i32_f64_e32 v3, v[4:5]
	s_mov_b64 s[0:1], 0
	global_store_byte v[0:1], v3, off
.LBB6_1900:
	s_andn2_b64 vcc, exec, s[0:1]
	s_cbranch_vccnz .LBB6_1902
; %bb.1901:
	v_trunc_f64_e32 v[3:4], v[4:5]
	s_movk_i32 s0, 0xffe0
	v_ldexp_f64 v[5:6], v[3:4], s0
	s_mov_b32 s0, 0
	s_mov_b32 s1, 0xc1f00000
	v_floor_f64_e32 v[5:6], v[5:6]
	v_fma_f64 v[3:4], v[5:6], s[0:1], v[3:4]
	v_cvt_u32_f64_e32 v3, v[3:4]
	global_store_byte v[0:1], v3, off
.LBB6_1902:
	s_mov_b64 s[10:11], -1
.LBB6_1903:
	s_andn2_b64 vcc, exec, s[10:11]
	s_cbranch_vccnz .LBB6_2099
; %bb.1904:
	v_add_u32_e32 v2, s18, v2
	v_ashrrev_i32_e32 v1, 31, v2
	v_mov_b32_e32 v3, s9
	v_add_co_u32_e32 v0, vcc, s8, v2
	s_cmp_lt_i32 s20, 11
	v_addc_co_u32_e32 v1, vcc, v3, v1, vcc
	s_cbranch_scc1 .LBB6_1982
; %bb.1905:
	s_and_b32 s19, 0xffff, s20
	s_mov_b64 s[12:13], -1
	s_mov_b64 s[2:3], 0
	s_cmp_gt_i32 s19, 25
	s_mov_b64 s[10:11], 0
	s_mov_b64 s[0:1], 0
	s_cbranch_scc0 .LBB6_1938
; %bb.1906:
	s_cmp_gt_i32 s19, 28
	s_cbranch_scc0 .LBB6_1921
; %bb.1907:
	s_cmp_gt_i32 s19, 43
	;; [unrolled: 3-line block ×3, first 2 shown]
	s_cbranch_scc0 .LBB6_1911
; %bb.1909:
	s_mov_b64 s[0:1], -1
	s_mov_b64 s[12:13], 0
	s_cmp_eq_u32 s19, 46
	s_cbranch_scc0 .LBB6_1911
; %bb.1910:
	v_cvt_f32_f64_e32 v3, v[8:9]
	s_movk_i32 s0, 0x7fff
	v_mov_b32_e32 v4, 0x7fc0
	s_mov_b64 s[10:11], -1
	v_bfe_u32 v5, v3, 16, 1
	v_cmp_o_f32_e32 vcc, v3, v3
	v_add3_u32 v3, v3, v5, s0
	v_cndmask_b32_sdwa v3, v4, v3, vcc dst_sel:DWORD dst_unused:UNUSED_PAD src0_sel:DWORD src1_sel:WORD_1
	global_store_dword v[0:1], v3, off
	s_mov_b64 s[0:1], 0
.LBB6_1911:
	s_and_b64 vcc, exec, s[12:13]
	s_cbranch_vccz .LBB6_1916
; %bb.1912:
	s_cmp_eq_u32 s19, 44
	s_mov_b64 s[0:1], -1
	s_cbranch_scc0 .LBB6_1916
; %bb.1913:
	v_cvt_f32_f64_e32 v3, v[8:9]
	s_movk_i32 s0, 0xff
	v_mov_b32_e32 v5, 0xff
	v_bfe_u32 v4, v3, 23, 8
	v_cmp_ne_u32_e32 vcc, s0, v4
	s_and_saveexec_b64 s[10:11], vcc
; %bb.1914:
	s_mov_b32 s0, 0x3fffff
	v_lshrrev_b32_e32 v5, 23, v3
	v_and_b32_e32 v6, 0x400000, v3
	v_and_or_b32 v3, v3, s0, v4
	v_cmp_ne_u32_e32 vcc, 0, v6
	v_cmp_ne_u32_e64 s[0:1], 0, v3
	s_and_b64 s[0:1], vcc, s[0:1]
	v_cndmask_b32_e64 v3, 0, 1, s[0:1]
	v_add_u32_e32 v5, v5, v3
; %bb.1915:
	s_or_b64 exec, exec, s[10:11]
	s_mov_b64 s[0:1], 0
	s_mov_b64 s[10:11], -1
	global_store_byte v[0:1], v5, off
.LBB6_1916:
	s_mov_b64 s[12:13], 0
.LBB6_1917:
	s_and_b64 vcc, exec, s[12:13]
	s_cbranch_vccz .LBB6_1920
; %bb.1918:
	s_cmp_eq_u32 s19, 29
	s_mov_b64 s[0:1], -1
	s_cbranch_scc0 .LBB6_1920
; %bb.1919:
	v_trunc_f64_e32 v[3:4], v[8:9]
	s_movk_i32 s0, 0xffe0
	s_mov_b64 s[10:11], -1
	v_ldexp_f64 v[5:6], v[3:4], s0
	s_mov_b32 s0, 0
	s_mov_b32 s1, 0xc1f00000
	v_floor_f64_e32 v[5:6], v[5:6]
	v_fma_f64 v[3:4], v[5:6], s[0:1], v[3:4]
	v_cvt_u32_f64_e32 v5, v[5:6]
	s_mov_b64 s[0:1], 0
	v_cvt_u32_f64_e32 v4, v[3:4]
	global_store_dwordx2 v[0:1], v[4:5], off
.LBB6_1920:
	s_mov_b64 s[12:13], 0
.LBB6_1921:
	s_and_b64 vcc, exec, s[12:13]
	s_cbranch_vccz .LBB6_1937
; %bb.1922:
	s_cmp_lt_i32 s19, 27
	s_mov_b64 s[10:11], -1
	s_cbranch_scc1 .LBB6_1928
; %bb.1923:
	v_cvt_u32_f64_e32 v3, v[8:9]
	s_cmp_gt_i32 s19, 27
	s_cbranch_scc0 .LBB6_1925
; %bb.1924:
	s_mov_b64 s[10:11], 0
	global_store_dword v[0:1], v3, off
.LBB6_1925:
	s_andn2_b64 vcc, exec, s[10:11]
	s_cbranch_vccnz .LBB6_1927
; %bb.1926:
	global_store_short v[0:1], v3, off
.LBB6_1927:
	s_mov_b64 s[10:11], 0
.LBB6_1928:
	s_andn2_b64 vcc, exec, s[10:11]
	s_cbranch_vccnz .LBB6_1936
; %bb.1929:
	v_cvt_f32_f64_e32 v3, v[8:9]
	s_mov_b32 s10, 0x43800000
	v_mov_b32_e32 v5, 0x80
	v_and_b32_e32 v4, 0x7fffffff, v3
	v_cmp_gt_u32_e32 vcc, s10, v4
	s_and_saveexec_b64 s[10:11], vcc
	s_cbranch_execz .LBB6_1935
; %bb.1930:
	s_mov_b32 s12, 0x3bffffff
	v_cmp_lt_u32_e32 vcc, s12, v4
	s_mov_b64 s[12:13], 0
                                        ; implicit-def: $vgpr4
	s_and_saveexec_b64 s[16:17], vcc
	s_xor_b64 s[16:17], exec, s[16:17]
	s_cbranch_execz .LBB6_2112
; %bb.1931:
	v_bfe_u32 v4, v3, 20, 1
	s_mov_b32 s21, 0x487ffff
	v_add3_u32 v4, v3, v4, s21
	s_mov_b64 s[12:13], exec
	v_lshrrev_b32_e32 v4, 20, v4
	s_andn2_saveexec_b64 s[16:17], s[16:17]
	s_cbranch_execnz .LBB6_2113
.LBB6_1932:
	s_or_b64 exec, exec, s[16:17]
	v_mov_b32_e32 v5, 0
	s_and_saveexec_b64 s[16:17], s[12:13]
.LBB6_1933:
	v_lshrrev_b32_e32 v3, 24, v3
	s_movk_i32 s12, 0x80
	v_and_or_b32 v5, v3, s12, v4
.LBB6_1934:
	s_or_b64 exec, exec, s[16:17]
.LBB6_1935:
	s_or_b64 exec, exec, s[10:11]
	global_store_byte v[0:1], v5, off
.LBB6_1936:
	s_mov_b64 s[10:11], -1
.LBB6_1937:
	s_mov_b64 s[12:13], 0
.LBB6_1938:
	s_and_b64 vcc, exec, s[12:13]
	s_cbranch_vccz .LBB6_1978
; %bb.1939:
	s_cmp_gt_i32 s19, 22
	s_mov_b64 s[2:3], -1
	s_cbranch_scc0 .LBB6_1971
; %bb.1940:
	s_cmp_lt_i32 s19, 24
	s_cbranch_scc1 .LBB6_1960
; %bb.1941:
	s_cmp_gt_i32 s19, 24
	s_cbranch_scc0 .LBB6_1949
; %bb.1942:
	v_cvt_f32_f64_e32 v3, v[8:9]
	s_mov_b32 s2, 0x47800000
	v_mov_b32_e32 v5, 0x80
	v_and_b32_e32 v4, 0x7fffffff, v3
	v_cmp_gt_u32_e32 vcc, s2, v4
	s_and_saveexec_b64 s[2:3], vcc
	s_cbranch_execz .LBB6_1948
; %bb.1943:
	s_mov_b32 s10, 0x37ffffff
	v_cmp_lt_u32_e32 vcc, s10, v4
	s_mov_b64 s[10:11], 0
                                        ; implicit-def: $vgpr4
	s_and_saveexec_b64 s[12:13], vcc
	s_xor_b64 s[12:13], exec, s[12:13]
	s_cbranch_execz .LBB6_2115
; %bb.1944:
	v_bfe_u32 v4, v3, 21, 1
	s_mov_b32 s16, 0x88fffff
	v_add3_u32 v4, v3, v4, s16
	s_mov_b64 s[10:11], exec
	v_lshrrev_b32_e32 v4, 21, v4
	s_andn2_saveexec_b64 s[12:13], s[12:13]
	s_cbranch_execnz .LBB6_2116
.LBB6_1945:
	s_or_b64 exec, exec, s[12:13]
	v_mov_b32_e32 v5, 0
	s_and_saveexec_b64 s[12:13], s[10:11]
.LBB6_1946:
	v_lshrrev_b32_e32 v3, 24, v3
	s_movk_i32 s10, 0x80
	v_and_or_b32 v5, v3, s10, v4
.LBB6_1947:
	s_or_b64 exec, exec, s[12:13]
.LBB6_1948:
	s_or_b64 exec, exec, s[2:3]
	s_mov_b64 s[2:3], 0
	global_store_byte v[0:1], v5, off
.LBB6_1949:
	s_and_b64 vcc, exec, s[2:3]
	s_cbranch_vccz .LBB6_1959
; %bb.1950:
	v_cvt_f32_f64_e32 v3, v[8:9]
	s_mov_b32 s2, 0x43f00000
                                        ; implicit-def: $vgpr4
	v_and_b32_e32 v5, 0x7fffffff, v3
	v_cmp_gt_u32_e32 vcc, s2, v5
	s_and_saveexec_b64 s[2:3], vcc
	s_xor_b64 s[2:3], exec, s[2:3]
	s_cbranch_execz .LBB6_1956
; %bb.1951:
	s_mov_b32 s10, 0x3c7fffff
	v_cmp_lt_u32_e32 vcc, s10, v5
                                        ; implicit-def: $vgpr4
	s_and_saveexec_b64 s[10:11], vcc
	s_xor_b64 s[10:11], exec, s[10:11]
; %bb.1952:
	v_bfe_u32 v4, v3, 20, 1
	s_mov_b32 s12, 0x407ffff
	v_add3_u32 v4, v3, v4, s12
	v_lshrrev_b32_e32 v5, 20, v4
	v_and_b32_e32 v4, 0xff00000, v4
	s_mov_b32 s12, 0x7f00000
	v_mov_b32_e32 v6, 0x7e
	v_cmp_ne_u32_e32 vcc, s12, v4
	v_cndmask_b32_e32 v4, v6, v5, vcc
; %bb.1953:
	s_andn2_saveexec_b64 s[10:11], s[10:11]
; %bb.1954:
	s_mov_b32 s12, 0x46800000
	v_add_f32_e64 v4, |v3|, s12
; %bb.1955:
	s_or_b64 exec, exec, s[10:11]
                                        ; implicit-def: $vgpr5
.LBB6_1956:
	s_andn2_saveexec_b64 s[2:3], s[2:3]
; %bb.1957:
	s_mov_b32 s10, 0x7f800000
	v_mov_b32_e32 v4, 0x7e
	v_mov_b32_e32 v6, 0x7f
	v_cmp_lt_u32_e32 vcc, s10, v5
	v_cndmask_b32_e32 v4, v4, v6, vcc
; %bb.1958:
	s_or_b64 exec, exec, s[2:3]
	v_lshrrev_b32_e32 v3, 24, v3
	s_movk_i32 s2, 0x80
	v_and_or_b32 v3, v3, s2, v4
	global_store_byte v[0:1], v3, off
.LBB6_1959:
	s_mov_b64 s[2:3], 0
.LBB6_1960:
	s_andn2_b64 vcc, exec, s[2:3]
	s_cbranch_vccnz .LBB6_1970
; %bb.1961:
	v_cvt_f32_f64_e32 v3, v[8:9]
	s_mov_b32 s2, 0x47800000
                                        ; implicit-def: $vgpr4
	v_and_b32_e32 v5, 0x7fffffff, v3
	v_cmp_gt_u32_e32 vcc, s2, v5
	s_and_saveexec_b64 s[2:3], vcc
	s_xor_b64 s[2:3], exec, s[2:3]
	s_cbranch_execz .LBB6_1967
; %bb.1962:
	s_mov_b32 s10, 0x387fffff
	v_cmp_lt_u32_e32 vcc, s10, v5
                                        ; implicit-def: $vgpr4
	s_and_saveexec_b64 s[10:11], vcc
	s_xor_b64 s[10:11], exec, s[10:11]
; %bb.1963:
	v_bfe_u32 v4, v3, 21, 1
	s_mov_b32 s12, 0x80fffff
	v_add3_u32 v4, v3, v4, s12
	v_lshrrev_b32_e32 v4, 21, v4
; %bb.1964:
	s_andn2_saveexec_b64 s[10:11], s[10:11]
; %bb.1965:
	s_mov_b32 s12, 0x43000000
	v_add_f32_e64 v4, |v3|, s12
; %bb.1966:
	s_or_b64 exec, exec, s[10:11]
                                        ; implicit-def: $vgpr5
.LBB6_1967:
	s_andn2_saveexec_b64 s[2:3], s[2:3]
; %bb.1968:
	s_mov_b32 s10, 0x7f800000
	v_mov_b32_e32 v4, 0x7c
	v_mov_b32_e32 v6, 0x7f
	v_cmp_lt_u32_e32 vcc, s10, v5
	v_cndmask_b32_e32 v4, v4, v6, vcc
; %bb.1969:
	s_or_b64 exec, exec, s[2:3]
	v_lshrrev_b32_e32 v3, 24, v3
	s_movk_i32 s2, 0x80
	v_and_or_b32 v3, v3, s2, v4
	global_store_byte v[0:1], v3, off
.LBB6_1970:
	s_mov_b64 s[2:3], 0
	s_mov_b64 s[10:11], -1
.LBB6_1971:
	s_andn2_b64 vcc, exec, s[2:3]
	s_mov_b64 s[2:3], 0
	s_cbranch_vccnz .LBB6_1978
; %bb.1972:
	s_cmp_gt_i32 s19, 14
	s_mov_b64 s[12:13], -1
	s_cbranch_scc0 .LBB6_1976
; %bb.1973:
	s_cmp_eq_u32 s19, 15
	s_mov_b64 s[0:1], -1
	s_cbranch_scc0 .LBB6_1975
; %bb.1974:
	v_cvt_f32_f64_e32 v3, v[8:9]
	s_movk_i32 s0, 0x7fff
	v_mov_b32_e32 v4, 0x7fc0
	s_mov_b64 s[10:11], -1
	v_bfe_u32 v5, v3, 16, 1
	v_cmp_o_f32_e32 vcc, v3, v3
	v_add3_u32 v3, v3, v5, s0
	v_cndmask_b32_sdwa v3, v4, v3, vcc dst_sel:DWORD dst_unused:UNUSED_PAD src0_sel:DWORD src1_sel:WORD_1
	global_store_short v[0:1], v3, off
	s_mov_b64 s[0:1], 0
.LBB6_1975:
	s_mov_b64 s[12:13], 0
.LBB6_1976:
	s_and_b64 vcc, exec, s[12:13]
	s_cbranch_vccz .LBB6_1978
; %bb.1977:
	s_cmp_lg_u32 s19, 11
	s_mov_b64 s[2:3], -1
	s_cselect_b64 s[0:1], -1, 0
.LBB6_1978:
	s_and_b64 vcc, exec, s[0:1]
	s_cbranch_vccnz .LBB6_2114
; %bb.1979:
	s_andn2_b64 vcc, exec, s[2:3]
	s_cbranch_vccnz .LBB6_1981
.LBB6_1980:
	v_cmp_neq_f64_e32 vcc, 0, v[8:9]
	s_mov_b64 s[10:11], -1
	v_cndmask_b32_e64 v3, 0, 1, vcc
	global_store_byte v[0:1], v3, off
.LBB6_1981:
	s_mov_b64 s[0:1], 0
	s_branch .LBB6_1983
.LBB6_1982:
	s_mov_b64 s[0:1], -1
	s_mov_b64 s[10:11], 0
.LBB6_1983:
	s_and_b64 vcc, exec, s[0:1]
	s_cbranch_vccz .LBB6_2022
; %bb.1984:
	s_and_b32 s2, 0xffff, s20
	s_cmp_lt_i32 s2, 5
	s_mov_b64 s[0:1], -1
	s_cbranch_scc1 .LBB6_2005
; %bb.1985:
	s_cmp_lt_i32 s2, 8
	s_cbranch_scc1 .LBB6_1995
; %bb.1986:
	s_cmp_lt_i32 s2, 9
	s_cbranch_scc1 .LBB6_1992
; %bb.1987:
	s_cmp_gt_i32 s2, 9
	s_cbranch_scc0 .LBB6_1989
; %bb.1988:
	v_mov_b32_e32 v10, 0
	v_mov_b32_e32 v11, v10
	global_store_dwordx4 v[0:1], v[8:11], off
	s_mov_b64 s[0:1], 0
.LBB6_1989:
	s_andn2_b64 vcc, exec, s[0:1]
	s_cbranch_vccnz .LBB6_1991
; %bb.1990:
	v_cvt_f32_f64_e32 v3, v[8:9]
	v_mov_b32_e32 v4, 0
	global_store_dwordx2 v[0:1], v[3:4], off
.LBB6_1991:
	s_mov_b64 s[0:1], 0
.LBB6_1992:
	s_andn2_b64 vcc, exec, s[0:1]
	s_cbranch_vccnz .LBB6_1994
; %bb.1993:
	s_movk_i32 s0, 0x1ff
	v_and_or_b32 v3, v9, s0, v8
	v_cmp_ne_u32_e32 vcc, 0, v3
	v_cndmask_b32_e64 v3, 0, 1, vcc
	v_lshrrev_b32_e32 v4, 8, v9
	s_movk_i32 s0, 0xffe
	v_bfe_u32 v5, v9, 20, 11
	v_and_or_b32 v3, v4, s0, v3
	v_sub_u32_e32 v6, 0x3f1, v5
	v_or_b32_e32 v4, 0x1000, v3
	v_med3_i32 v6, v6, 0, 13
	v_lshrrev_b32_e32 v7, v6, v4
	v_lshlrev_b32_e32 v6, v6, v7
	v_cmp_ne_u32_e32 vcc, v6, v4
	v_cndmask_b32_e64 v4, 0, 1, vcc
	v_add_u32_e32 v5, 0xfffffc10, v5
	v_or_b32_e32 v4, v7, v4
	v_lshl_or_b32 v6, v5, 12, v3
	v_cmp_gt_i32_e32 vcc, 1, v5
	v_cndmask_b32_e32 v4, v6, v4, vcc
	v_and_b32_e32 v6, 7, v4
	v_cmp_lt_i32_e32 vcc, 5, v6
	v_cndmask_b32_e64 v7, 0, 1, vcc
	v_cmp_eq_u32_e32 vcc, 3, v6
	v_cndmask_b32_e64 v6, 0, 1, vcc
	v_or_b32_e32 v6, v6, v7
	v_lshrrev_b32_e32 v4, 2, v4
	v_add_u32_e32 v4, v4, v6
	v_mov_b32_e32 v6, 0x7c00
	v_cmp_gt_i32_e32 vcc, 31, v5
	v_cndmask_b32_e32 v4, v6, v4, vcc
	v_mov_b32_e32 v7, 0x7e00
	v_cmp_ne_u32_e32 vcc, 0, v3
	s_movk_i32 s0, 0x40f
	v_cndmask_b32_e32 v3, v6, v7, vcc
	v_cmp_eq_u32_e32 vcc, s0, v5
	v_cndmask_b32_e32 v3, v4, v3, vcc
	v_lshrrev_b32_e32 v4, 16, v9
	s_mov_b32 s0, 0x8000
	v_and_or_b32 v3, v4, s0, v3
	v_and_b32_e32 v3, 0xffff, v3
	global_store_dword v[0:1], v3, off
.LBB6_1994:
	s_mov_b64 s[0:1], 0
.LBB6_1995:
	s_andn2_b64 vcc, exec, s[0:1]
	s_cbranch_vccnz .LBB6_2004
; %bb.1996:
	s_cmp_lt_i32 s2, 6
	s_mov_b64 s[0:1], -1
	s_cbranch_scc1 .LBB6_2002
; %bb.1997:
	s_cmp_gt_i32 s2, 6
	s_cbranch_scc0 .LBB6_1999
; %bb.1998:
	global_store_dwordx2 v[0:1], v[8:9], off
	s_mov_b64 s[0:1], 0
.LBB6_1999:
	s_andn2_b64 vcc, exec, s[0:1]
	s_cbranch_vccnz .LBB6_2001
; %bb.2000:
	v_cvt_f32_f64_e32 v3, v[8:9]
	global_store_dword v[0:1], v3, off
.LBB6_2001:
	s_mov_b64 s[0:1], 0
.LBB6_2002:
	s_andn2_b64 vcc, exec, s[0:1]
	s_cbranch_vccnz .LBB6_2004
; %bb.2003:
	s_movk_i32 s0, 0x1ff
	v_and_or_b32 v3, v9, s0, v8
	v_cmp_ne_u32_e32 vcc, 0, v3
	v_cndmask_b32_e64 v3, 0, 1, vcc
	v_lshrrev_b32_e32 v4, 8, v9
	s_movk_i32 s0, 0xffe
	v_bfe_u32 v5, v9, 20, 11
	v_and_or_b32 v3, v4, s0, v3
	v_sub_u32_e32 v6, 0x3f1, v5
	v_or_b32_e32 v4, 0x1000, v3
	v_med3_i32 v6, v6, 0, 13
	v_lshrrev_b32_e32 v7, v6, v4
	v_lshlrev_b32_e32 v6, v6, v7
	v_cmp_ne_u32_e32 vcc, v6, v4
	v_cndmask_b32_e64 v4, 0, 1, vcc
	v_add_u32_e32 v5, 0xfffffc10, v5
	v_or_b32_e32 v4, v7, v4
	v_lshl_or_b32 v6, v5, 12, v3
	v_cmp_gt_i32_e32 vcc, 1, v5
	v_cndmask_b32_e32 v4, v6, v4, vcc
	v_and_b32_e32 v6, 7, v4
	v_cmp_lt_i32_e32 vcc, 5, v6
	v_cndmask_b32_e64 v7, 0, 1, vcc
	v_cmp_eq_u32_e32 vcc, 3, v6
	v_cndmask_b32_e64 v6, 0, 1, vcc
	v_or_b32_e32 v6, v6, v7
	v_lshrrev_b32_e32 v4, 2, v4
	v_add_u32_e32 v4, v4, v6
	v_mov_b32_e32 v6, 0x7c00
	v_cmp_gt_i32_e32 vcc, 31, v5
	v_cndmask_b32_e32 v4, v6, v4, vcc
	v_mov_b32_e32 v7, 0x7e00
	v_cmp_ne_u32_e32 vcc, 0, v3
	s_movk_i32 s0, 0x40f
	v_cndmask_b32_e32 v3, v6, v7, vcc
	v_cmp_eq_u32_e32 vcc, s0, v5
	v_cndmask_b32_e32 v3, v4, v3, vcc
	v_lshrrev_b32_e32 v4, 16, v9
	s_mov_b32 s0, 0x8000
	v_and_or_b32 v3, v4, s0, v3
	global_store_short v[0:1], v3, off
.LBB6_2004:
	s_mov_b64 s[0:1], 0
.LBB6_2005:
	s_andn2_b64 vcc, exec, s[0:1]
	s_cbranch_vccnz .LBB6_2021
; %bb.2006:
	s_cmp_lt_i32 s2, 2
	s_mov_b64 s[0:1], -1
	s_cbranch_scc1 .LBB6_2016
; %bb.2007:
	s_cmp_lt_i32 s2, 3
	s_cbranch_scc1 .LBB6_2013
; %bb.2008:
	s_cmp_gt_i32 s2, 3
	s_cbranch_scc0 .LBB6_2010
; %bb.2009:
	v_trunc_f64_e32 v[3:4], v[8:9]
	s_movk_i32 s0, 0xffe0
	v_ldexp_f64 v[5:6], v[3:4], s0
	s_mov_b32 s0, 0
	s_mov_b32 s1, 0xc1f00000
	v_floor_f64_e32 v[5:6], v[5:6]
	v_fma_f64 v[3:4], v[5:6], s[0:1], v[3:4]
	v_cvt_i32_f64_e32 v5, v[5:6]
	s_mov_b64 s[0:1], 0
	v_cvt_u32_f64_e32 v4, v[3:4]
	global_store_dwordx2 v[0:1], v[4:5], off
.LBB6_2010:
	s_andn2_b64 vcc, exec, s[0:1]
	s_cbranch_vccnz .LBB6_2012
; %bb.2011:
	v_cvt_i32_f64_e32 v3, v[8:9]
	global_store_dword v[0:1], v3, off
.LBB6_2012:
	s_mov_b64 s[0:1], 0
.LBB6_2013:
	s_andn2_b64 vcc, exec, s[0:1]
	s_cbranch_vccnz .LBB6_2015
; %bb.2014:
	v_cvt_i32_f64_e32 v3, v[8:9]
	global_store_short v[0:1], v3, off
.LBB6_2015:
	s_mov_b64 s[0:1], 0
.LBB6_2016:
	s_andn2_b64 vcc, exec, s[0:1]
	s_cbranch_vccnz .LBB6_2021
; %bb.2017:
	s_cmp_gt_i32 s2, 0
	s_mov_b64 s[0:1], -1
	s_cbranch_scc0 .LBB6_2019
; %bb.2018:
	v_cvt_i32_f64_e32 v3, v[8:9]
	s_mov_b64 s[0:1], 0
	global_store_byte v[0:1], v3, off
.LBB6_2019:
	s_andn2_b64 vcc, exec, s[0:1]
	s_cbranch_vccnz .LBB6_2021
; %bb.2020:
	v_trunc_f64_e32 v[3:4], v[8:9]
	s_movk_i32 s0, 0xffe0
	v_ldexp_f64 v[5:6], v[3:4], s0
	s_mov_b32 s0, 0
	s_mov_b32 s1, 0xc1f00000
	v_floor_f64_e32 v[5:6], v[5:6]
	v_fma_f64 v[3:4], v[5:6], s[0:1], v[3:4]
	v_cvt_u32_f64_e32 v3, v[3:4]
	global_store_byte v[0:1], v3, off
.LBB6_2021:
	s_mov_b64 s[10:11], -1
.LBB6_2022:
	s_andn2_b64 vcc, exec, s[10:11]
	s_cbranch_vccnz .LBB6_2099
; %bb.2023:
	v_add_u32_e32 v0, s18, v2
	v_ashrrev_i32_e32 v1, 31, v0
	v_mov_b32_e32 v2, s9
	v_add_co_u32_e32 v0, vcc, s8, v0
	s_cmp_lt_i32 s20, 11
	v_addc_co_u32_e32 v1, vcc, v2, v1, vcc
	s_cbranch_scc1 .LBB6_2100
; %bb.2024:
	s_and_b32 s16, 0xffff, s20
	s_mov_b64 s[8:9], -1
	s_mov_b64 s[2:3], 0
	s_cmp_gt_i32 s16, 25
	s_mov_b64 s[0:1], 0
	s_cbranch_scc0 .LBB6_2057
; %bb.2025:
	s_cmp_gt_i32 s16, 28
	s_cbranch_scc0 .LBB6_2041
; %bb.2026:
	s_cmp_gt_i32 s16, 43
	;; [unrolled: 3-line block ×3, first 2 shown]
	s_cbranch_scc0 .LBB6_2031
; %bb.2028:
	s_cmp_eq_u32 s16, 46
	s_mov_b64 s[0:1], -1
	s_cbranch_scc0 .LBB6_2030
; %bb.2029:
	v_cvt_f32_f64_e32 v2, v[12:13]
	s_movk_i32 s0, 0x7fff
	v_mov_b32_e32 v3, 0x7fc0
	v_bfe_u32 v4, v2, 16, 1
	v_cmp_o_f32_e32 vcc, v2, v2
	v_add3_u32 v2, v2, v4, s0
	v_cndmask_b32_sdwa v2, v3, v2, vcc dst_sel:DWORD dst_unused:UNUSED_PAD src0_sel:DWORD src1_sel:WORD_1
	global_store_dword v[0:1], v2, off
	s_mov_b64 s[0:1], 0
.LBB6_2030:
	s_mov_b64 s[8:9], 0
.LBB6_2031:
	s_and_b64 vcc, exec, s[8:9]
	s_cbranch_vccz .LBB6_2036
; %bb.2032:
	s_cmp_eq_u32 s16, 44
	s_mov_b64 s[0:1], -1
	s_cbranch_scc0 .LBB6_2036
; %bb.2033:
	v_cvt_f32_f64_e32 v2, v[12:13]
	s_movk_i32 s0, 0xff
	v_mov_b32_e32 v4, 0xff
	v_bfe_u32 v3, v2, 23, 8
	v_cmp_ne_u32_e32 vcc, s0, v3
	s_and_saveexec_b64 s[8:9], vcc
; %bb.2034:
	s_mov_b32 s0, 0x3fffff
	v_lshrrev_b32_e32 v4, 23, v2
	v_and_b32_e32 v5, 0x400000, v2
	v_and_or_b32 v2, v2, s0, v3
	v_cmp_ne_u32_e32 vcc, 0, v5
	v_cmp_ne_u32_e64 s[0:1], 0, v2
	s_and_b64 s[0:1], vcc, s[0:1]
	v_cndmask_b32_e64 v2, 0, 1, s[0:1]
	v_add_u32_e32 v4, v4, v2
; %bb.2035:
	s_or_b64 exec, exec, s[8:9]
	s_mov_b64 s[0:1], 0
	global_store_byte v[0:1], v4, off
.LBB6_2036:
	s_mov_b64 s[8:9], 0
.LBB6_2037:
	s_and_b64 vcc, exec, s[8:9]
	s_cbranch_vccz .LBB6_2040
; %bb.2038:
	s_cmp_eq_u32 s16, 29
	s_mov_b64 s[0:1], -1
	s_cbranch_scc0 .LBB6_2040
; %bb.2039:
	v_trunc_f64_e32 v[2:3], v[12:13]
	s_movk_i32 s0, 0xffe0
	v_ldexp_f64 v[4:5], v[2:3], s0
	s_mov_b32 s0, 0
	s_mov_b32 s1, 0xc1f00000
	v_floor_f64_e32 v[4:5], v[4:5]
	v_fma_f64 v[2:3], v[4:5], s[0:1], v[2:3]
	v_cvt_u32_f64_e32 v4, v[4:5]
	s_mov_b64 s[0:1], 0
	v_cvt_u32_f64_e32 v3, v[2:3]
	global_store_dwordx2 v[0:1], v[3:4], off
.LBB6_2040:
	s_mov_b64 s[8:9], 0
.LBB6_2041:
	s_and_b64 vcc, exec, s[8:9]
	s_cbranch_vccz .LBB6_2056
; %bb.2042:
	s_cmp_lt_i32 s16, 27
	s_mov_b64 s[8:9], -1
	s_cbranch_scc1 .LBB6_2048
; %bb.2043:
	v_cvt_u32_f64_e32 v2, v[12:13]
	s_cmp_gt_i32 s16, 27
	s_cbranch_scc0 .LBB6_2045
; %bb.2044:
	global_store_dword v[0:1], v2, off
	s_mov_b64 s[8:9], 0
.LBB6_2045:
	s_andn2_b64 vcc, exec, s[8:9]
	s_cbranch_vccnz .LBB6_2047
; %bb.2046:
	global_store_short v[0:1], v2, off
.LBB6_2047:
	s_mov_b64 s[8:9], 0
.LBB6_2048:
	s_andn2_b64 vcc, exec, s[8:9]
	s_cbranch_vccnz .LBB6_2056
; %bb.2049:
	v_cvt_f32_f64_e32 v2, v[12:13]
	s_mov_b32 s8, 0x43800000
	v_mov_b32_e32 v4, 0x80
	v_and_b32_e32 v3, 0x7fffffff, v2
	v_cmp_gt_u32_e32 vcc, s8, v3
	s_and_saveexec_b64 s[8:9], vcc
	s_cbranch_execz .LBB6_2055
; %bb.2050:
	s_mov_b32 s10, 0x3bffffff
	v_cmp_lt_u32_e32 vcc, s10, v3
	s_mov_b64 s[10:11], 0
                                        ; implicit-def: $vgpr3
	s_and_saveexec_b64 s[12:13], vcc
	s_xor_b64 s[12:13], exec, s[12:13]
	s_cbranch_execz .LBB6_2117
; %bb.2051:
	v_bfe_u32 v3, v2, 20, 1
	s_mov_b32 s17, 0x487ffff
	v_add3_u32 v3, v2, v3, s17
	s_mov_b64 s[10:11], exec
	v_lshrrev_b32_e32 v3, 20, v3
	s_andn2_saveexec_b64 s[12:13], s[12:13]
	s_cbranch_execnz .LBB6_2118
.LBB6_2052:
	s_or_b64 exec, exec, s[12:13]
	v_mov_b32_e32 v4, 0
	s_and_saveexec_b64 s[12:13], s[10:11]
.LBB6_2053:
	v_lshrrev_b32_e32 v2, 24, v2
	s_movk_i32 s10, 0x80
	v_and_or_b32 v4, v2, s10, v3
.LBB6_2054:
	s_or_b64 exec, exec, s[12:13]
.LBB6_2055:
	s_or_b64 exec, exec, s[8:9]
	global_store_byte v[0:1], v4, off
.LBB6_2056:
	s_mov_b64 s[8:9], 0
.LBB6_2057:
	s_and_b64 vcc, exec, s[8:9]
	s_cbranch_vccz .LBB6_2097
; %bb.2058:
	s_cmp_gt_i32 s16, 22
	s_mov_b64 s[2:3], -1
	s_cbranch_scc0 .LBB6_2090
; %bb.2059:
	s_cmp_lt_i32 s16, 24
	s_cbranch_scc1 .LBB6_2079
; %bb.2060:
	s_cmp_gt_i32 s16, 24
	s_cbranch_scc0 .LBB6_2068
; %bb.2061:
	v_cvt_f32_f64_e32 v2, v[12:13]
	s_mov_b32 s2, 0x47800000
	v_mov_b32_e32 v4, 0x80
	v_and_b32_e32 v3, 0x7fffffff, v2
	v_cmp_gt_u32_e32 vcc, s2, v3
	s_and_saveexec_b64 s[2:3], vcc
	s_cbranch_execz .LBB6_2067
; %bb.2062:
	s_mov_b32 s8, 0x37ffffff
	v_cmp_lt_u32_e32 vcc, s8, v3
	s_mov_b64 s[8:9], 0
                                        ; implicit-def: $vgpr3
	s_and_saveexec_b64 s[10:11], vcc
	s_xor_b64 s[10:11], exec, s[10:11]
	s_cbranch_execz .LBB6_2120
; %bb.2063:
	v_bfe_u32 v3, v2, 21, 1
	s_mov_b32 s12, 0x88fffff
	v_add3_u32 v3, v2, v3, s12
	s_mov_b64 s[8:9], exec
	v_lshrrev_b32_e32 v3, 21, v3
	s_andn2_saveexec_b64 s[10:11], s[10:11]
	s_cbranch_execnz .LBB6_2121
.LBB6_2064:
	s_or_b64 exec, exec, s[10:11]
	v_mov_b32_e32 v4, 0
	s_and_saveexec_b64 s[10:11], s[8:9]
.LBB6_2065:
	v_lshrrev_b32_e32 v2, 24, v2
	s_movk_i32 s8, 0x80
	v_and_or_b32 v4, v2, s8, v3
.LBB6_2066:
	s_or_b64 exec, exec, s[10:11]
.LBB6_2067:
	s_or_b64 exec, exec, s[2:3]
	s_mov_b64 s[2:3], 0
	global_store_byte v[0:1], v4, off
.LBB6_2068:
	s_and_b64 vcc, exec, s[2:3]
	s_cbranch_vccz .LBB6_2078
; %bb.2069:
	v_cvt_f32_f64_e32 v2, v[12:13]
	s_mov_b32 s2, 0x43f00000
                                        ; implicit-def: $vgpr3
	v_and_b32_e32 v4, 0x7fffffff, v2
	v_cmp_gt_u32_e32 vcc, s2, v4
	s_and_saveexec_b64 s[2:3], vcc
	s_xor_b64 s[2:3], exec, s[2:3]
	s_cbranch_execz .LBB6_2075
; %bb.2070:
	s_mov_b32 s8, 0x3c7fffff
	v_cmp_lt_u32_e32 vcc, s8, v4
                                        ; implicit-def: $vgpr3
	s_and_saveexec_b64 s[8:9], vcc
	s_xor_b64 s[8:9], exec, s[8:9]
; %bb.2071:
	v_bfe_u32 v3, v2, 20, 1
	s_mov_b32 s10, 0x407ffff
	v_add3_u32 v3, v2, v3, s10
	v_lshrrev_b32_e32 v4, 20, v3
	v_and_b32_e32 v3, 0xff00000, v3
	s_mov_b32 s10, 0x7f00000
	v_mov_b32_e32 v5, 0x7e
	v_cmp_ne_u32_e32 vcc, s10, v3
	v_cndmask_b32_e32 v3, v5, v4, vcc
; %bb.2072:
	s_andn2_saveexec_b64 s[8:9], s[8:9]
; %bb.2073:
	s_mov_b32 s10, 0x46800000
	v_add_f32_e64 v3, |v2|, s10
; %bb.2074:
	s_or_b64 exec, exec, s[8:9]
                                        ; implicit-def: $vgpr4
.LBB6_2075:
	s_andn2_saveexec_b64 s[2:3], s[2:3]
; %bb.2076:
	s_mov_b32 s8, 0x7f800000
	v_mov_b32_e32 v3, 0x7e
	v_mov_b32_e32 v5, 0x7f
	v_cmp_lt_u32_e32 vcc, s8, v4
	v_cndmask_b32_e32 v3, v3, v5, vcc
; %bb.2077:
	s_or_b64 exec, exec, s[2:3]
	v_lshrrev_b32_e32 v2, 24, v2
	s_movk_i32 s2, 0x80
	v_and_or_b32 v2, v2, s2, v3
	global_store_byte v[0:1], v2, off
.LBB6_2078:
	s_mov_b64 s[2:3], 0
.LBB6_2079:
	s_andn2_b64 vcc, exec, s[2:3]
	s_cbranch_vccnz .LBB6_2089
; %bb.2080:
	v_cvt_f32_f64_e32 v2, v[12:13]
	s_mov_b32 s2, 0x47800000
                                        ; implicit-def: $vgpr3
	v_and_b32_e32 v4, 0x7fffffff, v2
	v_cmp_gt_u32_e32 vcc, s2, v4
	s_and_saveexec_b64 s[2:3], vcc
	s_xor_b64 s[2:3], exec, s[2:3]
	s_cbranch_execz .LBB6_2086
; %bb.2081:
	s_mov_b32 s8, 0x387fffff
	v_cmp_lt_u32_e32 vcc, s8, v4
                                        ; implicit-def: $vgpr3
	s_and_saveexec_b64 s[8:9], vcc
	s_xor_b64 s[8:9], exec, s[8:9]
; %bb.2082:
	v_bfe_u32 v3, v2, 21, 1
	s_mov_b32 s10, 0x80fffff
	v_add3_u32 v3, v2, v3, s10
	v_lshrrev_b32_e32 v3, 21, v3
; %bb.2083:
	s_andn2_saveexec_b64 s[8:9], s[8:9]
; %bb.2084:
	s_mov_b32 s10, 0x43000000
	v_add_f32_e64 v3, |v2|, s10
; %bb.2085:
	s_or_b64 exec, exec, s[8:9]
                                        ; implicit-def: $vgpr4
.LBB6_2086:
	s_andn2_saveexec_b64 s[2:3], s[2:3]
; %bb.2087:
	s_mov_b32 s8, 0x7f800000
	v_mov_b32_e32 v3, 0x7c
	v_mov_b32_e32 v5, 0x7f
	v_cmp_lt_u32_e32 vcc, s8, v4
	v_cndmask_b32_e32 v3, v3, v5, vcc
; %bb.2088:
	s_or_b64 exec, exec, s[2:3]
	v_lshrrev_b32_e32 v2, 24, v2
	s_movk_i32 s2, 0x80
	v_and_or_b32 v2, v2, s2, v3
	global_store_byte v[0:1], v2, off
.LBB6_2089:
	s_mov_b64 s[2:3], 0
.LBB6_2090:
	s_andn2_b64 vcc, exec, s[2:3]
	s_mov_b64 s[2:3], 0
	s_cbranch_vccnz .LBB6_2097
; %bb.2091:
	s_cmp_gt_i32 s16, 14
	s_mov_b64 s[8:9], -1
	s_cbranch_scc0 .LBB6_2095
; %bb.2092:
	s_cmp_eq_u32 s16, 15
	s_mov_b64 s[0:1], -1
	s_cbranch_scc0 .LBB6_2094
; %bb.2093:
	v_cvt_f32_f64_e32 v2, v[12:13]
	s_movk_i32 s0, 0x7fff
	v_mov_b32_e32 v3, 0x7fc0
	v_bfe_u32 v4, v2, 16, 1
	v_cmp_o_f32_e32 vcc, v2, v2
	v_add3_u32 v2, v2, v4, s0
	v_cndmask_b32_sdwa v2, v3, v2, vcc dst_sel:DWORD dst_unused:UNUSED_PAD src0_sel:DWORD src1_sel:WORD_1
	global_store_short v[0:1], v2, off
	s_mov_b64 s[0:1], 0
.LBB6_2094:
	s_mov_b64 s[8:9], 0
.LBB6_2095:
	s_and_b64 vcc, exec, s[8:9]
	s_cbranch_vccz .LBB6_2097
; %bb.2096:
	s_cmp_lg_u32 s16, 11
	s_mov_b64 s[2:3], -1
	s_cselect_b64 s[0:1], -1, 0
.LBB6_2097:
	s_and_b64 vcc, exec, s[0:1]
	s_cbranch_vccnz .LBB6_2119
.LBB6_2098:
	s_mov_b64 s[0:1], 0
	s_branch .LBB6_1700
.LBB6_2099:
	s_mov_b64 s[0:1], 0
                                        ; implicit-def: $sgpr20
                                        ; implicit-def: $vgpr0_vgpr1
	s_branch .LBB6_1699
.LBB6_2100:
	s_mov_b64 s[2:3], 0
	s_mov_b64 s[0:1], -1
	s_branch .LBB6_1700
.LBB6_2101:
	s_trap 2
	s_or_b64 s[14:15], s[14:15], exec
	s_cbranch_execz .LBB6_1558
	s_branch .LBB6_1559
.LBB6_2102:
	s_andn2_saveexec_b64 s[18:19], s[18:19]
	s_cbranch_execz .LBB6_1648
.LBB6_2103:
	s_mov_b32 s21, 0x46000000
	v_add_f32_e64 v3, |v2|, s21
	v_and_b32_e32 v3, 0xff, v3
	v_cmp_ne_u32_e32 vcc, 0, v3
	s_andn2_b64 s[16:17], s[16:17], exec
	s_and_b64 s[22:23], vcc, exec
	s_or_b64 s[16:17], s[16:17], s[22:23]
	s_or_b64 exec, exec, s[18:19]
	v_mov_b32_e32 v11, 0
	s_and_saveexec_b64 s[18:19], s[16:17]
	s_cbranch_execnz .LBB6_1649
	s_branch .LBB6_1650
.LBB6_2104:
	s_trap 2
	s_or_b64 s[14:15], s[14:15], exec
	s_cbranch_execz .LBB6_1696
	s_branch .LBB6_1697
.LBB6_2105:
	s_andn2_saveexec_b64 s[16:17], s[16:17]
	s_cbranch_execz .LBB6_1661
.LBB6_2106:
	s_mov_b32 s18, 0x42800000
	v_add_f32_e64 v3, |v2|, s18
	v_and_b32_e32 v3, 0xff, v3
	v_cmp_ne_u32_e32 vcc, 0, v3
	s_andn2_b64 s[12:13], s[12:13], exec
	s_and_b64 s[18:19], vcc, exec
	s_or_b64 s[12:13], s[12:13], s[18:19]
	s_or_b64 exec, exec, s[16:17]
	v_mov_b32_e32 v11, 0
	s_and_saveexec_b64 s[16:17], s[12:13]
	s_cbranch_execnz .LBB6_1662
	s_branch .LBB6_1663
.LBB6_2107:
	s_andn2_saveexec_b64 s[16:17], s[16:17]
	s_cbranch_execz .LBB6_1813
.LBB6_2108:
	s_mov_b32 s21, 0x46000000
	v_add_f32_e64 v6, |v3|, s21
	v_and_b32_e32 v6, 0xff, v6
	v_cmp_ne_u32_e32 vcc, 0, v6
	s_andn2_b64 s[12:13], s[12:13], exec
	s_and_b64 s[22:23], vcc, exec
	s_or_b64 s[12:13], s[12:13], s[22:23]
	s_or_b64 exec, exec, s[16:17]
	v_mov_b32_e32 v7, 0
	s_and_saveexec_b64 s[16:17], s[12:13]
	s_cbranch_execnz .LBB6_1814
	s_branch .LBB6_1815
.LBB6_2109:
	s_trap 2
	s_or_b64 s[14:15], s[14:15], exec
	s_cbranch_execz .LBB6_1861
	s_branch .LBB6_1862
.LBB6_2110:
	s_andn2_saveexec_b64 s[12:13], s[12:13]
	s_cbranch_execz .LBB6_1826
.LBB6_2111:
	s_mov_b32 s16, 0x42800000
	v_add_f32_e64 v6, |v3|, s16
	v_and_b32_e32 v6, 0xff, v6
	v_cmp_ne_u32_e32 vcc, 0, v6
	s_andn2_b64 s[10:11], s[10:11], exec
	s_and_b64 s[16:17], vcc, exec
	s_or_b64 s[10:11], s[10:11], s[16:17]
	s_or_b64 exec, exec, s[12:13]
	v_mov_b32_e32 v7, 0
	s_and_saveexec_b64 s[12:13], s[10:11]
	s_cbranch_execnz .LBB6_1827
	s_branch .LBB6_1828
.LBB6_2112:
	s_andn2_saveexec_b64 s[16:17], s[16:17]
	s_cbranch_execz .LBB6_1932
.LBB6_2113:
	s_mov_b32 s21, 0x46000000
	v_add_f32_e64 v4, |v3|, s21
	v_and_b32_e32 v4, 0xff, v4
	v_cmp_ne_u32_e32 vcc, 0, v4
	s_andn2_b64 s[12:13], s[12:13], exec
	s_and_b64 s[22:23], vcc, exec
	s_or_b64 s[12:13], s[12:13], s[22:23]
	s_or_b64 exec, exec, s[16:17]
	v_mov_b32_e32 v5, 0
	s_and_saveexec_b64 s[16:17], s[12:13]
	s_cbranch_execnz .LBB6_1933
	s_branch .LBB6_1934
.LBB6_2114:
	s_trap 2
	s_or_b64 s[14:15], s[14:15], exec
	s_cbranch_execz .LBB6_1980
	s_branch .LBB6_1981
.LBB6_2115:
	s_andn2_saveexec_b64 s[12:13], s[12:13]
	s_cbranch_execz .LBB6_1945
.LBB6_2116:
	s_mov_b32 s16, 0x42800000
	v_add_f32_e64 v4, |v3|, s16
	v_and_b32_e32 v4, 0xff, v4
	v_cmp_ne_u32_e32 vcc, 0, v4
	s_andn2_b64 s[10:11], s[10:11], exec
	s_and_b64 s[16:17], vcc, exec
	s_or_b64 s[10:11], s[10:11], s[16:17]
	s_or_b64 exec, exec, s[12:13]
	v_mov_b32_e32 v5, 0
	s_and_saveexec_b64 s[12:13], s[10:11]
	s_cbranch_execnz .LBB6_1946
	s_branch .LBB6_1947
.LBB6_2117:
	s_andn2_saveexec_b64 s[12:13], s[12:13]
	s_cbranch_execz .LBB6_2052
.LBB6_2118:
	s_mov_b32 s17, 0x46000000
	v_add_f32_e64 v3, |v2|, s17
	v_and_b32_e32 v3, 0xff, v3
	v_cmp_ne_u32_e32 vcc, 0, v3
	s_andn2_b64 s[10:11], s[10:11], exec
	s_and_b64 s[18:19], vcc, exec
	s_or_b64 s[10:11], s[10:11], s[18:19]
	s_or_b64 exec, exec, s[12:13]
	v_mov_b32_e32 v4, 0
	s_and_saveexec_b64 s[12:13], s[10:11]
	s_cbranch_execnz .LBB6_2053
	s_branch .LBB6_2054
.LBB6_2119:
	s_mov_b64 s[2:3], 0
	s_or_b64 s[14:15], s[14:15], exec
	s_trap 2
	s_branch .LBB6_2098
.LBB6_2120:
	s_andn2_saveexec_b64 s[10:11], s[10:11]
	s_cbranch_execz .LBB6_2064
.LBB6_2121:
	s_mov_b32 s12, 0x42800000
	v_add_f32_e64 v3, |v2|, s12
	v_and_b32_e32 v3, 0xff, v3
	v_cmp_ne_u32_e32 vcc, 0, v3
	s_andn2_b64 s[8:9], s[8:9], exec
	s_and_b64 s[12:13], vcc, exec
	s_or_b64 s[8:9], s[8:9], s[12:13]
	s_or_b64 exec, exec, s[10:11]
	v_mov_b32_e32 v4, 0
	s_and_saveexec_b64 s[10:11], s[8:9]
	s_cbranch_execnz .LBB6_2065
	s_branch .LBB6_2066
	.section	.rodata,"a",@progbits
	.p2align	6, 0x0
	.amdhsa_kernel _ZN2at6native32elementwise_kernel_manual_unrollILi128ELi4EZNS0_15gpu_kernel_implIZZZNS0_12_GLOBAL__N_131spherical_bessel_j0_kernel_cudaERNS_18TensorIteratorBaseEENKUlvE_clEvENKUlvE_clEvEUldE_EEvS5_RKT_EUlibE_EEviT1_
		.amdhsa_group_segment_fixed_size 0
		.amdhsa_private_segment_fixed_size 0
		.amdhsa_kernarg_size 40
		.amdhsa_user_sgpr_count 6
		.amdhsa_user_sgpr_private_segment_buffer 1
		.amdhsa_user_sgpr_dispatch_ptr 0
		.amdhsa_user_sgpr_queue_ptr 0
		.amdhsa_user_sgpr_kernarg_segment_ptr 1
		.amdhsa_user_sgpr_dispatch_id 0
		.amdhsa_user_sgpr_flat_scratch_init 0
		.amdhsa_user_sgpr_private_segment_size 0
		.amdhsa_uses_dynamic_stack 0
		.amdhsa_system_sgpr_private_segment_wavefront_offset 0
		.amdhsa_system_sgpr_workgroup_id_x 1
		.amdhsa_system_sgpr_workgroup_id_y 0
		.amdhsa_system_sgpr_workgroup_id_z 0
		.amdhsa_system_sgpr_workgroup_info 0
		.amdhsa_system_vgpr_workitem_id 0
		.amdhsa_next_free_vgpr 41
		.amdhsa_next_free_sgpr 44
		.amdhsa_reserve_vcc 1
		.amdhsa_reserve_flat_scratch 0
		.amdhsa_float_round_mode_32 0
		.amdhsa_float_round_mode_16_64 0
		.amdhsa_float_denorm_mode_32 3
		.amdhsa_float_denorm_mode_16_64 3
		.amdhsa_dx10_clamp 1
		.amdhsa_ieee_mode 1
		.amdhsa_fp16_overflow 0
		.amdhsa_exception_fp_ieee_invalid_op 0
		.amdhsa_exception_fp_denorm_src 0
		.amdhsa_exception_fp_ieee_div_zero 0
		.amdhsa_exception_fp_ieee_overflow 0
		.amdhsa_exception_fp_ieee_underflow 0
		.amdhsa_exception_fp_ieee_inexact 0
		.amdhsa_exception_int_div_zero 0
	.end_amdhsa_kernel
	.section	.text._ZN2at6native32elementwise_kernel_manual_unrollILi128ELi4EZNS0_15gpu_kernel_implIZZZNS0_12_GLOBAL__N_131spherical_bessel_j0_kernel_cudaERNS_18TensorIteratorBaseEENKUlvE_clEvENKUlvE_clEvEUldE_EEvS5_RKT_EUlibE_EEviT1_,"axG",@progbits,_ZN2at6native32elementwise_kernel_manual_unrollILi128ELi4EZNS0_15gpu_kernel_implIZZZNS0_12_GLOBAL__N_131spherical_bessel_j0_kernel_cudaERNS_18TensorIteratorBaseEENKUlvE_clEvENKUlvE_clEvEUldE_EEvS5_RKT_EUlibE_EEviT1_,comdat
.Lfunc_end6:
	.size	_ZN2at6native32elementwise_kernel_manual_unrollILi128ELi4EZNS0_15gpu_kernel_implIZZZNS0_12_GLOBAL__N_131spherical_bessel_j0_kernel_cudaERNS_18TensorIteratorBaseEENKUlvE_clEvENKUlvE_clEvEUldE_EEvS5_RKT_EUlibE_EEviT1_, .Lfunc_end6-_ZN2at6native32elementwise_kernel_manual_unrollILi128ELi4EZNS0_15gpu_kernel_implIZZZNS0_12_GLOBAL__N_131spherical_bessel_j0_kernel_cudaERNS_18TensorIteratorBaseEENKUlvE_clEvENKUlvE_clEvEUldE_EEvS5_RKT_EUlibE_EEviT1_
                                        ; -- End function
	.set _ZN2at6native32elementwise_kernel_manual_unrollILi128ELi4EZNS0_15gpu_kernel_implIZZZNS0_12_GLOBAL__N_131spherical_bessel_j0_kernel_cudaERNS_18TensorIteratorBaseEENKUlvE_clEvENKUlvE_clEvEUldE_EEvS5_RKT_EUlibE_EEviT1_.num_vgpr, 41
	.set _ZN2at6native32elementwise_kernel_manual_unrollILi128ELi4EZNS0_15gpu_kernel_implIZZZNS0_12_GLOBAL__N_131spherical_bessel_j0_kernel_cudaERNS_18TensorIteratorBaseEENKUlvE_clEvENKUlvE_clEvEUldE_EEvS5_RKT_EUlibE_EEviT1_.num_agpr, 0
	.set _ZN2at6native32elementwise_kernel_manual_unrollILi128ELi4EZNS0_15gpu_kernel_implIZZZNS0_12_GLOBAL__N_131spherical_bessel_j0_kernel_cudaERNS_18TensorIteratorBaseEENKUlvE_clEvENKUlvE_clEvEUldE_EEvS5_RKT_EUlibE_EEviT1_.numbered_sgpr, 44
	.set _ZN2at6native32elementwise_kernel_manual_unrollILi128ELi4EZNS0_15gpu_kernel_implIZZZNS0_12_GLOBAL__N_131spherical_bessel_j0_kernel_cudaERNS_18TensorIteratorBaseEENKUlvE_clEvENKUlvE_clEvEUldE_EEvS5_RKT_EUlibE_EEviT1_.num_named_barrier, 0
	.set _ZN2at6native32elementwise_kernel_manual_unrollILi128ELi4EZNS0_15gpu_kernel_implIZZZNS0_12_GLOBAL__N_131spherical_bessel_j0_kernel_cudaERNS_18TensorIteratorBaseEENKUlvE_clEvENKUlvE_clEvEUldE_EEvS5_RKT_EUlibE_EEviT1_.private_seg_size, 0
	.set _ZN2at6native32elementwise_kernel_manual_unrollILi128ELi4EZNS0_15gpu_kernel_implIZZZNS0_12_GLOBAL__N_131spherical_bessel_j0_kernel_cudaERNS_18TensorIteratorBaseEENKUlvE_clEvENKUlvE_clEvEUldE_EEvS5_RKT_EUlibE_EEviT1_.uses_vcc, 1
	.set _ZN2at6native32elementwise_kernel_manual_unrollILi128ELi4EZNS0_15gpu_kernel_implIZZZNS0_12_GLOBAL__N_131spherical_bessel_j0_kernel_cudaERNS_18TensorIteratorBaseEENKUlvE_clEvENKUlvE_clEvEUldE_EEvS5_RKT_EUlibE_EEviT1_.uses_flat_scratch, 0
	.set _ZN2at6native32elementwise_kernel_manual_unrollILi128ELi4EZNS0_15gpu_kernel_implIZZZNS0_12_GLOBAL__N_131spherical_bessel_j0_kernel_cudaERNS_18TensorIteratorBaseEENKUlvE_clEvENKUlvE_clEvEUldE_EEvS5_RKT_EUlibE_EEviT1_.has_dyn_sized_stack, 0
	.set _ZN2at6native32elementwise_kernel_manual_unrollILi128ELi4EZNS0_15gpu_kernel_implIZZZNS0_12_GLOBAL__N_131spherical_bessel_j0_kernel_cudaERNS_18TensorIteratorBaseEENKUlvE_clEvENKUlvE_clEvEUldE_EEvS5_RKT_EUlibE_EEviT1_.has_recursion, 0
	.set _ZN2at6native32elementwise_kernel_manual_unrollILi128ELi4EZNS0_15gpu_kernel_implIZZZNS0_12_GLOBAL__N_131spherical_bessel_j0_kernel_cudaERNS_18TensorIteratorBaseEENKUlvE_clEvENKUlvE_clEvEUldE_EEvS5_RKT_EUlibE_EEviT1_.has_indirect_call, 0
	.section	.AMDGPU.csdata,"",@progbits
; Kernel info:
; codeLenInByte = 48364
; TotalNumSgprs: 48
; NumVgprs: 41
; ScratchSize: 0
; MemoryBound: 1
; FloatMode: 240
; IeeeMode: 1
; LDSByteSize: 0 bytes/workgroup (compile time only)
; SGPRBlocks: 5
; VGPRBlocks: 10
; NumSGPRsForWavesPerEU: 48
; NumVGPRsForWavesPerEU: 41
; Occupancy: 5
; WaveLimiterHint : 0
; COMPUTE_PGM_RSRC2:SCRATCH_EN: 0
; COMPUTE_PGM_RSRC2:USER_SGPR: 6
; COMPUTE_PGM_RSRC2:TRAP_HANDLER: 0
; COMPUTE_PGM_RSRC2:TGID_X_EN: 1
; COMPUTE_PGM_RSRC2:TGID_Y_EN: 0
; COMPUTE_PGM_RSRC2:TGID_Z_EN: 0
; COMPUTE_PGM_RSRC2:TIDIG_COMP_CNT: 0
	.section	.text._ZN2at6native32elementwise_kernel_manual_unrollILi128ELi4EZNS0_15gpu_kernel_implIZZZNS0_12_GLOBAL__N_131spherical_bessel_j0_kernel_cudaERNS_18TensorIteratorBaseEENKUlvE_clEvENKUlvE_clEvEUldE_EEvS5_RKT_EUlibE0_EEviT1_,"axG",@progbits,_ZN2at6native32elementwise_kernel_manual_unrollILi128ELi4EZNS0_15gpu_kernel_implIZZZNS0_12_GLOBAL__N_131spherical_bessel_j0_kernel_cudaERNS_18TensorIteratorBaseEENKUlvE_clEvENKUlvE_clEvEUldE_EEvS5_RKT_EUlibE0_EEviT1_,comdat
	.globl	_ZN2at6native32elementwise_kernel_manual_unrollILi128ELi4EZNS0_15gpu_kernel_implIZZZNS0_12_GLOBAL__N_131spherical_bessel_j0_kernel_cudaERNS_18TensorIteratorBaseEENKUlvE_clEvENKUlvE_clEvEUldE_EEvS5_RKT_EUlibE0_EEviT1_ ; -- Begin function _ZN2at6native32elementwise_kernel_manual_unrollILi128ELi4EZNS0_15gpu_kernel_implIZZZNS0_12_GLOBAL__N_131spherical_bessel_j0_kernel_cudaERNS_18TensorIteratorBaseEENKUlvE_clEvENKUlvE_clEvEUldE_EEvS5_RKT_EUlibE0_EEviT1_
	.p2align	8
	.type	_ZN2at6native32elementwise_kernel_manual_unrollILi128ELi4EZNS0_15gpu_kernel_implIZZZNS0_12_GLOBAL__N_131spherical_bessel_j0_kernel_cudaERNS_18TensorIteratorBaseEENKUlvE_clEvENKUlvE_clEvEUldE_EEvS5_RKT_EUlibE0_EEviT1_,@function
_ZN2at6native32elementwise_kernel_manual_unrollILi128ELi4EZNS0_15gpu_kernel_implIZZZNS0_12_GLOBAL__N_131spherical_bessel_j0_kernel_cudaERNS_18TensorIteratorBaseEENKUlvE_clEvENKUlvE_clEvEUldE_EEvS5_RKT_EUlibE0_EEviT1_: ; @_ZN2at6native32elementwise_kernel_manual_unrollILi128ELi4EZNS0_15gpu_kernel_implIZZZNS0_12_GLOBAL__N_131spherical_bessel_j0_kernel_cudaERNS_18TensorIteratorBaseEENKUlvE_clEvENKUlvE_clEvEUldE_EEvS5_RKT_EUlibE0_EEviT1_
; %bb.0:
	s_load_dword s70, s[4:5], 0x0
	s_load_dword s33, s[4:5], 0x8
	s_add_u32 s34, s4, 8
	s_addc_u32 s35, s5, 0
	v_lshl_or_b32 v8, s6, 9, v0
	v_or_b32_e32 v5, 0x180, v8
	s_waitcnt lgkmcnt(0)
	s_add_i32 s72, s33, -1
	s_cmp_gt_u32 s72, 1
	v_cmp_le_i32_e32 vcc, s70, v5
	s_cselect_b64 s[40:41], -1, 0
	s_mov_b64 s[6:7], 0
	s_mov_b64 s[28:29], 0
	s_and_saveexec_b64 s[0:1], vcc
	s_xor_b64 s[42:43], exec, s[0:1]
	s_cbranch_execz .LBB7_1126
; %bb.1:
	v_mov_b32_e32 v0, 0
	global_load_ushort v0, v0, s[34:35] offset:345
	s_load_dwordx4 s[36:39], s[34:35], 0x4
	s_load_dwordx2 s[44:45], s[34:35], 0x14
	s_load_dwordx4 s[28:31], s[34:35], 0xc4
	s_load_dwordx4 s[24:27], s[34:35], 0x148
	s_cmp_lg_u32 s33, 0
	s_cselect_b64 s[50:51], -1, 0
	s_add_u32 s48, s34, 0xc4
	s_addc_u32 s49, s35, 0
	s_min_u32 s75, s72, 15
	s_cmp_gt_u32 s33, 1
	s_cselect_b64 s[46:47], -1, 0
	v_cmp_gt_i32_e32 vcc, s70, v8
	s_mov_b64 s[2:3], -1
	s_mov_b64 s[60:61], 0
	s_mov_b64 s[54:55], 0
	;; [unrolled: 1-line block ×3, first 2 shown]
	s_waitcnt vmcnt(0)
	v_readfirstlane_b32 s73, v0
	s_and_b32 s0, 0xffff, s73
	s_lshr_b32 s74, s0, 8
	s_and_saveexec_b64 s[56:57], vcc
	s_cbranch_execz .LBB7_276
; %bb.2:
	s_andn2_b64 vcc, exec, s[40:41]
	s_cbranch_vccnz .LBB7_7
; %bb.3:
	s_andn2_b64 vcc, exec, s[50:51]
	s_cbranch_vccnz .LBB7_8
; %bb.4:
	s_add_i32 s59, s75, 1
	s_cmp_eq_u32 s72, 2
	s_cbranch_scc1 .LBB7_9
; %bb.5:
	s_and_b32 s58, s59, 28
	v_mov_b32_e32 v0, 0
	s_mov_b32 s62, 0
	s_mov_b64 s[52:53], s[34:35]
	s_mov_b64 s[54:55], s[48:49]
	v_mov_b32_e32 v2, 0
	v_mov_b32_e32 v1, v8
.LBB7_6:                                ; =>This Inner Loop Header: Depth=1
	s_load_dwordx8 s[16:23], s[52:53], 0x4
	s_load_dwordx4 s[0:3], s[52:53], 0x24
	s_load_dwordx8 s[8:15], s[54:55], 0x0
	s_add_u32 s52, s52, 48
	s_addc_u32 s53, s53, 0
	s_waitcnt lgkmcnt(0)
	v_mul_hi_u32 v3, s17, v1
	s_add_i32 s62, s62, 4
	s_add_u32 s54, s54, 32
	s_addc_u32 s55, s55, 0
	v_add_u32_e32 v3, v1, v3
	v_lshrrev_b32_e32 v3, s18, v3
	v_mul_lo_u32 v4, v3, s16
	v_mul_hi_u32 v5, s20, v3
	s_cmp_lg_u32 s58, s62
	v_sub_u32_e32 v1, v1, v4
	v_add_u32_e32 v4, v3, v5
	v_mul_lo_u32 v5, v1, s8
	v_mul_lo_u32 v6, v1, s9
	v_lshrrev_b32_e32 v1, s21, v4
	v_mul_lo_u32 v4, v1, s19
	v_mul_hi_u32 v7, s23, v1
	v_sub_u32_e32 v3, v3, v4
	v_add_u32_e32 v4, v1, v7
	v_lshrrev_b32_e32 v4, s0, v4
	v_mul_hi_u32 v9, s2, v4
	v_mul_lo_u32 v10, v4, s22
	v_mul_lo_u32 v7, v3, s10
	;; [unrolled: 1-line block ×3, first 2 shown]
	v_sub_u32_e32 v10, v1, v10
	v_add_u32_e32 v1, v4, v9
	v_lshrrev_b32_e32 v1, s3, v1
	v_mul_lo_u32 v9, v1, s1
	v_mul_lo_u32 v11, v10, s12
	;; [unrolled: 1-line block ×3, first 2 shown]
	v_add3_u32 v2, v5, v2, v7
	v_sub_u32_e32 v4, v4, v9
	v_mul_lo_u32 v9, v4, s14
	v_mul_lo_u32 v4, v4, s15
	v_add3_u32 v0, v6, v0, v3
	v_add3_u32 v2, v11, v2, v9
	;; [unrolled: 1-line block ×3, first 2 shown]
	s_cbranch_scc1 .LBB7_6
	s_branch .LBB7_10
.LBB7_7:
                                        ; implicit-def: $vgpr2
                                        ; implicit-def: $vgpr0
	s_branch .LBB7_14
.LBB7_8:
	v_mov_b32_e32 v2, 0
	v_mov_b32_e32 v0, 0
	s_branch .LBB7_13
.LBB7_9:
	s_mov_b32 s58, 0
	v_mov_b32_e32 v2, 0
	v_mov_b32_e32 v0, 0
	v_mov_b32_e32 v1, v8
.LBB7_10:
	s_and_b32 s8, s59, 3
	s_cmp_eq_u32 s8, 0
	s_cbranch_scc1 .LBB7_13
; %bb.11:
	s_lshl_b32 s0, s58, 3
	s_add_u32 s0, s34, s0
	s_addc_u32 s1, s35, 0
	s_add_u32 s0, s0, 0xc4
	s_addc_u32 s1, s1, 0
	s_mul_i32 s2, s58, 12
	s_add_u32 s2, s34, s2
	s_addc_u32 s3, s35, 0
.LBB7_12:                               ; =>This Inner Loop Header: Depth=1
	s_load_dwordx2 s[10:11], s[2:3], 0x4
	s_load_dword s9, s[2:3], 0xc
	s_load_dwordx2 s[12:13], s[0:1], 0x0
	s_add_u32 s2, s2, 12
	s_addc_u32 s3, s3, 0
	s_waitcnt lgkmcnt(0)
	v_mul_hi_u32 v3, s11, v1
	s_add_u32 s0, s0, 8
	s_addc_u32 s1, s1, 0
	s_add_i32 s8, s8, -1
	v_add_u32_e32 v3, v1, v3
	v_lshrrev_b32_e32 v4, s9, v3
	v_mul_lo_u32 v3, v4, s10
	s_cmp_lg_u32 s8, 0
	v_sub_u32_e32 v1, v1, v3
	v_mad_u64_u32 v[2:3], s[10:11], v1, s12, v[2:3]
	v_mad_u64_u32 v[0:1], s[10:11], v1, s13, v[0:1]
	v_mov_b32_e32 v1, v4
	s_cbranch_scc1 .LBB7_12
.LBB7_13:
	s_cbranch_execnz .LBB7_16
.LBB7_14:
	s_waitcnt lgkmcnt(0)
	v_mul_hi_u32 v0, s37, v8
	s_andn2_b64 vcc, exec, s[46:47]
	v_add_u32_e32 v0, v8, v0
	v_lshrrev_b32_e32 v1, s38, v0
	v_mul_lo_u32 v0, v1, s36
	v_sub_u32_e32 v0, v8, v0
	v_mul_lo_u32 v2, v0, s28
	v_mul_lo_u32 v0, v0, s29
	s_cbranch_vccnz .LBB7_16
; %bb.15:
	v_mul_hi_u32 v3, s44, v1
	v_add_u32_e32 v3, v1, v3
	v_lshrrev_b32_e32 v3, s45, v3
	v_mul_lo_u32 v3, v3, s39
	v_sub_u32_e32 v1, v1, v3
	v_mad_u64_u32 v[2:3], s[0:1], v1, s30, v[2:3]
	v_mad_u64_u32 v[0:1], s[0:1], v1, s31, v[0:1]
.LBB7_16:
	s_waitcnt lgkmcnt(0)
	v_mov_b32_e32 v1, s27
	s_and_b32 s12, 0xffff, s74
	v_add_co_u32_e32 v0, vcc, s26, v0
	s_cmp_lt_i32 s12, 11
	v_addc_co_u32_e32 v1, vcc, 0, v1, vcc
	s_cbranch_scc1 .LBB7_23
; %bb.17:
	s_cmp_gt_i32 s12, 25
	s_cbranch_scc0 .LBB7_42
; %bb.18:
	s_cmp_gt_i32 s12, 28
	s_cbranch_scc0 .LBB7_45
	;; [unrolled: 3-line block ×4, first 2 shown]
; %bb.21:
	s_cmp_eq_u32 s12, 46
	s_mov_b64 s[8:9], 0
	s_cbranch_scc0 .LBB7_51
; %bb.22:
	global_load_dword v3, v[0:1], off
	s_mov_b64 s[0:1], -1
	s_mov_b64 s[2:3], 0
	s_waitcnt vmcnt(0)
	v_lshlrev_b32_e32 v3, 16, v3
	v_cvt_f64_f32_e32 v[3:4], v3
	s_branch .LBB7_53
.LBB7_23:
	s_mov_b64 s[2:3], 0
                                        ; implicit-def: $vgpr3_vgpr4
	s_mov_b64 s[0:1], 0
	s_cbranch_execnz .LBB7_226
.LBB7_24:
	s_andn2_b64 vcc, exec, s[0:1]
	s_cbranch_vccnz .LBB7_273
.LBB7_25:
	s_mov_b32 s0, 0
	s_mov_b32 s1, 0x7ff00000
	s_waitcnt vmcnt(0)
	v_cmp_neq_f64_e64 s[0:1], |v[3:4]|, s[0:1]
	v_mov_b32_e32 v0, 0
	v_mov_b32_e32 v1, 0
	s_and_saveexec_b64 s[8:9], s[0:1]
	s_cbranch_execz .LBB7_35
; %bb.26:
	v_cmp_nlt_f64_e64 s[0:1], |v[3:4]|, 0.5
                                        ; implicit-def: $vgpr0_vgpr1
	s_and_saveexec_b64 s[10:11], s[0:1]
	s_xor_b64 s[10:11], exec, s[10:11]
	s_cbranch_execz .LBB7_32
; %bb.27:
	s_mov_b32 s0, 0
	s_mov_b32 s1, 0x41d00000
	v_cmp_nlt_f64_e64 s[0:1], |v[3:4]|, s[0:1]
                                        ; implicit-def: $vgpr7
                                        ; implicit-def: $vgpr0_vgpr1
                                        ; implicit-def: $vgpr5_vgpr6
	s_and_saveexec_b64 s[12:13], s[0:1]
	s_xor_b64 s[12:13], exec, s[12:13]
	s_cbranch_execz .LBB7_29
; %bb.28:
	v_trig_preop_f64 v[0:1], |v[3:4]|, 0
	s_mov_b32 s0, 0
	s_mov_b32 s1, 0x7b000000
	s_movk_i32 s14, 0xff80
	v_ldexp_f64 v[9:10], |v[3:4]|, s14
	v_cmp_ge_f64_e64 vcc, |v[3:4]|, s[0:1]
	v_trig_preop_f64 v[5:6], |v[3:4]|, 1
	v_and_b32_e32 v7, 0x7fffffff, v4
	v_trig_preop_f64 v[17:18], |v[3:4]|, 2
	s_mov_b32 s0, 0
	s_mov_b32 s1, 0x7ff00000
	v_mov_b32_e32 v27, 0
	s_mov_b32 s14, 0x33145c07
	v_cndmask_b32_e32 v10, v7, v10, vcc
	v_cndmask_b32_e32 v9, v3, v9, vcc
	v_mov_b32_e32 v7, 0x40100000
	v_mul_f64 v[11:12], v[0:1], v[9:10]
	s_mov_b32 s15, 0x3c91a626
	v_mul_f64 v[13:14], v[5:6], v[9:10]
	v_mul_f64 v[23:24], v[17:18], v[9:10]
	v_fma_f64 v[0:1], v[0:1], v[9:10], -v[11:12]
	v_fma_f64 v[5:6], v[5:6], v[9:10], -v[13:14]
	v_fma_f64 v[9:10], v[17:18], v[9:10], -v[23:24]
	v_add_f64 v[15:16], v[13:14], v[0:1]
	v_add_f64 v[19:20], v[15:16], -v[13:14]
	v_add_f64 v[25:26], v[11:12], v[15:16]
	v_add_f64 v[21:22], v[15:16], -v[19:20]
	v_add_f64 v[0:1], v[0:1], -v[19:20]
	v_add_f64 v[19:20], v[23:24], v[5:6]
	v_add_f64 v[11:12], v[25:26], -v[11:12]
	v_add_f64 v[13:14], v[13:14], -v[21:22]
	v_ldexp_f64 v[21:22], v[25:26], -2
	v_add_f64 v[29:30], v[19:20], -v[23:24]
	v_add_f64 v[11:12], v[15:16], -v[11:12]
	v_add_f64 v[0:1], v[0:1], v[13:14]
	v_fract_f64_e32 v[13:14], v[21:22]
	v_cmp_neq_f64_e64 vcc, |v[21:22]|, s[0:1]
	v_add_f64 v[5:6], v[5:6], -v[29:30]
	v_add_f64 v[15:16], v[19:20], v[0:1]
	v_ldexp_f64 v[13:14], v[13:14], 2
	v_add_f64 v[21:22], v[11:12], v[15:16]
	v_cndmask_b32_e32 v14, 0, v14, vcc
	v_cndmask_b32_e32 v13, 0, v13, vcc
	v_add_f64 v[31:32], v[15:16], -v[19:20]
	v_add_f64 v[25:26], v[21:22], v[13:14]
	v_add_f64 v[11:12], v[21:22], -v[11:12]
	v_add_f64 v[33:34], v[15:16], -v[31:32]
	;; [unrolled: 1-line block ×3, first 2 shown]
	v_cmp_gt_f64_e32 vcc, 0, v[25:26]
	v_add_f64 v[25:26], v[19:20], -v[29:30]
	v_add_f64 v[11:12], v[15:16], -v[11:12]
	;; [unrolled: 1-line block ×3, first 2 shown]
	v_cndmask_b32_e32 v28, 0, v7, vcc
	v_add_f64 v[13:14], v[13:14], v[27:28]
	v_add_f64 v[25:26], v[23:24], -v[25:26]
	v_add_f64 v[0:1], v[0:1], v[19:20]
	v_add_f64 v[35:36], v[21:22], v[13:14]
	;; [unrolled: 1-line block ×3, first 2 shown]
	v_cvt_i32_f64_e32 v7, v[35:36]
	v_add_f64 v[0:1], v[5:6], v[0:1]
	v_cvt_f64_i32_e32 v[28:29], v7
	v_add_f64 v[13:14], v[13:14], -v[28:29]
	v_add_f64 v[0:1], v[9:10], v[0:1]
	v_add_f64 v[5:6], v[21:22], v[13:14]
	;; [unrolled: 1-line block ×3, first 2 shown]
	v_mov_b32_e32 v11, 0x3ff00000
	v_add_f64 v[9:10], v[5:6], -v[13:14]
	v_cmp_le_f64_e32 vcc, 0.5, v[5:6]
	v_add_f64 v[9:10], v[21:22], -v[9:10]
	v_cndmask_b32_e32 v28, 0, v11, vcc
	v_add_f64 v[5:6], v[5:6], -v[27:28]
	v_addc_co_u32_e64 v7, s[0:1], 0, v7, vcc
	s_mov_b32 s0, 0x54442d18
	s_mov_b32 s1, 0x3ff921fb
	v_add_f64 v[0:1], v[0:1], v[9:10]
	v_add_f64 v[9:10], v[5:6], v[0:1]
	v_mul_f64 v[11:12], v[9:10], s[0:1]
	v_add_f64 v[5:6], v[9:10], -v[5:6]
	v_fma_f64 v[13:14], v[9:10], s[0:1], -v[11:12]
	v_add_f64 v[0:1], v[0:1], -v[5:6]
	v_fma_f64 v[5:6], v[9:10], s[14:15], v[13:14]
	v_fma_f64 v[5:6], v[0:1], s[0:1], v[5:6]
	v_add_f64 v[0:1], v[11:12], v[5:6]
	v_add_f64 v[9:10], v[0:1], -v[11:12]
	v_add_f64 v[5:6], v[5:6], -v[9:10]
.LBB7_29:
	s_andn2_saveexec_b64 s[0:1], s[12:13]
	s_cbranch_execz .LBB7_31
; %bb.30:
	s_mov_b32 s12, 0x6dc9c883
	s_mov_b32 s13, 0x3fe45f30
	v_mul_f64 v[0:1], |v[3:4]|, s[12:13]
	s_mov_b32 s12, 0x54442d18
	s_mov_b32 s13, 0xbff921fb
	;; [unrolled: 1-line block ×4, first 2 shown]
	v_rndne_f64_e32 v[9:10], v[0:1]
	v_fma_f64 v[0:1], v[9:10], s[12:13], |v[3:4]|
	v_mul_f64 v[5:6], v[9:10], s[14:15]
	s_mov_b32 s12, 0x252049c0
	s_mov_b32 s13, 0xb97b839a
	v_cvt_i32_f64_e32 v7, v[9:10]
	v_fma_f64 v[15:16], v[9:10], s[14:15], v[0:1]
	v_add_f64 v[11:12], v[0:1], v[5:6]
	s_mov_b32 s15, 0x3c91a626
	v_add_f64 v[13:14], v[0:1], -v[11:12]
	v_add_f64 v[11:12], v[11:12], -v[15:16]
	v_add_f64 v[0:1], v[13:14], v[5:6]
	v_fma_f64 v[5:6], v[9:10], s[14:15], v[5:6]
	v_add_f64 v[0:1], v[11:12], v[0:1]
	v_add_f64 v[0:1], v[0:1], -v[5:6]
	v_fma_f64 v[5:6], v[9:10], s[12:13], v[0:1]
	v_add_f64 v[0:1], v[15:16], v[5:6]
	v_add_f64 v[11:12], v[0:1], -v[15:16]
	v_add_f64 v[5:6], v[5:6], -v[11:12]
.LBB7_31:
	s_or_b64 exec, exec, s[0:1]
	v_mul_f64 v[9:10], v[0:1], v[0:1]
	s_mov_b32 s0, 0xf9a43bb8
	v_mov_b32_e32 v12, 0xb42fdfa7
	v_mov_b32_e32 v13, 0xbe5ae600
	s_mov_b32 s1, 0x3de5e0b2
	s_mov_b32 s12, 0x796cde01
	v_mov_b32_e32 v11, 0x9037ab78
	s_mov_b32 s13, 0x3ec71de3
	v_fma_f64 v[13:14], v[9:10], s[0:1], v[12:13]
	s_mov_b32 s0, 0x46cc5e42
	v_mov_b32_e32 v12, 0x3e21eeb6
	s_mov_b32 s1, 0xbda907db
	v_fma_f64 v[11:12], v[9:10], s[0:1], v[11:12]
	v_mul_f64 v[15:16], v[9:10], 0.5
	s_mov_b32 s0, 0xa17f65f6
	s_mov_b32 s14, 0x19e83e5c
	v_fma_f64 v[13:14], v[9:10], v[13:14], s[12:13]
	s_mov_b32 s1, 0xbe927e4f
	s_mov_b32 s15, 0xbf2a01a0
	;; [unrolled: 1-line block ×3, first 2 shown]
	v_fma_f64 v[11:12], v[9:10], v[11:12], s[0:1]
	v_add_f64 v[17:18], -v[15:16], 1.0
	s_mov_b32 s0, 0x11110bb3
	s_mov_b32 s13, 0x3efa01a0
	v_fma_f64 v[13:14], v[9:10], v[13:14], s[14:15]
	s_mov_b32 s1, 0x3f811111
	v_mul_f64 v[19:20], v[5:6], 0.5
	v_mul_f64 v[21:22], v[0:1], -v[9:10]
	v_fma_f64 v[11:12], v[9:10], v[11:12], s[12:13]
	v_add_f64 v[23:24], -v[17:18], 1.0
	v_fma_f64 v[13:14], v[9:10], v[13:14], s[0:1]
	s_mov_b32 s0, 0x16c16967
	s_mov_b32 s1, 0xbf56c16c
	v_fma_f64 v[11:12], v[9:10], v[11:12], s[0:1]
	v_add_f64 v[15:16], v[23:24], -v[15:16]
	s_mov_b32 s1, 0x3fa55555
	s_mov_b32 s0, 0x55555555
	v_fma_f64 v[13:14], v[21:22], v[13:14], v[19:20]
	v_mul_f64 v[19:20], v[9:10], v[9:10]
	v_fma_f64 v[11:12], v[9:10], v[11:12], s[0:1]
	v_fma_f64 v[15:16], v[0:1], -v[5:6], v[15:16]
	s_mov_b32 s1, 0xbfc55555
	v_fma_f64 v[5:6], v[9:10], v[13:14], -v[5:6]
	v_fma_f64 v[9:10], v[19:20], v[11:12], v[15:16]
	v_fma_f64 v[5:6], v[21:22], s[0:1], v[5:6]
	s_movk_i32 s0, 0x1f8
	v_cmp_class_f64_e64 s[0:1], v[3:4], s0
	v_add_f64 v[9:10], v[17:18], v[9:10]
	v_add_f64 v[0:1], v[0:1], -v[5:6]
	v_and_b32_e32 v5, 1, v7
	v_cmp_eq_u32_e32 vcc, 0, v5
	v_lshlrev_b32_e32 v5, 30, v7
	v_xor_b32_e32 v5, v5, v4
	v_and_b32_e32 v5, 0x80000000, v5
	v_mov_b32_e32 v6, 0x7ff80000
	v_cndmask_b32_e32 v1, v10, v1, vcc
	v_cndmask_b32_e32 v0, v9, v0, vcc
	v_xor_b32_e32 v1, v1, v5
	v_cndmask_b32_e64 v0, 0, v0, s[0:1]
	v_cndmask_b32_e64 v1, v6, v1, s[0:1]
	v_div_scale_f64 v[5:6], s[0:1], v[3:4], v[3:4], v[0:1]
	v_div_scale_f64 v[13:14], vcc, v[0:1], v[3:4], v[0:1]
	v_rcp_f64_e32 v[9:10], v[5:6]
	v_fma_f64 v[11:12], -v[5:6], v[9:10], 1.0
	v_fma_f64 v[9:10], v[9:10], v[11:12], v[9:10]
	v_fma_f64 v[11:12], -v[5:6], v[9:10], 1.0
	v_fma_f64 v[9:10], v[9:10], v[11:12], v[9:10]
	v_mul_f64 v[11:12], v[13:14], v[9:10]
	v_fma_f64 v[5:6], -v[5:6], v[11:12], v[13:14]
	v_div_fmas_f64 v[5:6], v[5:6], v[9:10], v[11:12]
	v_div_fixup_f64 v[0:1], v[5:6], v[3:4], v[0:1]
                                        ; implicit-def: $vgpr3_vgpr4
.LBB7_32:
	s_andn2_saveexec_b64 s[0:1], s[10:11]
	s_cbranch_execz .LBB7_34
; %bb.33:
	v_mul_f64 v[0:1], v[3:4], v[3:4]
	s_mov_b32 s10, 0x13a86d09
	v_mov_b32_e32 v3, 0x67f544e4
	v_mov_b32_e32 v4, 0xbe5ae645
	s_mov_b32 s11, 0x3de61246
	v_fma_f64 v[3:4], v[0:1], s[10:11], v[3:4]
	s_mov_b32 s10, 0xa556c734
	s_mov_b32 s11, 0x3ec71de3
	v_fma_f64 v[3:4], v[0:1], v[3:4], s[10:11]
	s_mov_b32 s10, 0x1a01a01a
	;; [unrolled: 3-line block ×4, first 2 shown]
	s_mov_b32 s11, 0xbfc55555
	v_fma_f64 v[3:4], v[0:1], v[3:4], s[10:11]
	v_fma_f64 v[0:1], v[0:1], v[3:4], 1.0
.LBB7_34:
	s_or_b64 exec, exec, s[0:1]
.LBB7_35:
	s_or_b64 exec, exec, s[8:9]
	v_mov_b32_e32 v3, s25
	s_and_b32 s14, s73, 0xff
	v_add_co_u32_e32 v4, vcc, s24, v2
	s_cmp_lt_i32 s14, 11
	v_addc_co_u32_e32 v5, vcc, 0, v3, vcc
	s_cbranch_scc1 .LBB7_43
; %bb.36:
	s_and_b32 s15, 0xffff, s14
	s_cmp_gt_i32 s15, 25
	s_cbranch_scc0 .LBB7_46
; %bb.37:
	s_cmp_gt_i32 s15, 28
	s_cbranch_scc0 .LBB7_48
; %bb.38:
	s_cmp_gt_i32 s15, 43
	s_cbranch_scc0 .LBB7_50
; %bb.39:
	s_cmp_gt_i32 s15, 45
	s_cbranch_scc0 .LBB7_56
; %bb.40:
	s_mov_b64 s[10:11], 0
	s_mov_b64 s[0:1], -1
	s_cmp_eq_u32 s15, 46
	s_mov_b64 s[8:9], 0
	s_cbranch_scc0 .LBB7_57
; %bb.41:
	v_cvt_f32_f64_e32 v2, v[0:1]
	s_movk_i32 s0, 0x7fff
	v_mov_b32_e32 v3, 0x7fc0
	s_mov_b64 s[8:9], -1
	v_bfe_u32 v6, v2, 16, 1
	v_cmp_o_f32_e32 vcc, v2, v2
	v_add3_u32 v2, v2, v6, s0
	v_cndmask_b32_sdwa v2, v3, v2, vcc dst_sel:DWORD dst_unused:UNUSED_PAD src0_sel:DWORD src1_sel:WORD_1
	global_store_dword v[4:5], v2, off
	s_mov_b64 s[0:1], 0
	s_branch .LBB7_57
.LBB7_42:
	s_mov_b64 s[2:3], 0
	s_mov_b64 s[0:1], 0
                                        ; implicit-def: $vgpr3_vgpr4
	s_cbranch_execnz .LBB7_193
	s_branch .LBB7_225
.LBB7_43:
	s_mov_b64 s[0:1], 0
	s_mov_b64 s[8:9], 0
	s_cbranch_execnz .LBB7_126
.LBB7_44:
	s_andn2_b64 vcc, exec, s[8:9]
	s_cbranch_vccnz .LBB7_274
	s_branch .LBB7_164
.LBB7_45:
	s_mov_b64 s[8:9], -1
	s_mov_b64 s[2:3], 0
	s_mov_b64 s[0:1], 0
                                        ; implicit-def: $vgpr3_vgpr4
	s_branch .LBB7_172
.LBB7_46:
	s_mov_b64 s[10:11], -1
	s_mov_b64 s[0:1], 0
	s_mov_b64 s[8:9], 0
	s_branch .LBB7_84
.LBB7_47:
	s_mov_b64 s[8:9], -1
	s_mov_b64 s[2:3], 0
	s_mov_b64 s[0:1], 0
                                        ; implicit-def: $vgpr3_vgpr4
	s_branch .LBB7_167
.LBB7_48:
	s_mov_b64 s[10:11], -1
	s_mov_b64 s[0:1], 0
	s_mov_b64 s[8:9], 0
	s_branch .LBB7_67
.LBB7_49:
	s_mov_b64 s[8:9], -1
	s_mov_b64 s[2:3], 0
	s_branch .LBB7_52
.LBB7_50:
	s_mov_b64 s[10:11], -1
	s_mov_b64 s[0:1], 0
	s_mov_b64 s[8:9], 0
	s_branch .LBB7_63
.LBB7_51:
	s_mov_b64 s[2:3], -1
.LBB7_52:
	s_mov_b64 s[0:1], 0
                                        ; implicit-def: $vgpr3_vgpr4
.LBB7_53:
	s_and_b64 vcc, exec, s[8:9]
	s_cbranch_vccz .LBB7_166
; %bb.54:
	s_cmp_eq_u32 s12, 44
	s_cbranch_scc0 .LBB7_165
; %bb.55:
	global_load_ubyte v5, v[0:1], off
	s_movk_i32 s2, 0xff
	v_bfrev_b32_e32 v6, 4
	v_mov_b32_e32 v7, 0x7ff80000
	v_bfrev_b32_e32 v9, 28
	s_mov_b64 s[0:1], -1
	s_waitcnt vmcnt(0)
	v_lshlrev_b32_e32 v3, 23, v5
	v_cvt_f64_f32_e32 v[3:4], v3
	v_cmp_ne_u32_e32 vcc, s2, v5
	s_mov_b64 s[2:3], 0
	v_cndmask_b32_e32 v3, v6, v3, vcc
	v_cndmask_b32_e32 v4, v7, v4, vcc
	v_cmp_ne_u32_e32 vcc, 0, v5
	v_cndmask_b32_e32 v4, v9, v4, vcc
	v_cndmask_b32_e32 v3, 0, v3, vcc
	s_branch .LBB7_166
.LBB7_56:
	s_mov_b64 s[10:11], -1
	s_mov_b64 s[0:1], 0
	s_mov_b64 s[8:9], 0
.LBB7_57:
	s_and_b64 vcc, exec, s[10:11]
	s_cbranch_vccz .LBB7_62
; %bb.58:
	s_cmp_eq_u32 s15, 44
	s_mov_b64 s[0:1], -1
	s_cbranch_scc0 .LBB7_62
; %bb.59:
	v_cvt_f32_f64_e32 v2, v[0:1]
	s_movk_i32 s0, 0xff
	v_mov_b32_e32 v6, 0xff
	v_bfe_u32 v3, v2, 23, 8
	v_cmp_ne_u32_e32 vcc, s0, v3
	s_and_saveexec_b64 s[8:9], vcc
; %bb.60:
	s_mov_b32 s0, 0x3fffff
	v_lshrrev_b32_e32 v6, 23, v2
	v_and_b32_e32 v7, 0x400000, v2
	v_and_or_b32 v2, v2, s0, v3
	v_cmp_ne_u32_e32 vcc, 0, v7
	v_cmp_ne_u32_e64 s[0:1], 0, v2
	s_and_b64 s[0:1], vcc, s[0:1]
	v_cndmask_b32_e64 v2, 0, 1, s[0:1]
	v_add_u32_e32 v6, v6, v2
; %bb.61:
	s_or_b64 exec, exec, s[8:9]
	s_mov_b64 s[8:9], -1
	s_mov_b64 s[0:1], 0
	global_store_byte v[4:5], v6, off
.LBB7_62:
	s_mov_b64 s[10:11], 0
.LBB7_63:
	s_and_b64 vcc, exec, s[10:11]
	s_cbranch_vccz .LBB7_66
; %bb.64:
	s_cmp_eq_u32 s15, 29
	s_mov_b64 s[0:1], -1
	s_cbranch_scc0 .LBB7_66
; %bb.65:
	v_trunc_f64_e32 v[2:3], v[0:1]
	s_movk_i32 s0, 0xffe0
	s_mov_b64 s[8:9], -1
	s_mov_b64 s[10:11], 0
	v_ldexp_f64 v[6:7], v[2:3], s0
	s_mov_b32 s0, 0
	s_mov_b32 s1, 0xc1f00000
	v_floor_f64_e32 v[6:7], v[6:7]
	v_fma_f64 v[2:3], v[6:7], s[0:1], v[2:3]
	v_cvt_u32_f64_e32 v7, v[6:7]
	s_mov_b64 s[0:1], 0
	v_cvt_u32_f64_e32 v6, v[2:3]
	global_store_dwordx2 v[4:5], v[6:7], off
	s_branch .LBB7_67
.LBB7_66:
	s_mov_b64 s[10:11], 0
.LBB7_67:
	s_and_b64 vcc, exec, s[10:11]
	s_cbranch_vccz .LBB7_83
; %bb.68:
	s_cmp_lt_i32 s15, 27
	s_mov_b64 s[8:9], -1
	s_cbranch_scc1 .LBB7_74
; %bb.69:
	v_cvt_u32_f64_e32 v2, v[0:1]
	s_cmp_gt_i32 s15, 27
	s_cbranch_scc0 .LBB7_71
; %bb.70:
	s_mov_b64 s[8:9], 0
	global_store_dword v[4:5], v2, off
.LBB7_71:
	s_andn2_b64 vcc, exec, s[8:9]
	s_cbranch_vccnz .LBB7_73
; %bb.72:
	global_store_short v[4:5], v2, off
.LBB7_73:
	s_mov_b64 s[8:9], 0
.LBB7_74:
	s_andn2_b64 vcc, exec, s[8:9]
	s_cbranch_vccnz .LBB7_82
; %bb.75:
	v_cvt_f32_f64_e32 v2, v[0:1]
	s_mov_b32 s8, 0x43800000
	v_mov_b32_e32 v6, 0x80
	v_and_b32_e32 v3, 0x7fffffff, v2
	v_cmp_gt_u32_e32 vcc, s8, v3
	s_and_saveexec_b64 s[8:9], vcc
	s_cbranch_execz .LBB7_81
; %bb.76:
	s_mov_b32 s10, 0x3bffffff
	v_cmp_lt_u32_e32 vcc, s10, v3
	s_mov_b64 s[10:11], 0
                                        ; implicit-def: $vgpr3
	s_and_saveexec_b64 s[12:13], vcc
	s_xor_b64 s[12:13], exec, s[12:13]
	s_cbranch_execz .LBB7_327
; %bb.77:
	v_bfe_u32 v3, v2, 20, 1
	s_mov_b32 s16, 0x487ffff
	v_add3_u32 v3, v2, v3, s16
	s_mov_b64 s[10:11], exec
	v_lshrrev_b32_e32 v3, 20, v3
	s_andn2_saveexec_b64 s[12:13], s[12:13]
	s_cbranch_execnz .LBB7_328
.LBB7_78:
	s_or_b64 exec, exec, s[12:13]
	v_mov_b32_e32 v6, 0
	s_and_saveexec_b64 s[12:13], s[10:11]
.LBB7_79:
	v_lshrrev_b32_e32 v2, 24, v2
	s_movk_i32 s10, 0x80
	v_and_or_b32 v6, v2, s10, v3
.LBB7_80:
	s_or_b64 exec, exec, s[12:13]
.LBB7_81:
	s_or_b64 exec, exec, s[8:9]
	global_store_byte v[4:5], v6, off
.LBB7_82:
	s_mov_b64 s[8:9], -1
.LBB7_83:
	s_mov_b64 s[10:11], 0
.LBB7_84:
	s_and_b64 vcc, exec, s[10:11]
	s_cbranch_vccz .LBB7_125
; %bb.85:
	s_cmp_gt_i32 s15, 22
	s_mov_b64 s[10:11], -1
	s_cbranch_scc0 .LBB7_117
; %bb.86:
	s_cmp_lt_i32 s15, 24
	s_mov_b64 s[8:9], -1
	s_cbranch_scc1 .LBB7_106
; %bb.87:
	s_cmp_gt_i32 s15, 24
	s_cbranch_scc0 .LBB7_95
; %bb.88:
	v_cvt_f32_f64_e32 v2, v[0:1]
	s_mov_b32 s8, 0x47800000
	v_mov_b32_e32 v6, 0x80
	v_and_b32_e32 v3, 0x7fffffff, v2
	v_cmp_gt_u32_e32 vcc, s8, v3
	s_and_saveexec_b64 s[8:9], vcc
	s_cbranch_execz .LBB7_94
; %bb.89:
	s_mov_b32 s10, 0x37ffffff
	v_cmp_lt_u32_e32 vcc, s10, v3
	s_mov_b64 s[10:11], 0
                                        ; implicit-def: $vgpr3
	s_and_saveexec_b64 s[12:13], vcc
	s_xor_b64 s[12:13], exec, s[12:13]
	s_cbranch_execz .LBB7_331
; %bb.90:
	v_bfe_u32 v3, v2, 21, 1
	s_mov_b32 s16, 0x88fffff
	v_add3_u32 v3, v2, v3, s16
	s_mov_b64 s[10:11], exec
	v_lshrrev_b32_e32 v3, 21, v3
	s_andn2_saveexec_b64 s[12:13], s[12:13]
	s_cbranch_execnz .LBB7_332
.LBB7_91:
	s_or_b64 exec, exec, s[12:13]
	v_mov_b32_e32 v6, 0
	s_and_saveexec_b64 s[12:13], s[10:11]
.LBB7_92:
	v_lshrrev_b32_e32 v2, 24, v2
	s_movk_i32 s10, 0x80
	v_and_or_b32 v6, v2, s10, v3
.LBB7_93:
	s_or_b64 exec, exec, s[12:13]
.LBB7_94:
	s_or_b64 exec, exec, s[8:9]
	s_mov_b64 s[8:9], 0
	global_store_byte v[4:5], v6, off
.LBB7_95:
	s_and_b64 vcc, exec, s[8:9]
	s_cbranch_vccz .LBB7_105
; %bb.96:
	v_cvt_f32_f64_e32 v2, v[0:1]
	s_mov_b32 s8, 0x43f00000
                                        ; implicit-def: $vgpr3
	v_and_b32_e32 v6, 0x7fffffff, v2
	v_cmp_gt_u32_e32 vcc, s8, v6
	s_and_saveexec_b64 s[8:9], vcc
	s_xor_b64 s[8:9], exec, s[8:9]
	s_cbranch_execz .LBB7_102
; %bb.97:
	s_mov_b32 s10, 0x3c7fffff
	v_cmp_lt_u32_e32 vcc, s10, v6
                                        ; implicit-def: $vgpr3
	s_and_saveexec_b64 s[10:11], vcc
	s_xor_b64 s[10:11], exec, s[10:11]
; %bb.98:
	v_bfe_u32 v3, v2, 20, 1
	s_mov_b32 s12, 0x407ffff
	v_add3_u32 v3, v2, v3, s12
	v_lshrrev_b32_e32 v6, 20, v3
	v_and_b32_e32 v3, 0xff00000, v3
	s_mov_b32 s12, 0x7f00000
	v_mov_b32_e32 v7, 0x7e
	v_cmp_ne_u32_e32 vcc, s12, v3
	v_cndmask_b32_e32 v3, v7, v6, vcc
; %bb.99:
	s_andn2_saveexec_b64 s[10:11], s[10:11]
; %bb.100:
	s_mov_b32 s12, 0x46800000
	v_add_f32_e64 v3, |v2|, s12
; %bb.101:
	s_or_b64 exec, exec, s[10:11]
                                        ; implicit-def: $vgpr6
.LBB7_102:
	s_andn2_saveexec_b64 s[8:9], s[8:9]
; %bb.103:
	s_mov_b32 s10, 0x7f800000
	v_mov_b32_e32 v3, 0x7e
	v_mov_b32_e32 v7, 0x7f
	v_cmp_lt_u32_e32 vcc, s10, v6
	v_cndmask_b32_e32 v3, v3, v7, vcc
; %bb.104:
	s_or_b64 exec, exec, s[8:9]
	v_lshrrev_b32_e32 v2, 24, v2
	s_movk_i32 s8, 0x80
	v_and_or_b32 v2, v2, s8, v3
	global_store_byte v[4:5], v2, off
.LBB7_105:
	s_mov_b64 s[8:9], 0
.LBB7_106:
	s_andn2_b64 vcc, exec, s[8:9]
	s_cbranch_vccnz .LBB7_116
; %bb.107:
	v_cvt_f32_f64_e32 v2, v[0:1]
	s_mov_b32 s8, 0x47800000
                                        ; implicit-def: $vgpr3
	v_and_b32_e32 v6, 0x7fffffff, v2
	v_cmp_gt_u32_e32 vcc, s8, v6
	s_and_saveexec_b64 s[8:9], vcc
	s_xor_b64 s[8:9], exec, s[8:9]
	s_cbranch_execz .LBB7_113
; %bb.108:
	s_mov_b32 s10, 0x387fffff
	v_cmp_lt_u32_e32 vcc, s10, v6
                                        ; implicit-def: $vgpr3
	s_and_saveexec_b64 s[10:11], vcc
	s_xor_b64 s[10:11], exec, s[10:11]
; %bb.109:
	v_bfe_u32 v3, v2, 21, 1
	s_mov_b32 s12, 0x80fffff
	v_add3_u32 v3, v2, v3, s12
	v_lshrrev_b32_e32 v3, 21, v3
; %bb.110:
	s_andn2_saveexec_b64 s[10:11], s[10:11]
; %bb.111:
	s_mov_b32 s12, 0x43000000
	v_add_f32_e64 v3, |v2|, s12
; %bb.112:
	s_or_b64 exec, exec, s[10:11]
                                        ; implicit-def: $vgpr6
.LBB7_113:
	s_andn2_saveexec_b64 s[8:9], s[8:9]
; %bb.114:
	s_mov_b32 s10, 0x7f800000
	v_mov_b32_e32 v3, 0x7c
	v_mov_b32_e32 v7, 0x7f
	v_cmp_lt_u32_e32 vcc, s10, v6
	v_cndmask_b32_e32 v3, v3, v7, vcc
; %bb.115:
	s_or_b64 exec, exec, s[8:9]
	v_lshrrev_b32_e32 v2, 24, v2
	s_movk_i32 s8, 0x80
	v_and_or_b32 v2, v2, s8, v3
	global_store_byte v[4:5], v2, off
.LBB7_116:
	s_mov_b64 s[10:11], 0
	s_mov_b64 s[8:9], -1
.LBB7_117:
	s_andn2_b64 vcc, exec, s[10:11]
	s_cbranch_vccnz .LBB7_125
; %bb.118:
	s_cmp_gt_i32 s15, 14
	s_mov_b64 s[10:11], -1
	s_cbranch_scc0 .LBB7_122
; %bb.119:
	s_cmp_eq_u32 s15, 15
	s_mov_b64 s[0:1], -1
	s_cbranch_scc0 .LBB7_121
; %bb.120:
	v_cvt_f32_f64_e32 v2, v[0:1]
	s_movk_i32 s0, 0x7fff
	v_mov_b32_e32 v3, 0x7fc0
	s_mov_b64 s[8:9], -1
	v_bfe_u32 v6, v2, 16, 1
	v_cmp_o_f32_e32 vcc, v2, v2
	v_add3_u32 v2, v2, v6, s0
	v_cndmask_b32_sdwa v2, v3, v2, vcc dst_sel:DWORD dst_unused:UNUSED_PAD src0_sel:DWORD src1_sel:WORD_1
	global_store_short v[4:5], v2, off
	s_mov_b64 s[0:1], 0
.LBB7_121:
	s_mov_b64 s[10:11], 0
.LBB7_122:
	s_and_b64 vcc, exec, s[10:11]
	s_cbranch_vccz .LBB7_125
; %bb.123:
	s_cmp_eq_u32 s15, 11
	s_mov_b64 s[0:1], -1
	s_cbranch_scc0 .LBB7_125
; %bb.124:
	v_cmp_neq_f64_e32 vcc, 0, v[0:1]
	s_mov_b64 s[0:1], 0
	s_mov_b64 s[8:9], -1
	v_cndmask_b32_e64 v2, 0, 1, vcc
	global_store_byte v[4:5], v2, off
.LBB7_125:
	s_branch .LBB7_44
.LBB7_126:
	s_and_b32 s10, 0xffff, s14
	s_cmp_lt_i32 s10, 5
	s_mov_b64 s[8:9], -1
	s_cbranch_scc1 .LBB7_147
; %bb.127:
	s_cmp_lt_i32 s10, 8
	s_cbranch_scc1 .LBB7_137
; %bb.128:
	s_cmp_lt_i32 s10, 9
	s_cbranch_scc1 .LBB7_134
; %bb.129:
	s_cmp_gt_i32 s10, 9
	s_cbranch_scc0 .LBB7_131
; %bb.130:
	v_mov_b32_e32 v2, 0
	v_mov_b32_e32 v3, v2
	global_store_dwordx4 v[4:5], v[0:3], off
	s_mov_b64 s[8:9], 0
.LBB7_131:
	s_andn2_b64 vcc, exec, s[8:9]
	s_cbranch_vccnz .LBB7_133
; %bb.132:
	v_cvt_f32_f64_e32 v2, v[0:1]
	v_mov_b32_e32 v3, 0
	global_store_dwordx2 v[4:5], v[2:3], off
.LBB7_133:
	s_mov_b64 s[8:9], 0
.LBB7_134:
	s_andn2_b64 vcc, exec, s[8:9]
	s_cbranch_vccnz .LBB7_136
; %bb.135:
	s_movk_i32 s8, 0x1ff
	v_and_or_b32 v2, v1, s8, v0
	v_cmp_ne_u32_e32 vcc, 0, v2
	v_cndmask_b32_e64 v2, 0, 1, vcc
	v_lshrrev_b32_e32 v3, 8, v1
	s_movk_i32 s8, 0xffe
	v_bfe_u32 v6, v1, 20, 11
	v_and_or_b32 v2, v3, s8, v2
	v_sub_u32_e32 v7, 0x3f1, v6
	v_or_b32_e32 v3, 0x1000, v2
	v_med3_i32 v7, v7, 0, 13
	v_lshrrev_b32_e32 v9, v7, v3
	v_lshlrev_b32_e32 v7, v7, v9
	v_cmp_ne_u32_e32 vcc, v7, v3
	v_cndmask_b32_e64 v3, 0, 1, vcc
	v_add_u32_e32 v6, 0xfffffc10, v6
	v_or_b32_e32 v3, v9, v3
	v_lshl_or_b32 v7, v6, 12, v2
	v_cmp_gt_i32_e32 vcc, 1, v6
	v_cndmask_b32_e32 v3, v7, v3, vcc
	v_and_b32_e32 v7, 7, v3
	v_cmp_lt_i32_e32 vcc, 5, v7
	v_cndmask_b32_e64 v9, 0, 1, vcc
	v_cmp_eq_u32_e32 vcc, 3, v7
	v_cndmask_b32_e64 v7, 0, 1, vcc
	v_or_b32_e32 v7, v7, v9
	v_lshrrev_b32_e32 v3, 2, v3
	v_add_u32_e32 v3, v3, v7
	v_mov_b32_e32 v7, 0x7c00
	v_cmp_gt_i32_e32 vcc, 31, v6
	v_cndmask_b32_e32 v3, v7, v3, vcc
	v_mov_b32_e32 v9, 0x7e00
	v_cmp_ne_u32_e32 vcc, 0, v2
	s_movk_i32 s8, 0x40f
	v_cndmask_b32_e32 v2, v7, v9, vcc
	v_cmp_eq_u32_e32 vcc, s8, v6
	v_cndmask_b32_e32 v2, v3, v2, vcc
	v_lshrrev_b32_e32 v3, 16, v1
	s_mov_b32 s8, 0x8000
	v_and_or_b32 v2, v3, s8, v2
	v_and_b32_e32 v2, 0xffff, v2
	global_store_dword v[4:5], v2, off
.LBB7_136:
	s_mov_b64 s[8:9], 0
.LBB7_137:
	s_andn2_b64 vcc, exec, s[8:9]
	s_cbranch_vccnz .LBB7_146
; %bb.138:
	s_cmp_lt_i32 s10, 6
	s_mov_b64 s[8:9], -1
	s_cbranch_scc1 .LBB7_144
; %bb.139:
	s_cmp_gt_i32 s10, 6
	s_cbranch_scc0 .LBB7_141
; %bb.140:
	global_store_dwordx2 v[4:5], v[0:1], off
	s_mov_b64 s[8:9], 0
.LBB7_141:
	s_andn2_b64 vcc, exec, s[8:9]
	s_cbranch_vccnz .LBB7_143
; %bb.142:
	v_cvt_f32_f64_e32 v2, v[0:1]
	global_store_dword v[4:5], v2, off
.LBB7_143:
	s_mov_b64 s[8:9], 0
.LBB7_144:
	s_andn2_b64 vcc, exec, s[8:9]
	s_cbranch_vccnz .LBB7_146
; %bb.145:
	s_movk_i32 s8, 0x1ff
	v_and_or_b32 v2, v1, s8, v0
	v_cmp_ne_u32_e32 vcc, 0, v2
	v_cndmask_b32_e64 v2, 0, 1, vcc
	v_lshrrev_b32_e32 v3, 8, v1
	s_movk_i32 s8, 0xffe
	v_bfe_u32 v6, v1, 20, 11
	v_and_or_b32 v2, v3, s8, v2
	v_sub_u32_e32 v7, 0x3f1, v6
	v_or_b32_e32 v3, 0x1000, v2
	v_med3_i32 v7, v7, 0, 13
	v_lshrrev_b32_e32 v9, v7, v3
	v_lshlrev_b32_e32 v7, v7, v9
	v_cmp_ne_u32_e32 vcc, v7, v3
	v_cndmask_b32_e64 v3, 0, 1, vcc
	v_add_u32_e32 v6, 0xfffffc10, v6
	v_or_b32_e32 v3, v9, v3
	v_lshl_or_b32 v7, v6, 12, v2
	v_cmp_gt_i32_e32 vcc, 1, v6
	v_cndmask_b32_e32 v3, v7, v3, vcc
	v_and_b32_e32 v7, 7, v3
	v_cmp_lt_i32_e32 vcc, 5, v7
	v_cndmask_b32_e64 v9, 0, 1, vcc
	v_cmp_eq_u32_e32 vcc, 3, v7
	v_cndmask_b32_e64 v7, 0, 1, vcc
	v_or_b32_e32 v7, v7, v9
	v_lshrrev_b32_e32 v3, 2, v3
	v_add_u32_e32 v3, v3, v7
	v_mov_b32_e32 v7, 0x7c00
	v_cmp_gt_i32_e32 vcc, 31, v6
	v_cndmask_b32_e32 v3, v7, v3, vcc
	v_mov_b32_e32 v9, 0x7e00
	v_cmp_ne_u32_e32 vcc, 0, v2
	s_movk_i32 s8, 0x40f
	v_cndmask_b32_e32 v2, v7, v9, vcc
	v_cmp_eq_u32_e32 vcc, s8, v6
	v_cndmask_b32_e32 v2, v3, v2, vcc
	v_lshrrev_b32_e32 v3, 16, v1
	s_mov_b32 s8, 0x8000
	v_and_or_b32 v2, v3, s8, v2
	global_store_short v[4:5], v2, off
.LBB7_146:
	s_mov_b64 s[8:9], 0
.LBB7_147:
	s_andn2_b64 vcc, exec, s[8:9]
	s_cbranch_vccnz .LBB7_163
; %bb.148:
	s_cmp_lt_i32 s10, 2
	s_mov_b64 s[8:9], -1
	s_cbranch_scc1 .LBB7_158
; %bb.149:
	s_cmp_lt_i32 s10, 3
	s_cbranch_scc1 .LBB7_155
; %bb.150:
	s_cmp_gt_i32 s10, 3
	s_cbranch_scc0 .LBB7_152
; %bb.151:
	v_trunc_f64_e32 v[2:3], v[0:1]
	s_movk_i32 s8, 0xffe0
	v_ldexp_f64 v[6:7], v[2:3], s8
	s_mov_b32 s8, 0
	s_mov_b32 s9, 0xc1f00000
	v_floor_f64_e32 v[6:7], v[6:7]
	v_fma_f64 v[2:3], v[6:7], s[8:9], v[2:3]
	v_cvt_i32_f64_e32 v7, v[6:7]
	s_mov_b64 s[8:9], 0
	v_cvt_u32_f64_e32 v6, v[2:3]
	global_store_dwordx2 v[4:5], v[6:7], off
.LBB7_152:
	s_andn2_b64 vcc, exec, s[8:9]
	s_cbranch_vccnz .LBB7_154
; %bb.153:
	v_cvt_i32_f64_e32 v2, v[0:1]
	global_store_dword v[4:5], v2, off
.LBB7_154:
	s_mov_b64 s[8:9], 0
.LBB7_155:
	s_andn2_b64 vcc, exec, s[8:9]
	s_cbranch_vccnz .LBB7_157
; %bb.156:
	v_cvt_i32_f64_e32 v2, v[0:1]
	global_store_short v[4:5], v2, off
.LBB7_157:
	s_mov_b64 s[8:9], 0
.LBB7_158:
	s_andn2_b64 vcc, exec, s[8:9]
	s_cbranch_vccnz .LBB7_163
; %bb.159:
	s_cmp_gt_i32 s10, 0
	s_mov_b64 s[8:9], -1
	s_cbranch_scc0 .LBB7_161
; %bb.160:
	v_cvt_i32_f64_e32 v2, v[0:1]
	s_mov_b64 s[8:9], 0
	global_store_byte v[4:5], v2, off
.LBB7_161:
	s_andn2_b64 vcc, exec, s[8:9]
	s_cbranch_vccnz .LBB7_163
; %bb.162:
	v_trunc_f64_e32 v[0:1], v[0:1]
	s_movk_i32 s8, 0xffe0
	v_ldexp_f64 v[2:3], v[0:1], s8
	s_mov_b32 s8, 0
	s_mov_b32 s9, 0xc1f00000
	v_floor_f64_e32 v[2:3], v[2:3]
	v_fma_f64 v[0:1], v[2:3], s[8:9], v[0:1]
	v_cvt_u32_f64_e32 v0, v[0:1]
	global_store_byte v[4:5], v0, off
.LBB7_163:
.LBB7_164:
	v_add_u32_e32 v8, 0x80, v8
	s_mov_b64 s[8:9], -1
	s_branch .LBB7_275
.LBB7_165:
	s_mov_b64 s[2:3], -1
                                        ; implicit-def: $vgpr3_vgpr4
.LBB7_166:
	s_mov_b64 s[8:9], 0
.LBB7_167:
	s_and_b64 vcc, exec, s[8:9]
	s_cbranch_vccz .LBB7_171
; %bb.168:
	s_cmp_eq_u32 s12, 29
	s_cbranch_scc0 .LBB7_170
; %bb.169:
	global_load_dwordx2 v[3:4], v[0:1], off
	s_mov_b64 s[0:1], -1
	s_mov_b64 s[2:3], 0
	s_mov_b64 s[8:9], 0
	s_waitcnt vmcnt(0)
	v_cvt_f64_u32_e32 v[4:5], v4
	v_cvt_f64_u32_e32 v[6:7], v3
	v_ldexp_f64 v[4:5], v[4:5], 32
	v_add_f64 v[3:4], v[4:5], v[6:7]
	s_branch .LBB7_172
.LBB7_170:
	s_mov_b64 s[2:3], -1
                                        ; implicit-def: $vgpr3_vgpr4
.LBB7_171:
	s_mov_b64 s[8:9], 0
.LBB7_172:
	s_and_b64 vcc, exec, s[8:9]
	s_cbranch_vccz .LBB7_192
; %bb.173:
	s_cmp_lt_i32 s12, 27
	s_cbranch_scc1 .LBB7_176
; %bb.174:
	s_cmp_gt_i32 s12, 27
	s_cbranch_scc0 .LBB7_177
; %bb.175:
	global_load_dword v3, v[0:1], off
	s_mov_b64 s[0:1], 0
	s_waitcnt vmcnt(0)
	v_cvt_f64_u32_e32 v[3:4], v3
	s_branch .LBB7_178
.LBB7_176:
	s_mov_b64 s[0:1], -1
                                        ; implicit-def: $vgpr3_vgpr4
	s_branch .LBB7_181
.LBB7_177:
	s_mov_b64 s[0:1], -1
                                        ; implicit-def: $vgpr3_vgpr4
.LBB7_178:
	s_andn2_b64 vcc, exec, s[0:1]
	s_cbranch_vccnz .LBB7_180
; %bb.179:
	global_load_ushort v3, v[0:1], off
	s_waitcnt vmcnt(0)
	v_cvt_f64_u32_e32 v[3:4], v3
.LBB7_180:
	s_mov_b64 s[0:1], 0
.LBB7_181:
	s_andn2_b64 vcc, exec, s[0:1]
	s_cbranch_vccnz .LBB7_191
; %bb.182:
	global_load_ubyte v5, v[0:1], off
	s_movk_i32 s0, 0x7f
	s_waitcnt vmcnt(0)
	v_cmp_lt_i16_e32 vcc, s0, v5
	s_mov_b64 s[0:1], 0
	s_and_saveexec_b64 s[8:9], vcc
	s_xor_b64 s[8:9], exec, s[8:9]
	s_cbranch_execz .LBB7_186
; %bb.183:
	s_movk_i32 s0, 0x80
	v_cmp_eq_u16_e32 vcc, s0, v5
	s_mov_b64 s[0:1], -1
	s_and_saveexec_b64 s[10:11], vcc
; %bb.184:
	s_xor_b64 s[0:1], exec, -1
; %bb.185:
	s_or_b64 exec, exec, s[10:11]
	s_and_b64 s[0:1], s[0:1], exec
.LBB7_186:
	s_or_saveexec_b64 s[8:9], s[8:9]
	v_bfrev_b32_e32 v3, 4
	v_mov_b32_e32 v4, 0x7ff80000
	s_xor_b64 exec, exec, s[8:9]
; %bb.187:
	v_cmp_ne_u16_e32 vcc, 0, v5
	v_mov_b32_e32 v3, 0
	s_andn2_b64 s[0:1], s[0:1], exec
	s_and_b64 s[10:11], vcc, exec
	v_mov_b32_e32 v4, 0
	s_or_b64 s[0:1], s[0:1], s[10:11]
; %bb.188:
	s_or_b64 exec, exec, s[8:9]
	s_and_saveexec_b64 s[8:9], s[0:1]
	s_cbranch_execz .LBB7_190
; %bb.189:
	v_and_b32_e32 v4, 0xffff, v5
	v_lshlrev_b32_e32 v3, 24, v5
	v_and_b32_e32 v5, 7, v4
	v_ffbh_u32_e32 v7, v5
	v_min_u32_e32 v7, 32, v7
	v_subrev_u32_e32 v9, 28, v7
	v_bfe_u32 v6, v4, 3, 4
	v_lshlrev_b32_e32 v4, v9, v4
	v_sub_u32_e32 v7, 29, v7
	v_and_b32_e32 v4, 7, v4
	v_cmp_eq_u32_e32 vcc, 0, v6
	v_cndmask_b32_e32 v6, v6, v7, vcc
	v_cndmask_b32_e32 v4, v5, v4, vcc
	v_mov_b32_e32 v5, 0x3b800000
	v_lshlrev_b32_e32 v4, 20, v4
	v_and_b32_e32 v3, 0x80000000, v3
	v_lshl_add_u32 v5, v6, 23, v5
	v_or3_b32 v3, v3, v5, v4
	v_cvt_f64_f32_e32 v[3:4], v3
.LBB7_190:
	s_or_b64 exec, exec, s[8:9]
.LBB7_191:
	s_mov_b64 s[0:1], -1
.LBB7_192:
	s_branch .LBB7_225
.LBB7_193:
	s_cmp_gt_i32 s12, 22
	s_cbranch_scc0 .LBB7_205
; %bb.194:
	s_cmp_lt_i32 s12, 24
	s_cbranch_scc1 .LBB7_206
; %bb.195:
	s_cmp_gt_i32 s12, 24
	s_cbranch_scc0 .LBB7_207
; %bb.196:
	global_load_ubyte v5, v[0:1], off
	s_movk_i32 s0, 0x7f
	s_waitcnt vmcnt(0)
	v_cmp_lt_i16_e32 vcc, s0, v5
	s_mov_b64 s[0:1], 0
	s_and_saveexec_b64 s[8:9], vcc
	s_xor_b64 s[8:9], exec, s[8:9]
	s_cbranch_execz .LBB7_200
; %bb.197:
	s_movk_i32 s0, 0x80
	v_cmp_eq_u16_e32 vcc, s0, v5
	s_mov_b64 s[0:1], -1
	s_and_saveexec_b64 s[10:11], vcc
; %bb.198:
	s_xor_b64 s[0:1], exec, -1
; %bb.199:
	s_or_b64 exec, exec, s[10:11]
	s_and_b64 s[0:1], s[0:1], exec
.LBB7_200:
	s_or_saveexec_b64 s[8:9], s[8:9]
	v_bfrev_b32_e32 v3, 4
	v_mov_b32_e32 v4, 0x7ff80000
	s_xor_b64 exec, exec, s[8:9]
; %bb.201:
	v_cmp_ne_u16_e32 vcc, 0, v5
	v_mov_b32_e32 v3, 0
	s_andn2_b64 s[0:1], s[0:1], exec
	s_and_b64 s[10:11], vcc, exec
	v_mov_b32_e32 v4, 0
	s_or_b64 s[0:1], s[0:1], s[10:11]
; %bb.202:
	s_or_b64 exec, exec, s[8:9]
	s_and_saveexec_b64 s[8:9], s[0:1]
	s_cbranch_execz .LBB7_204
; %bb.203:
	v_and_b32_e32 v4, 0xffff, v5
	v_lshlrev_b32_e32 v3, 24, v5
	v_and_b32_e32 v5, 3, v4
	v_ffbh_u32_e32 v7, v5
	v_min_u32_e32 v7, 32, v7
	v_subrev_u32_e32 v9, 29, v7
	v_bfe_u32 v6, v4, 2, 5
	v_lshlrev_b32_e32 v4, v9, v4
	v_sub_u32_e32 v7, 30, v7
	v_and_b32_e32 v4, 3, v4
	v_cmp_eq_u32_e32 vcc, 0, v6
	v_cndmask_b32_e32 v6, v6, v7, vcc
	v_cndmask_b32_e32 v4, v5, v4, vcc
	v_mov_b32_e32 v5, 0x37800000
	v_lshlrev_b32_e32 v4, 21, v4
	v_and_b32_e32 v3, 0x80000000, v3
	v_lshl_add_u32 v5, v6, 23, v5
	v_or3_b32 v3, v3, v5, v4
	v_cvt_f64_f32_e32 v[3:4], v3
.LBB7_204:
	s_or_b64 exec, exec, s[8:9]
	s_mov_b64 s[0:1], 0
	s_branch .LBB7_208
.LBB7_205:
	s_mov_b64 s[8:9], -1
                                        ; implicit-def: $vgpr3_vgpr4
	s_branch .LBB7_214
.LBB7_206:
	s_mov_b64 s[0:1], -1
                                        ; implicit-def: $vgpr3_vgpr4
	s_branch .LBB7_211
.LBB7_207:
	s_mov_b64 s[0:1], -1
                                        ; implicit-def: $vgpr3_vgpr4
.LBB7_208:
	s_and_b64 vcc, exec, s[0:1]
	s_cbranch_vccz .LBB7_210
; %bb.209:
	global_load_ubyte v3, v[0:1], off
	s_mov_b32 s0, 0x7f800000
	s_waitcnt vmcnt(0)
	v_lshlrev_b32_e32 v3, 24, v3
	v_and_b32_e32 v4, 0x7f000000, v3
	v_ffbh_u32_e32 v5, v4
	v_min_u32_e32 v5, 32, v5
	v_sub_u32_e64 v5, v5, 4 clamp
	v_lshlrev_b32_e32 v7, v5, v4
	v_lshlrev_b32_e32 v5, 23, v5
	v_lshrrev_b32_e32 v7, 4, v7
	v_add_u32_e32 v6, 0x1000000, v4
	v_sub_u32_e32 v5, v7, v5
	v_ashrrev_i32_e32 v6, 8, v6
	v_add_u32_e32 v5, 0x3c000000, v5
	v_and_or_b32 v5, v6, s0, v5
	v_cmp_ne_u32_e32 vcc, 0, v4
	v_cndmask_b32_e32 v4, 0, v5, vcc
	s_brev_b32 s0, 1
	v_and_or_b32 v3, v3, s0, v4
	v_cvt_f64_f32_e32 v[3:4], v3
.LBB7_210:
	s_mov_b64 s[0:1], 0
.LBB7_211:
	s_andn2_b64 vcc, exec, s[0:1]
	s_cbranch_vccnz .LBB7_213
; %bb.212:
	global_load_ubyte v3, v[0:1], off
	s_movk_i32 s0, 0x7f00
	s_brev_b32 s1, 16
	s_waitcnt vmcnt(0)
	v_lshlrev_b16_e32 v4, 8, v3
	v_lshlrev_b32_e32 v3, 25, v3
	v_lshrrev_b32_e32 v5, 4, v3
	v_and_or_b32 v6, v4, s0, 0.5
	v_or_b32_e32 v5, 0x70000000, v5
	v_add_f32_e32 v6, -0.5, v6
	v_mul_f32_e32 v5, 0x7800000, v5
	v_cmp_gt_u32_e32 vcc, s1, v3
	v_bfe_i32 v4, v4, 0, 16
	v_cndmask_b32_e32 v3, v5, v6, vcc
	s_brev_b32 s0, 1
	v_and_or_b32 v3, v4, s0, v3
	v_cvt_f64_f32_e32 v[3:4], v3
.LBB7_213:
	s_mov_b64 s[8:9], 0
	s_mov_b64 s[0:1], -1
.LBB7_214:
	s_andn2_b64 vcc, exec, s[8:9]
	s_cbranch_vccnz .LBB7_225
; %bb.215:
	s_cmp_gt_i32 s12, 14
	s_cbranch_scc0 .LBB7_218
; %bb.216:
	s_cmp_eq_u32 s12, 15
	s_cbranch_scc0 .LBB7_219
; %bb.217:
	global_load_ushort v3, v[0:1], off
	s_mov_b64 s[0:1], -1
	s_mov_b64 s[2:3], 0
	s_waitcnt vmcnt(0)
	v_lshlrev_b32_e32 v3, 16, v3
	v_cvt_f64_f32_e32 v[3:4], v3
	s_branch .LBB7_220
.LBB7_218:
	s_mov_b64 s[8:9], -1
                                        ; implicit-def: $vgpr3_vgpr4
	s_branch .LBB7_221
.LBB7_219:
	s_mov_b64 s[2:3], -1
                                        ; implicit-def: $vgpr3_vgpr4
.LBB7_220:
	s_mov_b64 s[8:9], 0
.LBB7_221:
	s_and_b64 vcc, exec, s[8:9]
	s_cbranch_vccz .LBB7_225
; %bb.222:
	s_cmp_eq_u32 s12, 11
	s_cbranch_scc0 .LBB7_224
; %bb.223:
	global_load_ubyte v4, v[0:1], off
	v_mov_b32_e32 v5, 0x3ff00000
	v_mov_b32_e32 v3, 0
	s_mov_b64 s[0:1], -1
	s_mov_b64 s[2:3], 0
	s_waitcnt vmcnt(0)
	v_cmp_ne_u16_e32 vcc, 0, v4
	v_cndmask_b32_e32 v4, 0, v5, vcc
	s_branch .LBB7_225
.LBB7_224:
	s_mov_b64 s[2:3], -1
                                        ; implicit-def: $vgpr3_vgpr4
.LBB7_225:
	s_branch .LBB7_24
.LBB7_226:
	s_cmp_lt_i32 s12, 5
	s_cbranch_scc1 .LBB7_231
; %bb.227:
	s_cmp_lt_i32 s12, 8
	s_cbranch_scc1 .LBB7_232
; %bb.228:
	;; [unrolled: 3-line block ×3, first 2 shown]
	s_cmp_gt_i32 s12, 9
	s_cbranch_scc0 .LBB7_234
; %bb.230:
	global_load_dwordx2 v[3:4], v[0:1], off
	s_mov_b64 s[0:1], 0
	s_branch .LBB7_235
.LBB7_231:
                                        ; implicit-def: $vgpr3_vgpr4
	s_branch .LBB7_253
.LBB7_232:
	s_mov_b64 s[0:1], -1
                                        ; implicit-def: $vgpr3_vgpr4
	s_branch .LBB7_241
.LBB7_233:
	s_mov_b64 s[0:1], -1
                                        ; implicit-def: $vgpr3_vgpr4
	s_branch .LBB7_238
.LBB7_234:
	s_mov_b64 s[0:1], -1
                                        ; implicit-def: $vgpr3_vgpr4
.LBB7_235:
	s_andn2_b64 vcc, exec, s[0:1]
	s_cbranch_vccnz .LBB7_237
; %bb.236:
	global_load_dword v3, v[0:1], off
	s_waitcnt vmcnt(0)
	v_cvt_f64_f32_e32 v[3:4], v3
.LBB7_237:
	s_mov_b64 s[0:1], 0
.LBB7_238:
	s_andn2_b64 vcc, exec, s[0:1]
	s_cbranch_vccnz .LBB7_240
; %bb.239:
	global_load_dword v3, v[0:1], off
	s_waitcnt vmcnt(0)
	v_cvt_f32_f16_e32 v3, v3
	v_cvt_f64_f32_e32 v[3:4], v3
.LBB7_240:
	s_mov_b64 s[0:1], 0
.LBB7_241:
	s_andn2_b64 vcc, exec, s[0:1]
	s_cbranch_vccnz .LBB7_252
; %bb.242:
	s_cmp_lt_i32 s12, 6
	s_cbranch_scc1 .LBB7_245
; %bb.243:
	s_cmp_gt_i32 s12, 6
	s_cbranch_scc0 .LBB7_246
; %bb.244:
	global_load_dwordx2 v[3:4], v[0:1], off
	s_mov_b64 s[0:1], 0
	s_branch .LBB7_247
.LBB7_245:
	s_mov_b64 s[0:1], -1
                                        ; implicit-def: $vgpr3_vgpr4
	s_branch .LBB7_250
.LBB7_246:
	s_mov_b64 s[0:1], -1
                                        ; implicit-def: $vgpr3_vgpr4
.LBB7_247:
	s_andn2_b64 vcc, exec, s[0:1]
	s_cbranch_vccnz .LBB7_249
; %bb.248:
	global_load_dword v3, v[0:1], off
	s_waitcnt vmcnt(0)
	v_cvt_f64_f32_e32 v[3:4], v3
.LBB7_249:
	s_mov_b64 s[0:1], 0
.LBB7_250:
	s_andn2_b64 vcc, exec, s[0:1]
	s_cbranch_vccnz .LBB7_252
; %bb.251:
	global_load_ushort v3, v[0:1], off
	s_waitcnt vmcnt(0)
	v_cvt_f32_f16_e32 v3, v3
	v_cvt_f64_f32_e32 v[3:4], v3
.LBB7_252:
	s_cbranch_execnz .LBB7_272
.LBB7_253:
	s_cmp_lt_i32 s12, 2
	s_cbranch_scc1 .LBB7_257
; %bb.254:
	s_cmp_lt_i32 s12, 3
	s_cbranch_scc1 .LBB7_258
; %bb.255:
	s_cmp_gt_i32 s12, 3
	s_cbranch_scc0 .LBB7_259
; %bb.256:
	global_load_dwordx2 v[3:4], v[0:1], off
	s_mov_b64 s[0:1], 0
	s_waitcnt vmcnt(0)
	v_cvt_f64_i32_e32 v[4:5], v4
	v_cvt_f64_u32_e32 v[6:7], v3
	v_ldexp_f64 v[4:5], v[4:5], 32
	v_add_f64 v[3:4], v[4:5], v[6:7]
	s_branch .LBB7_260
.LBB7_257:
	s_mov_b64 s[0:1], -1
                                        ; implicit-def: $vgpr3_vgpr4
	s_branch .LBB7_266
.LBB7_258:
	s_mov_b64 s[0:1], -1
                                        ; implicit-def: $vgpr3_vgpr4
	s_branch .LBB7_263
.LBB7_259:
	s_mov_b64 s[0:1], -1
                                        ; implicit-def: $vgpr3_vgpr4
.LBB7_260:
	s_andn2_b64 vcc, exec, s[0:1]
	s_cbranch_vccnz .LBB7_262
; %bb.261:
	global_load_dword v3, v[0:1], off
	s_waitcnt vmcnt(0)
	v_cvt_f64_i32_e32 v[3:4], v3
.LBB7_262:
	s_mov_b64 s[0:1], 0
.LBB7_263:
	s_andn2_b64 vcc, exec, s[0:1]
	s_cbranch_vccnz .LBB7_265
; %bb.264:
	global_load_sshort v3, v[0:1], off
	s_waitcnt vmcnt(0)
	v_cvt_f64_i32_e32 v[3:4], v3
.LBB7_265:
	s_mov_b64 s[0:1], 0
.LBB7_266:
	s_andn2_b64 vcc, exec, s[0:1]
	s_cbranch_vccnz .LBB7_272
; %bb.267:
	s_cmp_gt_i32 s12, 0
	s_cbranch_scc0 .LBB7_269
; %bb.268:
	global_load_sbyte v3, v[0:1], off
	s_mov_b64 s[0:1], 0
	s_waitcnt vmcnt(0)
	v_cvt_f64_i32_e32 v[3:4], v3
	s_branch .LBB7_270
.LBB7_269:
	s_mov_b64 s[0:1], -1
                                        ; implicit-def: $vgpr3_vgpr4
.LBB7_270:
	s_andn2_b64 vcc, exec, s[0:1]
	s_cbranch_vccnz .LBB7_272
; %bb.271:
	global_load_ubyte v0, v[0:1], off
	s_waitcnt vmcnt(0)
	v_cvt_f64_u32_e32 v[3:4], v0
.LBB7_272:
	s_branch .LBB7_25
.LBB7_273:
	s_mov_b64 s[0:1], 0
.LBB7_274:
	s_mov_b64 s[8:9], 0
                                        ; implicit-def: $vgpr8
.LBB7_275:
	s_and_b64 s[52:53], s[0:1], exec
	s_and_b64 s[54:55], s[2:3], exec
	s_orn2_b64 s[2:3], s[8:9], exec
.LBB7_276:
	s_or_b64 exec, exec, s[56:57]
	s_mov_b64 s[10:11], 0
	s_mov_b64 s[0:1], 0
                                        ; implicit-def: $vgpr0_vgpr1
                                        ; implicit-def: $vgpr2
                                        ; implicit-def: $vgpr3_vgpr4
	s_and_saveexec_b64 s[56:57], s[2:3]
	s_cbranch_execz .LBB7_283
; %bb.277:
	v_cmp_gt_i32_e32 vcc, s70, v8
	s_mov_b64 s[0:1], -1
	s_mov_b64 s[58:59], s[54:55]
	s_mov_b64 s[60:61], s[52:53]
	s_and_saveexec_b64 s[62:63], vcc
	s_cbranch_execz .LBB7_562
; %bb.278:
	s_andn2_b64 vcc, exec, s[40:41]
	s_cbranch_vccnz .LBB7_286
; %bb.279:
	s_andn2_b64 vcc, exec, s[50:51]
	s_cbranch_vccnz .LBB7_287
; %bb.280:
	s_add_i32 s65, s75, 1
	s_cmp_eq_u32 s72, 2
	s_cbranch_scc1 .LBB7_288
; %bb.281:
	s_and_b32 s64, s65, 28
	v_mov_b32_e32 v0, 0
	s_mov_b32 s66, 0
	s_mov_b64 s[58:59], s[34:35]
	s_mov_b64 s[60:61], s[48:49]
	v_mov_b32_e32 v2, 0
	v_mov_b32_e32 v1, v8
.LBB7_282:                              ; =>This Inner Loop Header: Depth=1
	s_load_dwordx8 s[16:23], s[58:59], 0x4
	s_load_dwordx4 s[0:3], s[58:59], 0x24
	s_load_dwordx8 s[8:15], s[60:61], 0x0
	s_add_u32 s58, s58, 48
	s_addc_u32 s59, s59, 0
	s_waitcnt vmcnt(0) lgkmcnt(0)
	v_mul_hi_u32 v3, s17, v1
	s_add_i32 s66, s66, 4
	s_add_u32 s60, s60, 32
	s_addc_u32 s61, s61, 0
	v_add_u32_e32 v3, v1, v3
	v_lshrrev_b32_e32 v3, s18, v3
	v_mul_lo_u32 v4, v3, s16
	v_mul_hi_u32 v5, s20, v3
	s_cmp_eq_u32 s64, s66
	v_sub_u32_e32 v1, v1, v4
	v_add_u32_e32 v4, v3, v5
	v_mul_lo_u32 v5, v1, s8
	v_mul_lo_u32 v6, v1, s9
	v_lshrrev_b32_e32 v1, s21, v4
	v_mul_lo_u32 v4, v1, s19
	v_mul_hi_u32 v7, s23, v1
	v_sub_u32_e32 v3, v3, v4
	v_add_u32_e32 v4, v1, v7
	v_lshrrev_b32_e32 v4, s0, v4
	v_mul_hi_u32 v9, s2, v4
	v_mul_lo_u32 v10, v4, s22
	v_mul_lo_u32 v7, v3, s10
	;; [unrolled: 1-line block ×3, first 2 shown]
	v_sub_u32_e32 v10, v1, v10
	v_add_u32_e32 v1, v4, v9
	v_lshrrev_b32_e32 v1, s3, v1
	v_mul_lo_u32 v9, v1, s1
	v_mul_lo_u32 v11, v10, s12
	;; [unrolled: 1-line block ×3, first 2 shown]
	v_add3_u32 v2, v5, v2, v7
	v_sub_u32_e32 v4, v4, v9
	v_mul_lo_u32 v9, v4, s14
	v_mul_lo_u32 v4, v4, s15
	v_add3_u32 v0, v6, v0, v3
	v_add3_u32 v2, v11, v2, v9
	;; [unrolled: 1-line block ×3, first 2 shown]
	s_cbranch_scc0 .LBB7_282
	s_branch .LBB7_289
.LBB7_283:
	s_or_b64 exec, exec, s[56:57]
	s_mov_b64 s[2:3], 0
	s_and_saveexec_b64 s[8:9], s[54:55]
	s_cbranch_execnz .LBB7_948
.LBB7_284:
	s_or_b64 exec, exec, s[8:9]
	s_and_saveexec_b64 s[8:9], s[60:61]
	s_xor_b64 s[8:9], exec, s[8:9]
	s_cbranch_execz .LBB7_949
.LBB7_285:
	global_load_ubyte v4, v[0:1], off
	v_mov_b32_e32 v5, 0x3ff00000
	s_waitcnt vmcnt(1)
	v_mov_b32_e32 v3, 0
	s_or_b64 s[0:1], s[0:1], exec
	s_waitcnt vmcnt(0)
	v_cmp_ne_u16_e32 vcc, 0, v4
	v_cndmask_b32_e32 v4, 0, v5, vcc
	s_or_b64 exec, exec, s[8:9]
	s_and_saveexec_b64 s[8:9], s[10:11]
	s_cbranch_execz .LBB7_995
	s_branch .LBB7_950
.LBB7_286:
                                        ; implicit-def: $vgpr2
                                        ; implicit-def: $vgpr0
	s_andn2_b64 vcc, exec, s[0:1]
	s_cbranch_vccz .LBB7_293
	s_branch .LBB7_295
.LBB7_287:
	v_mov_b32_e32 v2, 0
	v_mov_b32_e32 v0, 0
	s_branch .LBB7_292
.LBB7_288:
	s_mov_b32 s64, 0
	v_mov_b32_e32 v2, 0
	v_mov_b32_e32 v0, 0
	;; [unrolled: 1-line block ×3, first 2 shown]
.LBB7_289:
	s_and_b32 s8, s65, 3
	s_cmp_eq_u32 s8, 0
	s_cbranch_scc1 .LBB7_292
; %bb.290:
	s_lshl_b32 s0, s64, 3
	s_add_u32 s0, s34, s0
	s_addc_u32 s1, s35, 0
	s_add_u32 s0, s0, 0xc4
	s_addc_u32 s1, s1, 0
	s_mul_i32 s2, s64, 12
	s_add_u32 s2, s34, s2
	s_addc_u32 s3, s35, 0
.LBB7_291:                              ; =>This Inner Loop Header: Depth=1
	s_load_dwordx2 s[10:11], s[2:3], 0x4
	s_load_dword s9, s[2:3], 0xc
	s_load_dwordx2 s[12:13], s[0:1], 0x0
	s_add_u32 s2, s2, 12
	s_addc_u32 s3, s3, 0
	s_waitcnt vmcnt(0) lgkmcnt(0)
	v_mul_hi_u32 v3, s11, v1
	s_add_u32 s0, s0, 8
	s_addc_u32 s1, s1, 0
	s_add_i32 s8, s8, -1
	v_add_u32_e32 v3, v1, v3
	v_lshrrev_b32_e32 v4, s9, v3
	v_mul_lo_u32 v3, v4, s10
	s_cmp_lg_u32 s8, 0
	v_sub_u32_e32 v1, v1, v3
	v_mad_u64_u32 v[2:3], s[10:11], v1, s12, v[2:3]
	v_mad_u64_u32 v[0:1], s[10:11], v1, s13, v[0:1]
	v_mov_b32_e32 v1, v4
	s_cbranch_scc1 .LBB7_291
.LBB7_292:
	s_cbranch_execnz .LBB7_295
.LBB7_293:
	s_waitcnt lgkmcnt(0)
	v_mul_hi_u32 v0, s37, v8
	s_andn2_b64 vcc, exec, s[46:47]
	v_add_u32_e32 v0, v8, v0
	v_lshrrev_b32_e32 v1, s38, v0
	v_mul_lo_u32 v0, v1, s36
	v_sub_u32_e32 v0, v8, v0
	v_mul_lo_u32 v2, v0, s28
	v_mul_lo_u32 v0, v0, s29
	s_cbranch_vccnz .LBB7_295
; %bb.294:
	s_waitcnt vmcnt(0)
	v_mul_hi_u32 v3, s44, v1
	v_add_u32_e32 v3, v1, v3
	v_lshrrev_b32_e32 v3, s45, v3
	v_mul_lo_u32 v3, v3, s39
	v_sub_u32_e32 v1, v1, v3
	v_mad_u64_u32 v[2:3], s[0:1], v1, s30, v[2:3]
	v_mad_u64_u32 v[0:1], s[0:1], v1, s31, v[0:1]
.LBB7_295:
	s_waitcnt lgkmcnt(0)
	v_mov_b32_e32 v1, s27
	s_and_b32 s12, 0xffff, s74
	v_add_co_u32_e32 v0, vcc, s26, v0
	s_cmp_lt_i32 s12, 11
	v_addc_co_u32_e32 v1, vcc, 0, v1, vcc
	s_cbranch_scc1 .LBB7_302
; %bb.296:
	s_cmp_gt_i32 s12, 25
	s_cbranch_scc0 .LBB7_321
; %bb.297:
	s_cmp_gt_i32 s12, 28
	s_cbranch_scc0 .LBB7_323
	;; [unrolled: 3-line block ×4, first 2 shown]
; %bb.300:
	s_cmp_eq_u32 s12, 46
	s_mov_b64 s[8:9], 0
	s_cbranch_scc0 .LBB7_333
; %bb.301:
	global_load_dword v3, v[0:1], off
	s_mov_b64 s[0:1], -1
	s_mov_b64 s[2:3], 0
	s_waitcnt vmcnt(0)
	v_lshlrev_b32_e32 v3, 16, v3
	v_cvt_f64_f32_e32 v[3:4], v3
	s_branch .LBB7_334
.LBB7_302:
	s_mov_b64 s[0:1], 0
                                        ; implicit-def: $vgpr3_vgpr4
	s_mov_b64 s[2:3], s[54:55]
	s_cbranch_execnz .LBB7_511
.LBB7_303:
	s_andn2_b64 vcc, exec, s[0:1]
	s_cbranch_vccnz .LBB7_559
.LBB7_304:
	s_mov_b32 s0, 0
	s_mov_b32 s1, 0x7ff00000
	s_waitcnt vmcnt(0)
	v_cmp_neq_f64_e64 s[0:1], |v[3:4]|, s[0:1]
	v_mov_b32_e32 v0, 0
	v_mov_b32_e32 v1, 0
	s_and_saveexec_b64 s[8:9], s[0:1]
	s_cbranch_execz .LBB7_314
; %bb.305:
	v_cmp_nlt_f64_e64 s[0:1], |v[3:4]|, 0.5
                                        ; implicit-def: $vgpr0_vgpr1
	s_and_saveexec_b64 s[10:11], s[0:1]
	s_xor_b64 s[10:11], exec, s[10:11]
	s_cbranch_execz .LBB7_311
; %bb.306:
	s_mov_b32 s0, 0
	s_mov_b32 s1, 0x41d00000
	v_cmp_nlt_f64_e64 s[0:1], |v[3:4]|, s[0:1]
                                        ; implicit-def: $vgpr7
                                        ; implicit-def: $vgpr0_vgpr1
                                        ; implicit-def: $vgpr5_vgpr6
	s_and_saveexec_b64 s[12:13], s[0:1]
	s_xor_b64 s[12:13], exec, s[12:13]
	s_cbranch_execz .LBB7_308
; %bb.307:
	v_trig_preop_f64 v[0:1], |v[3:4]|, 0
	s_mov_b32 s0, 0
	s_mov_b32 s1, 0x7b000000
	s_movk_i32 s14, 0xff80
	v_ldexp_f64 v[9:10], |v[3:4]|, s14
	v_cmp_ge_f64_e64 vcc, |v[3:4]|, s[0:1]
	v_trig_preop_f64 v[5:6], |v[3:4]|, 1
	v_and_b32_e32 v7, 0x7fffffff, v4
	v_trig_preop_f64 v[17:18], |v[3:4]|, 2
	s_mov_b32 s0, 0
	s_mov_b32 s1, 0x7ff00000
	v_mov_b32_e32 v27, 0
	s_mov_b32 s14, 0x33145c07
	v_cndmask_b32_e32 v10, v7, v10, vcc
	v_cndmask_b32_e32 v9, v3, v9, vcc
	v_mov_b32_e32 v7, 0x40100000
	v_mul_f64 v[11:12], v[0:1], v[9:10]
	s_mov_b32 s15, 0x3c91a626
	v_mul_f64 v[13:14], v[5:6], v[9:10]
	v_mul_f64 v[23:24], v[17:18], v[9:10]
	v_fma_f64 v[0:1], v[0:1], v[9:10], -v[11:12]
	v_fma_f64 v[5:6], v[5:6], v[9:10], -v[13:14]
	;; [unrolled: 1-line block ×3, first 2 shown]
	v_add_f64 v[15:16], v[13:14], v[0:1]
	v_add_f64 v[19:20], v[15:16], -v[13:14]
	v_add_f64 v[25:26], v[11:12], v[15:16]
	v_add_f64 v[21:22], v[15:16], -v[19:20]
	v_add_f64 v[0:1], v[0:1], -v[19:20]
	v_add_f64 v[19:20], v[23:24], v[5:6]
	v_add_f64 v[11:12], v[25:26], -v[11:12]
	v_add_f64 v[13:14], v[13:14], -v[21:22]
	v_ldexp_f64 v[21:22], v[25:26], -2
	v_add_f64 v[29:30], v[19:20], -v[23:24]
	v_add_f64 v[11:12], v[15:16], -v[11:12]
	v_add_f64 v[0:1], v[0:1], v[13:14]
	v_fract_f64_e32 v[13:14], v[21:22]
	v_cmp_neq_f64_e64 vcc, |v[21:22]|, s[0:1]
	v_add_f64 v[5:6], v[5:6], -v[29:30]
	v_add_f64 v[15:16], v[19:20], v[0:1]
	v_ldexp_f64 v[13:14], v[13:14], 2
	v_add_f64 v[21:22], v[11:12], v[15:16]
	v_cndmask_b32_e32 v14, 0, v14, vcc
	v_cndmask_b32_e32 v13, 0, v13, vcc
	v_add_f64 v[31:32], v[15:16], -v[19:20]
	v_add_f64 v[25:26], v[21:22], v[13:14]
	v_add_f64 v[11:12], v[21:22], -v[11:12]
	v_add_f64 v[33:34], v[15:16], -v[31:32]
	;; [unrolled: 1-line block ×3, first 2 shown]
	v_cmp_gt_f64_e32 vcc, 0, v[25:26]
	v_add_f64 v[25:26], v[19:20], -v[29:30]
	v_add_f64 v[11:12], v[15:16], -v[11:12]
	;; [unrolled: 1-line block ×3, first 2 shown]
	v_cndmask_b32_e32 v28, 0, v7, vcc
	v_add_f64 v[13:14], v[13:14], v[27:28]
	v_add_f64 v[25:26], v[23:24], -v[25:26]
	v_add_f64 v[0:1], v[0:1], v[19:20]
	v_add_f64 v[35:36], v[21:22], v[13:14]
	;; [unrolled: 1-line block ×3, first 2 shown]
	v_cvt_i32_f64_e32 v7, v[35:36]
	v_add_f64 v[0:1], v[5:6], v[0:1]
	v_cvt_f64_i32_e32 v[28:29], v7
	v_add_f64 v[13:14], v[13:14], -v[28:29]
	v_add_f64 v[0:1], v[9:10], v[0:1]
	v_add_f64 v[5:6], v[21:22], v[13:14]
	v_add_f64 v[0:1], v[11:12], v[0:1]
	v_mov_b32_e32 v11, 0x3ff00000
	v_add_f64 v[9:10], v[5:6], -v[13:14]
	v_cmp_le_f64_e32 vcc, 0.5, v[5:6]
	v_add_f64 v[9:10], v[21:22], -v[9:10]
	v_cndmask_b32_e32 v28, 0, v11, vcc
	v_add_f64 v[5:6], v[5:6], -v[27:28]
	v_addc_co_u32_e64 v7, s[0:1], 0, v7, vcc
	s_mov_b32 s0, 0x54442d18
	s_mov_b32 s1, 0x3ff921fb
	v_add_f64 v[0:1], v[0:1], v[9:10]
	v_add_f64 v[9:10], v[5:6], v[0:1]
	v_mul_f64 v[11:12], v[9:10], s[0:1]
	v_add_f64 v[5:6], v[9:10], -v[5:6]
	v_fma_f64 v[13:14], v[9:10], s[0:1], -v[11:12]
	v_add_f64 v[0:1], v[0:1], -v[5:6]
	v_fma_f64 v[5:6], v[9:10], s[14:15], v[13:14]
	v_fma_f64 v[5:6], v[0:1], s[0:1], v[5:6]
	v_add_f64 v[0:1], v[11:12], v[5:6]
	v_add_f64 v[9:10], v[0:1], -v[11:12]
	v_add_f64 v[5:6], v[5:6], -v[9:10]
.LBB7_308:
	s_andn2_saveexec_b64 s[0:1], s[12:13]
	s_cbranch_execz .LBB7_310
; %bb.309:
	s_mov_b32 s12, 0x6dc9c883
	s_mov_b32 s13, 0x3fe45f30
	v_mul_f64 v[0:1], |v[3:4]|, s[12:13]
	s_mov_b32 s12, 0x54442d18
	s_mov_b32 s13, 0xbff921fb
	;; [unrolled: 1-line block ×4, first 2 shown]
	v_rndne_f64_e32 v[9:10], v[0:1]
	v_fma_f64 v[0:1], v[9:10], s[12:13], |v[3:4]|
	v_mul_f64 v[5:6], v[9:10], s[14:15]
	s_mov_b32 s12, 0x252049c0
	s_mov_b32 s13, 0xb97b839a
	v_cvt_i32_f64_e32 v7, v[9:10]
	v_fma_f64 v[15:16], v[9:10], s[14:15], v[0:1]
	v_add_f64 v[11:12], v[0:1], v[5:6]
	s_mov_b32 s15, 0x3c91a626
	v_add_f64 v[13:14], v[0:1], -v[11:12]
	v_add_f64 v[11:12], v[11:12], -v[15:16]
	v_add_f64 v[0:1], v[13:14], v[5:6]
	v_fma_f64 v[5:6], v[9:10], s[14:15], v[5:6]
	v_add_f64 v[0:1], v[11:12], v[0:1]
	v_add_f64 v[0:1], v[0:1], -v[5:6]
	v_fma_f64 v[5:6], v[9:10], s[12:13], v[0:1]
	v_add_f64 v[0:1], v[15:16], v[5:6]
	v_add_f64 v[11:12], v[0:1], -v[15:16]
	v_add_f64 v[5:6], v[5:6], -v[11:12]
.LBB7_310:
	s_or_b64 exec, exec, s[0:1]
	v_mul_f64 v[9:10], v[0:1], v[0:1]
	s_mov_b32 s0, 0xf9a43bb8
	v_mov_b32_e32 v12, 0xb42fdfa7
	v_mov_b32_e32 v13, 0xbe5ae600
	s_mov_b32 s1, 0x3de5e0b2
	s_mov_b32 s12, 0x796cde01
	v_mov_b32_e32 v11, 0x9037ab78
	s_mov_b32 s13, 0x3ec71de3
	v_fma_f64 v[13:14], v[9:10], s[0:1], v[12:13]
	s_mov_b32 s0, 0x46cc5e42
	v_mov_b32_e32 v12, 0x3e21eeb6
	s_mov_b32 s1, 0xbda907db
	v_fma_f64 v[11:12], v[9:10], s[0:1], v[11:12]
	v_mul_f64 v[15:16], v[9:10], 0.5
	s_mov_b32 s0, 0xa17f65f6
	s_mov_b32 s14, 0x19e83e5c
	v_fma_f64 v[13:14], v[9:10], v[13:14], s[12:13]
	s_mov_b32 s1, 0xbe927e4f
	s_mov_b32 s15, 0xbf2a01a0
	;; [unrolled: 1-line block ×3, first 2 shown]
	v_fma_f64 v[11:12], v[9:10], v[11:12], s[0:1]
	v_add_f64 v[17:18], -v[15:16], 1.0
	s_mov_b32 s0, 0x11110bb3
	s_mov_b32 s13, 0x3efa01a0
	v_fma_f64 v[13:14], v[9:10], v[13:14], s[14:15]
	s_mov_b32 s1, 0x3f811111
	v_mul_f64 v[19:20], v[5:6], 0.5
	v_mul_f64 v[21:22], v[0:1], -v[9:10]
	v_fma_f64 v[11:12], v[9:10], v[11:12], s[12:13]
	v_add_f64 v[23:24], -v[17:18], 1.0
	v_fma_f64 v[13:14], v[9:10], v[13:14], s[0:1]
	s_mov_b32 s0, 0x16c16967
	s_mov_b32 s1, 0xbf56c16c
	v_fma_f64 v[11:12], v[9:10], v[11:12], s[0:1]
	v_add_f64 v[15:16], v[23:24], -v[15:16]
	s_mov_b32 s1, 0x3fa55555
	s_mov_b32 s0, 0x55555555
	v_fma_f64 v[13:14], v[21:22], v[13:14], v[19:20]
	v_mul_f64 v[19:20], v[9:10], v[9:10]
	v_fma_f64 v[11:12], v[9:10], v[11:12], s[0:1]
	v_fma_f64 v[15:16], v[0:1], -v[5:6], v[15:16]
	s_mov_b32 s1, 0xbfc55555
	v_fma_f64 v[5:6], v[9:10], v[13:14], -v[5:6]
	v_fma_f64 v[9:10], v[19:20], v[11:12], v[15:16]
	v_fma_f64 v[5:6], v[21:22], s[0:1], v[5:6]
	s_movk_i32 s0, 0x1f8
	v_cmp_class_f64_e64 s[0:1], v[3:4], s0
	v_add_f64 v[9:10], v[17:18], v[9:10]
	v_add_f64 v[0:1], v[0:1], -v[5:6]
	v_and_b32_e32 v5, 1, v7
	v_cmp_eq_u32_e32 vcc, 0, v5
	v_lshlrev_b32_e32 v5, 30, v7
	v_xor_b32_e32 v5, v5, v4
	v_and_b32_e32 v5, 0x80000000, v5
	v_mov_b32_e32 v6, 0x7ff80000
	v_cndmask_b32_e32 v1, v10, v1, vcc
	v_cndmask_b32_e32 v0, v9, v0, vcc
	v_xor_b32_e32 v1, v1, v5
	v_cndmask_b32_e64 v0, 0, v0, s[0:1]
	v_cndmask_b32_e64 v1, v6, v1, s[0:1]
	v_div_scale_f64 v[5:6], s[0:1], v[3:4], v[3:4], v[0:1]
	v_div_scale_f64 v[13:14], vcc, v[0:1], v[3:4], v[0:1]
	v_rcp_f64_e32 v[9:10], v[5:6]
	v_fma_f64 v[11:12], -v[5:6], v[9:10], 1.0
	v_fma_f64 v[9:10], v[9:10], v[11:12], v[9:10]
	v_fma_f64 v[11:12], -v[5:6], v[9:10], 1.0
	v_fma_f64 v[9:10], v[9:10], v[11:12], v[9:10]
	v_mul_f64 v[11:12], v[13:14], v[9:10]
	v_fma_f64 v[5:6], -v[5:6], v[11:12], v[13:14]
	v_div_fmas_f64 v[5:6], v[5:6], v[9:10], v[11:12]
	v_div_fixup_f64 v[0:1], v[5:6], v[3:4], v[0:1]
                                        ; implicit-def: $vgpr3_vgpr4
.LBB7_311:
	s_andn2_saveexec_b64 s[0:1], s[10:11]
	s_cbranch_execz .LBB7_313
; %bb.312:
	v_mul_f64 v[0:1], v[3:4], v[3:4]
	s_mov_b32 s10, 0x13a86d09
	v_mov_b32_e32 v3, 0x67f544e4
	v_mov_b32_e32 v4, 0xbe5ae645
	s_mov_b32 s11, 0x3de61246
	v_fma_f64 v[3:4], v[0:1], s[10:11], v[3:4]
	s_mov_b32 s10, 0xa556c734
	s_mov_b32 s11, 0x3ec71de3
	v_fma_f64 v[3:4], v[0:1], v[3:4], s[10:11]
	s_mov_b32 s10, 0x1a01a01a
	;; [unrolled: 3-line block ×4, first 2 shown]
	s_mov_b32 s11, 0xbfc55555
	v_fma_f64 v[3:4], v[0:1], v[3:4], s[10:11]
	v_fma_f64 v[0:1], v[0:1], v[3:4], 1.0
.LBB7_313:
	s_or_b64 exec, exec, s[0:1]
.LBB7_314:
	s_or_b64 exec, exec, s[8:9]
	v_mov_b32_e32 v3, s25
	s_and_b32 s14, s73, 0xff
	v_add_co_u32_e32 v4, vcc, s24, v2
	s_cmp_lt_i32 s14, 11
	v_addc_co_u32_e32 v5, vcc, 0, v3, vcc
	s_cbranch_scc1 .LBB7_322
; %bb.315:
	s_and_b32 s15, 0xffff, s14
	s_cmp_gt_i32 s15, 25
	s_cbranch_scc0 .LBB7_324
; %bb.316:
	s_cmp_gt_i32 s15, 28
	s_cbranch_scc0 .LBB7_326
; %bb.317:
	;; [unrolled: 3-line block ×4, first 2 shown]
	s_mov_b64 s[10:11], 0
	s_mov_b64 s[0:1], -1
	s_cmp_eq_u32 s15, 46
	s_mov_b64 s[8:9], 0
	s_cbranch_scc0 .LBB7_338
; %bb.320:
	v_cvt_f32_f64_e32 v2, v[0:1]
	s_movk_i32 s0, 0x7fff
	v_mov_b32_e32 v3, 0x7fc0
	s_mov_b64 s[8:9], -1
	v_bfe_u32 v6, v2, 16, 1
	v_cmp_o_f32_e32 vcc, v2, v2
	v_add3_u32 v2, v2, v6, s0
	v_cndmask_b32_sdwa v2, v3, v2, vcc dst_sel:DWORD dst_unused:UNUSED_PAD src0_sel:DWORD src1_sel:WORD_1
	global_store_dword v[4:5], v2, off
	s_mov_b64 s[0:1], 0
	s_branch .LBB7_338
.LBB7_321:
	s_mov_b64 s[8:9], -1
	s_mov_b64 s[0:1], 0
	s_mov_b64 s[2:3], s[54:55]
                                        ; implicit-def: $vgpr3_vgpr4
	s_branch .LBB7_477
.LBB7_322:
	s_mov_b64 s[10:11], -1
	s_mov_b64 s[8:9], 0
	s_mov_b64 s[0:1], s[52:53]
	s_branch .LBB7_407
.LBB7_323:
	s_mov_b64 s[8:9], -1
	s_mov_b64 s[0:1], 0
	s_mov_b64 s[2:3], s[54:55]
                                        ; implicit-def: $vgpr3_vgpr4
	s_branch .LBB7_456
.LBB7_324:
	s_mov_b64 s[10:11], -1
	s_mov_b64 s[8:9], 0
	s_mov_b64 s[0:1], s[52:53]
	s_branch .LBB7_365
.LBB7_325:
	s_mov_b64 s[8:9], -1
	s_mov_b64 s[0:1], 0
	s_mov_b64 s[2:3], s[54:55]
                                        ; implicit-def: $vgpr3_vgpr4
	s_branch .LBB7_451
.LBB7_326:
	s_mov_b64 s[10:11], -1
	s_mov_b64 s[8:9], 0
	s_mov_b64 s[0:1], s[52:53]
	s_branch .LBB7_348
.LBB7_327:
	s_andn2_saveexec_b64 s[12:13], s[12:13]
	s_cbranch_execz .LBB7_78
.LBB7_328:
	s_mov_b32 s16, 0x46000000
	v_add_f32_e64 v3, |v2|, s16
	v_and_b32_e32 v3, 0xff, v3
	v_cmp_ne_u32_e32 vcc, 0, v3
	s_andn2_b64 s[10:11], s[10:11], exec
	s_and_b64 s[16:17], vcc, exec
	s_or_b64 s[10:11], s[10:11], s[16:17]
	s_or_b64 exec, exec, s[12:13]
	v_mov_b32_e32 v6, 0
	s_and_saveexec_b64 s[12:13], s[10:11]
	s_cbranch_execnz .LBB7_79
	s_branch .LBB7_80
.LBB7_329:
	s_mov_b64 s[8:9], -1
	s_mov_b64 s[0:1], 0
	s_mov_b64 s[2:3], s[54:55]
                                        ; implicit-def: $vgpr3_vgpr4
	s_branch .LBB7_334
.LBB7_330:
	s_mov_b64 s[10:11], -1
	s_mov_b64 s[8:9], 0
	s_mov_b64 s[0:1], s[52:53]
	s_branch .LBB7_344
.LBB7_331:
	s_andn2_saveexec_b64 s[12:13], s[12:13]
	s_cbranch_execz .LBB7_91
.LBB7_332:
	s_mov_b32 s16, 0x42800000
	v_add_f32_e64 v3, |v2|, s16
	v_and_b32_e32 v3, 0xff, v3
	v_cmp_ne_u32_e32 vcc, 0, v3
	s_andn2_b64 s[10:11], s[10:11], exec
	s_and_b64 s[16:17], vcc, exec
	s_or_b64 s[10:11], s[10:11], s[16:17]
	s_or_b64 exec, exec, s[12:13]
	v_mov_b32_e32 v6, 0
	s_and_saveexec_b64 s[12:13], s[10:11]
	s_cbranch_execnz .LBB7_92
	s_branch .LBB7_93
.LBB7_333:
	s_mov_b64 s[2:3], -1
                                        ; implicit-def: $vgpr3_vgpr4
	s_mov_b64 s[0:1], 0
.LBB7_334:
	s_and_b64 vcc, exec, s[8:9]
	s_cbranch_vccz .LBB7_450
; %bb.335:
	s_cmp_eq_u32 s12, 44
	s_cbranch_scc0 .LBB7_449
; %bb.336:
	global_load_ubyte v5, v[0:1], off
	s_movk_i32 s2, 0xff
	v_bfrev_b32_e32 v6, 4
	v_mov_b32_e32 v7, 0x7ff80000
	v_bfrev_b32_e32 v9, 28
	s_mov_b64 s[0:1], -1
	s_waitcnt vmcnt(0)
	v_lshlrev_b32_e32 v3, 23, v5
	v_cvt_f64_f32_e32 v[3:4], v3
	v_cmp_ne_u32_e32 vcc, s2, v5
	s_mov_b64 s[2:3], 0
	v_cndmask_b32_e32 v3, v6, v3, vcc
	v_cndmask_b32_e32 v4, v7, v4, vcc
	v_cmp_ne_u32_e32 vcc, 0, v5
	v_cndmask_b32_e32 v4, v9, v4, vcc
	v_cndmask_b32_e32 v3, 0, v3, vcc
	s_branch .LBB7_450
.LBB7_337:
	s_mov_b64 s[10:11], -1
	s_mov_b64 s[8:9], 0
	s_mov_b64 s[0:1], s[52:53]
.LBB7_338:
	s_and_b64 vcc, exec, s[10:11]
	s_cbranch_vccz .LBB7_343
; %bb.339:
	s_cmp_eq_u32 s15, 44
	s_mov_b64 s[0:1], -1
	s_cbranch_scc0 .LBB7_343
; %bb.340:
	v_cvt_f32_f64_e32 v2, v[0:1]
	s_movk_i32 s0, 0xff
	v_mov_b32_e32 v6, 0xff
	v_bfe_u32 v3, v2, 23, 8
	v_cmp_ne_u32_e32 vcc, s0, v3
	s_and_saveexec_b64 s[8:9], vcc
; %bb.341:
	s_mov_b32 s0, 0x3fffff
	v_lshrrev_b32_e32 v6, 23, v2
	v_and_b32_e32 v7, 0x400000, v2
	v_and_or_b32 v2, v2, s0, v3
	v_cmp_ne_u32_e32 vcc, 0, v7
	v_cmp_ne_u32_e64 s[0:1], 0, v2
	s_and_b64 s[0:1], vcc, s[0:1]
	v_cndmask_b32_e64 v2, 0, 1, s[0:1]
	v_add_u32_e32 v6, v6, v2
; %bb.342:
	s_or_b64 exec, exec, s[8:9]
	s_mov_b64 s[8:9], -1
	s_mov_b64 s[0:1], 0
	global_store_byte v[4:5], v6, off
.LBB7_343:
	s_mov_b64 s[10:11], 0
.LBB7_344:
	s_and_b64 vcc, exec, s[10:11]
	s_cbranch_vccz .LBB7_347
; %bb.345:
	s_cmp_eq_u32 s15, 29
	s_mov_b64 s[0:1], -1
	s_cbranch_scc0 .LBB7_347
; %bb.346:
	v_trunc_f64_e32 v[2:3], v[0:1]
	s_movk_i32 s0, 0xffe0
	s_mov_b64 s[8:9], -1
	s_mov_b64 s[10:11], 0
	v_ldexp_f64 v[6:7], v[2:3], s0
	s_mov_b32 s0, 0
	s_mov_b32 s1, 0xc1f00000
	v_floor_f64_e32 v[6:7], v[6:7]
	v_fma_f64 v[2:3], v[6:7], s[0:1], v[2:3]
	v_cvt_u32_f64_e32 v7, v[6:7]
	s_mov_b64 s[0:1], 0
	v_cvt_u32_f64_e32 v6, v[2:3]
	global_store_dwordx2 v[4:5], v[6:7], off
	s_branch .LBB7_348
.LBB7_347:
	s_mov_b64 s[10:11], 0
.LBB7_348:
	s_and_b64 vcc, exec, s[10:11]
	s_cbranch_vccz .LBB7_364
; %bb.349:
	s_cmp_lt_i32 s15, 27
	s_mov_b64 s[8:9], -1
	s_cbranch_scc1 .LBB7_355
; %bb.350:
	v_cvt_u32_f64_e32 v2, v[0:1]
	s_cmp_gt_i32 s15, 27
	s_cbranch_scc0 .LBB7_352
; %bb.351:
	s_mov_b64 s[8:9], 0
	global_store_dword v[4:5], v2, off
.LBB7_352:
	s_andn2_b64 vcc, exec, s[8:9]
	s_cbranch_vccnz .LBB7_354
; %bb.353:
	global_store_short v[4:5], v2, off
.LBB7_354:
	s_mov_b64 s[8:9], 0
.LBB7_355:
	s_andn2_b64 vcc, exec, s[8:9]
	s_cbranch_vccnz .LBB7_363
; %bb.356:
	v_cvt_f32_f64_e32 v2, v[0:1]
	s_mov_b32 s8, 0x43800000
	v_mov_b32_e32 v6, 0x80
	v_and_b32_e32 v3, 0x7fffffff, v2
	v_cmp_gt_u32_e32 vcc, s8, v3
	s_and_saveexec_b64 s[8:9], vcc
	s_cbranch_execz .LBB7_362
; %bb.357:
	s_mov_b32 s10, 0x3bffffff
	v_cmp_lt_u32_e32 vcc, s10, v3
	s_mov_b64 s[10:11], 0
                                        ; implicit-def: $vgpr3
	s_and_saveexec_b64 s[12:13], vcc
	s_xor_b64 s[12:13], exec, s[12:13]
	s_cbranch_execz .LBB7_590
; %bb.358:
	v_bfe_u32 v3, v2, 20, 1
	s_mov_b32 s16, 0x487ffff
	v_add3_u32 v3, v2, v3, s16
	s_mov_b64 s[10:11], exec
	v_lshrrev_b32_e32 v3, 20, v3
	s_andn2_saveexec_b64 s[12:13], s[12:13]
	s_cbranch_execnz .LBB7_591
.LBB7_359:
	s_or_b64 exec, exec, s[12:13]
	v_mov_b32_e32 v6, 0
	s_and_saveexec_b64 s[12:13], s[10:11]
.LBB7_360:
	v_lshrrev_b32_e32 v2, 24, v2
	s_movk_i32 s10, 0x80
	v_and_or_b32 v6, v2, s10, v3
.LBB7_361:
	s_or_b64 exec, exec, s[12:13]
.LBB7_362:
	s_or_b64 exec, exec, s[8:9]
	global_store_byte v[4:5], v6, off
.LBB7_363:
	s_mov_b64 s[8:9], -1
.LBB7_364:
	s_mov_b64 s[10:11], 0
.LBB7_365:
	s_and_b64 vcc, exec, s[10:11]
	s_cbranch_vccz .LBB7_406
; %bb.366:
	s_cmp_gt_i32 s15, 22
	s_mov_b64 s[10:11], -1
	s_cbranch_scc0 .LBB7_398
; %bb.367:
	s_cmp_lt_i32 s15, 24
	s_mov_b64 s[8:9], -1
	s_cbranch_scc1 .LBB7_387
; %bb.368:
	s_cmp_gt_i32 s15, 24
	s_cbranch_scc0 .LBB7_376
; %bb.369:
	v_cvt_f32_f64_e32 v2, v[0:1]
	s_mov_b32 s8, 0x47800000
	v_mov_b32_e32 v6, 0x80
	v_and_b32_e32 v3, 0x7fffffff, v2
	v_cmp_gt_u32_e32 vcc, s8, v3
	s_and_saveexec_b64 s[8:9], vcc
	s_cbranch_execz .LBB7_375
; %bb.370:
	s_mov_b32 s10, 0x37ffffff
	v_cmp_lt_u32_e32 vcc, s10, v3
	s_mov_b64 s[10:11], 0
                                        ; implicit-def: $vgpr3
	s_and_saveexec_b64 s[12:13], vcc
	s_xor_b64 s[12:13], exec, s[12:13]
	s_cbranch_execz .LBB7_593
; %bb.371:
	v_bfe_u32 v3, v2, 21, 1
	s_mov_b32 s16, 0x88fffff
	v_add3_u32 v3, v2, v3, s16
	s_mov_b64 s[10:11], exec
	v_lshrrev_b32_e32 v3, 21, v3
	s_andn2_saveexec_b64 s[12:13], s[12:13]
	s_cbranch_execnz .LBB7_594
.LBB7_372:
	s_or_b64 exec, exec, s[12:13]
	v_mov_b32_e32 v6, 0
	s_and_saveexec_b64 s[12:13], s[10:11]
.LBB7_373:
	v_lshrrev_b32_e32 v2, 24, v2
	s_movk_i32 s10, 0x80
	v_and_or_b32 v6, v2, s10, v3
.LBB7_374:
	s_or_b64 exec, exec, s[12:13]
.LBB7_375:
	s_or_b64 exec, exec, s[8:9]
	s_mov_b64 s[8:9], 0
	global_store_byte v[4:5], v6, off
.LBB7_376:
	s_and_b64 vcc, exec, s[8:9]
	s_cbranch_vccz .LBB7_386
; %bb.377:
	v_cvt_f32_f64_e32 v2, v[0:1]
	s_mov_b32 s8, 0x43f00000
                                        ; implicit-def: $vgpr3
	v_and_b32_e32 v6, 0x7fffffff, v2
	v_cmp_gt_u32_e32 vcc, s8, v6
	s_and_saveexec_b64 s[8:9], vcc
	s_xor_b64 s[8:9], exec, s[8:9]
	s_cbranch_execz .LBB7_383
; %bb.378:
	s_mov_b32 s10, 0x3c7fffff
	v_cmp_lt_u32_e32 vcc, s10, v6
                                        ; implicit-def: $vgpr3
	s_and_saveexec_b64 s[10:11], vcc
	s_xor_b64 s[10:11], exec, s[10:11]
; %bb.379:
	v_bfe_u32 v3, v2, 20, 1
	s_mov_b32 s12, 0x407ffff
	v_add3_u32 v3, v2, v3, s12
	v_lshrrev_b32_e32 v6, 20, v3
	v_and_b32_e32 v3, 0xff00000, v3
	s_mov_b32 s12, 0x7f00000
	v_mov_b32_e32 v7, 0x7e
	v_cmp_ne_u32_e32 vcc, s12, v3
	v_cndmask_b32_e32 v3, v7, v6, vcc
; %bb.380:
	s_andn2_saveexec_b64 s[10:11], s[10:11]
; %bb.381:
	s_mov_b32 s12, 0x46800000
	v_add_f32_e64 v3, |v2|, s12
; %bb.382:
	s_or_b64 exec, exec, s[10:11]
                                        ; implicit-def: $vgpr6
.LBB7_383:
	s_andn2_saveexec_b64 s[8:9], s[8:9]
; %bb.384:
	s_mov_b32 s10, 0x7f800000
	v_mov_b32_e32 v3, 0x7e
	v_mov_b32_e32 v7, 0x7f
	v_cmp_lt_u32_e32 vcc, s10, v6
	v_cndmask_b32_e32 v3, v3, v7, vcc
; %bb.385:
	s_or_b64 exec, exec, s[8:9]
	v_lshrrev_b32_e32 v2, 24, v2
	s_movk_i32 s8, 0x80
	v_and_or_b32 v2, v2, s8, v3
	global_store_byte v[4:5], v2, off
.LBB7_386:
	s_mov_b64 s[8:9], 0
.LBB7_387:
	s_andn2_b64 vcc, exec, s[8:9]
	s_cbranch_vccnz .LBB7_397
; %bb.388:
	v_cvt_f32_f64_e32 v2, v[0:1]
	s_mov_b32 s8, 0x47800000
                                        ; implicit-def: $vgpr3
	v_and_b32_e32 v6, 0x7fffffff, v2
	v_cmp_gt_u32_e32 vcc, s8, v6
	s_and_saveexec_b64 s[8:9], vcc
	s_xor_b64 s[8:9], exec, s[8:9]
	s_cbranch_execz .LBB7_394
; %bb.389:
	s_mov_b32 s10, 0x387fffff
	v_cmp_lt_u32_e32 vcc, s10, v6
                                        ; implicit-def: $vgpr3
	s_and_saveexec_b64 s[10:11], vcc
	s_xor_b64 s[10:11], exec, s[10:11]
; %bb.390:
	v_bfe_u32 v3, v2, 21, 1
	s_mov_b32 s12, 0x80fffff
	v_add3_u32 v3, v2, v3, s12
	v_lshrrev_b32_e32 v3, 21, v3
; %bb.391:
	s_andn2_saveexec_b64 s[10:11], s[10:11]
; %bb.392:
	s_mov_b32 s12, 0x43000000
	v_add_f32_e64 v3, |v2|, s12
; %bb.393:
	s_or_b64 exec, exec, s[10:11]
                                        ; implicit-def: $vgpr6
.LBB7_394:
	s_andn2_saveexec_b64 s[8:9], s[8:9]
; %bb.395:
	s_mov_b32 s10, 0x7f800000
	v_mov_b32_e32 v3, 0x7c
	v_mov_b32_e32 v7, 0x7f
	v_cmp_lt_u32_e32 vcc, s10, v6
	v_cndmask_b32_e32 v3, v3, v7, vcc
; %bb.396:
	s_or_b64 exec, exec, s[8:9]
	v_lshrrev_b32_e32 v2, 24, v2
	s_movk_i32 s8, 0x80
	v_and_or_b32 v2, v2, s8, v3
	global_store_byte v[4:5], v2, off
.LBB7_397:
	s_mov_b64 s[10:11], 0
	s_mov_b64 s[8:9], -1
.LBB7_398:
	s_andn2_b64 vcc, exec, s[10:11]
	s_cbranch_vccnz .LBB7_406
; %bb.399:
	s_cmp_gt_i32 s15, 14
	s_mov_b64 s[10:11], -1
	s_cbranch_scc0 .LBB7_403
; %bb.400:
	s_cmp_eq_u32 s15, 15
	s_mov_b64 s[0:1], -1
	s_cbranch_scc0 .LBB7_402
; %bb.401:
	v_cvt_f32_f64_e32 v2, v[0:1]
	s_movk_i32 s0, 0x7fff
	v_mov_b32_e32 v3, 0x7fc0
	s_mov_b64 s[8:9], -1
	v_bfe_u32 v6, v2, 16, 1
	v_cmp_o_f32_e32 vcc, v2, v2
	v_add3_u32 v2, v2, v6, s0
	v_cndmask_b32_sdwa v2, v3, v2, vcc dst_sel:DWORD dst_unused:UNUSED_PAD src0_sel:DWORD src1_sel:WORD_1
	global_store_short v[4:5], v2, off
	s_mov_b64 s[0:1], 0
.LBB7_402:
	s_mov_b64 s[10:11], 0
.LBB7_403:
	s_and_b64 vcc, exec, s[10:11]
	s_cbranch_vccz .LBB7_406
; %bb.404:
	s_cmp_eq_u32 s15, 11
	s_mov_b64 s[0:1], -1
	s_cbranch_scc0 .LBB7_406
; %bb.405:
	v_cmp_neq_f64_e32 vcc, 0, v[0:1]
	s_mov_b64 s[0:1], 0
	s_mov_b64 s[8:9], -1
	v_cndmask_b32_e64 v2, 0, 1, vcc
	global_store_byte v[4:5], v2, off
.LBB7_406:
	s_mov_b64 s[10:11], 0
.LBB7_407:
	s_and_b64 vcc, exec, s[10:11]
	s_cbranch_vccz .LBB7_446
; %bb.408:
	s_and_b32 s10, 0xffff, s14
	s_cmp_lt_i32 s10, 5
	s_mov_b64 s[8:9], -1
	s_cbranch_scc1 .LBB7_429
; %bb.409:
	s_cmp_lt_i32 s10, 8
	s_cbranch_scc1 .LBB7_419
; %bb.410:
	s_cmp_lt_i32 s10, 9
	s_cbranch_scc1 .LBB7_416
; %bb.411:
	s_cmp_gt_i32 s10, 9
	s_cbranch_scc0 .LBB7_413
; %bb.412:
	v_mov_b32_e32 v2, 0
	v_mov_b32_e32 v3, v2
	s_mov_b64 s[8:9], 0
	global_store_dwordx4 v[4:5], v[0:3], off
.LBB7_413:
	s_andn2_b64 vcc, exec, s[8:9]
	s_cbranch_vccnz .LBB7_415
; %bb.414:
	v_cvt_f32_f64_e32 v2, v[0:1]
	v_mov_b32_e32 v3, 0
	global_store_dwordx2 v[4:5], v[2:3], off
.LBB7_415:
	s_mov_b64 s[8:9], 0
.LBB7_416:
	s_andn2_b64 vcc, exec, s[8:9]
	s_cbranch_vccnz .LBB7_418
; %bb.417:
	s_movk_i32 s8, 0x1ff
	v_and_or_b32 v2, v1, s8, v0
	v_cmp_ne_u32_e32 vcc, 0, v2
	v_cndmask_b32_e64 v2, 0, 1, vcc
	v_lshrrev_b32_e32 v3, 8, v1
	s_movk_i32 s8, 0xffe
	v_bfe_u32 v6, v1, 20, 11
	v_and_or_b32 v2, v3, s8, v2
	v_sub_u32_e32 v7, 0x3f1, v6
	v_or_b32_e32 v3, 0x1000, v2
	v_med3_i32 v7, v7, 0, 13
	v_lshrrev_b32_e32 v9, v7, v3
	v_lshlrev_b32_e32 v7, v7, v9
	v_cmp_ne_u32_e32 vcc, v7, v3
	v_cndmask_b32_e64 v3, 0, 1, vcc
	v_add_u32_e32 v6, 0xfffffc10, v6
	v_or_b32_e32 v3, v9, v3
	v_lshl_or_b32 v7, v6, 12, v2
	v_cmp_gt_i32_e32 vcc, 1, v6
	v_cndmask_b32_e32 v3, v7, v3, vcc
	v_and_b32_e32 v7, 7, v3
	v_cmp_lt_i32_e32 vcc, 5, v7
	v_cndmask_b32_e64 v9, 0, 1, vcc
	v_cmp_eq_u32_e32 vcc, 3, v7
	v_cndmask_b32_e64 v7, 0, 1, vcc
	v_or_b32_e32 v7, v7, v9
	v_lshrrev_b32_e32 v3, 2, v3
	v_add_u32_e32 v3, v3, v7
	v_mov_b32_e32 v7, 0x7c00
	v_cmp_gt_i32_e32 vcc, 31, v6
	v_cndmask_b32_e32 v3, v7, v3, vcc
	v_mov_b32_e32 v9, 0x7e00
	v_cmp_ne_u32_e32 vcc, 0, v2
	s_movk_i32 s8, 0x40f
	v_cndmask_b32_e32 v2, v7, v9, vcc
	v_cmp_eq_u32_e32 vcc, s8, v6
	v_cndmask_b32_e32 v2, v3, v2, vcc
	v_lshrrev_b32_e32 v3, 16, v1
	s_mov_b32 s8, 0x8000
	v_and_or_b32 v2, v3, s8, v2
	v_and_b32_e32 v2, 0xffff, v2
	global_store_dword v[4:5], v2, off
.LBB7_418:
	s_mov_b64 s[8:9], 0
.LBB7_419:
	s_andn2_b64 vcc, exec, s[8:9]
	s_cbranch_vccnz .LBB7_428
; %bb.420:
	s_cmp_lt_i32 s10, 6
	s_mov_b64 s[8:9], -1
	s_cbranch_scc1 .LBB7_426
; %bb.421:
	s_cmp_gt_i32 s10, 6
	s_cbranch_scc0 .LBB7_423
; %bb.422:
	s_mov_b64 s[8:9], 0
	global_store_dwordx2 v[4:5], v[0:1], off
.LBB7_423:
	s_andn2_b64 vcc, exec, s[8:9]
	s_cbranch_vccnz .LBB7_425
; %bb.424:
	v_cvt_f32_f64_e32 v2, v[0:1]
	global_store_dword v[4:5], v2, off
.LBB7_425:
	s_mov_b64 s[8:9], 0
.LBB7_426:
	s_andn2_b64 vcc, exec, s[8:9]
	s_cbranch_vccnz .LBB7_428
; %bb.427:
	s_movk_i32 s8, 0x1ff
	v_and_or_b32 v2, v1, s8, v0
	v_cmp_ne_u32_e32 vcc, 0, v2
	v_cndmask_b32_e64 v2, 0, 1, vcc
	v_lshrrev_b32_e32 v3, 8, v1
	s_movk_i32 s8, 0xffe
	v_bfe_u32 v6, v1, 20, 11
	v_and_or_b32 v2, v3, s8, v2
	v_sub_u32_e32 v7, 0x3f1, v6
	v_or_b32_e32 v3, 0x1000, v2
	v_med3_i32 v7, v7, 0, 13
	v_lshrrev_b32_e32 v9, v7, v3
	v_lshlrev_b32_e32 v7, v7, v9
	v_cmp_ne_u32_e32 vcc, v7, v3
	v_cndmask_b32_e64 v3, 0, 1, vcc
	v_add_u32_e32 v6, 0xfffffc10, v6
	v_or_b32_e32 v3, v9, v3
	v_lshl_or_b32 v7, v6, 12, v2
	v_cmp_gt_i32_e32 vcc, 1, v6
	v_cndmask_b32_e32 v3, v7, v3, vcc
	v_and_b32_e32 v7, 7, v3
	v_cmp_lt_i32_e32 vcc, 5, v7
	v_cndmask_b32_e64 v9, 0, 1, vcc
	v_cmp_eq_u32_e32 vcc, 3, v7
	v_cndmask_b32_e64 v7, 0, 1, vcc
	v_or_b32_e32 v7, v7, v9
	v_lshrrev_b32_e32 v3, 2, v3
	v_add_u32_e32 v3, v3, v7
	v_mov_b32_e32 v7, 0x7c00
	v_cmp_gt_i32_e32 vcc, 31, v6
	v_cndmask_b32_e32 v3, v7, v3, vcc
	v_mov_b32_e32 v9, 0x7e00
	v_cmp_ne_u32_e32 vcc, 0, v2
	s_movk_i32 s8, 0x40f
	v_cndmask_b32_e32 v2, v7, v9, vcc
	v_cmp_eq_u32_e32 vcc, s8, v6
	v_cndmask_b32_e32 v2, v3, v2, vcc
	v_lshrrev_b32_e32 v3, 16, v1
	s_mov_b32 s8, 0x8000
	v_and_or_b32 v2, v3, s8, v2
	global_store_short v[4:5], v2, off
.LBB7_428:
	s_mov_b64 s[8:9], 0
.LBB7_429:
	s_andn2_b64 vcc, exec, s[8:9]
	s_cbranch_vccnz .LBB7_445
; %bb.430:
	s_cmp_lt_i32 s10, 2
	s_mov_b64 s[8:9], -1
	s_cbranch_scc1 .LBB7_440
; %bb.431:
	s_cmp_lt_i32 s10, 3
	s_cbranch_scc1 .LBB7_437
; %bb.432:
	s_cmp_gt_i32 s10, 3
	s_cbranch_scc0 .LBB7_434
; %bb.433:
	v_trunc_f64_e32 v[2:3], v[0:1]
	s_movk_i32 s8, 0xffe0
	v_ldexp_f64 v[6:7], v[2:3], s8
	s_mov_b32 s8, 0
	s_mov_b32 s9, 0xc1f00000
	v_floor_f64_e32 v[6:7], v[6:7]
	v_fma_f64 v[2:3], v[6:7], s[8:9], v[2:3]
	v_cvt_i32_f64_e32 v7, v[6:7]
	s_mov_b64 s[8:9], 0
	v_cvt_u32_f64_e32 v6, v[2:3]
	global_store_dwordx2 v[4:5], v[6:7], off
.LBB7_434:
	s_andn2_b64 vcc, exec, s[8:9]
	s_cbranch_vccnz .LBB7_436
; %bb.435:
	v_cvt_i32_f64_e32 v2, v[0:1]
	global_store_dword v[4:5], v2, off
.LBB7_436:
	s_mov_b64 s[8:9], 0
.LBB7_437:
	s_andn2_b64 vcc, exec, s[8:9]
	s_cbranch_vccnz .LBB7_439
; %bb.438:
	v_cvt_i32_f64_e32 v2, v[0:1]
	global_store_short v[4:5], v2, off
.LBB7_439:
	s_mov_b64 s[8:9], 0
.LBB7_440:
	s_andn2_b64 vcc, exec, s[8:9]
	s_cbranch_vccnz .LBB7_445
; %bb.441:
	s_cmp_gt_i32 s10, 0
	s_mov_b64 s[8:9], -1
	s_cbranch_scc0 .LBB7_443
; %bb.442:
	v_cvt_i32_f64_e32 v2, v[0:1]
	s_mov_b64 s[8:9], 0
	global_store_byte v[4:5], v2, off
.LBB7_443:
	s_andn2_b64 vcc, exec, s[8:9]
	s_cbranch_vccnz .LBB7_445
; %bb.444:
	v_trunc_f64_e32 v[0:1], v[0:1]
	s_movk_i32 s8, 0xffe0
	v_ldexp_f64 v[2:3], v[0:1], s8
	s_mov_b32 s8, 0
	s_mov_b32 s9, 0xc1f00000
	v_floor_f64_e32 v[2:3], v[2:3]
	v_fma_f64 v[0:1], v[2:3], s[8:9], v[0:1]
	v_cvt_u32_f64_e32 v0, v[0:1]
	global_store_byte v[4:5], v0, off
.LBB7_445:
	s_mov_b64 s[8:9], -1
.LBB7_446:
	s_andn2_b64 vcc, exec, s[8:9]
	s_cbranch_vccnz .LBB7_448
; %bb.447:
	v_add_u32_e32 v8, 0x80, v8
	s_mov_b64 s[8:9], -1
	s_branch .LBB7_561
.LBB7_448:
	s_mov_b64 s[8:9], 0
	s_branch .LBB7_560
.LBB7_449:
	s_mov_b64 s[2:3], -1
                                        ; implicit-def: $vgpr3_vgpr4
.LBB7_450:
	s_mov_b64 s[8:9], 0
.LBB7_451:
	s_and_b64 vcc, exec, s[8:9]
	s_cbranch_vccz .LBB7_455
; %bb.452:
	s_cmp_eq_u32 s12, 29
	s_cbranch_scc0 .LBB7_454
; %bb.453:
	global_load_dwordx2 v[3:4], v[0:1], off
	s_mov_b64 s[0:1], -1
	s_mov_b64 s[2:3], 0
	s_mov_b64 s[8:9], 0
	s_waitcnt vmcnt(0)
	v_cvt_f64_u32_e32 v[4:5], v4
	v_cvt_f64_u32_e32 v[6:7], v3
	v_ldexp_f64 v[4:5], v[4:5], 32
	v_add_f64 v[3:4], v[4:5], v[6:7]
	s_branch .LBB7_456
.LBB7_454:
	s_mov_b64 s[2:3], -1
                                        ; implicit-def: $vgpr3_vgpr4
.LBB7_455:
	s_mov_b64 s[8:9], 0
.LBB7_456:
	s_and_b64 vcc, exec, s[8:9]
	s_cbranch_vccz .LBB7_476
; %bb.457:
	s_cmp_lt_i32 s12, 27
	s_cbranch_scc1 .LBB7_460
; %bb.458:
	s_cmp_gt_i32 s12, 27
	s_cbranch_scc0 .LBB7_461
; %bb.459:
	global_load_dword v3, v[0:1], off
	s_mov_b64 s[0:1], 0
	s_waitcnt vmcnt(0)
	v_cvt_f64_u32_e32 v[3:4], v3
	s_branch .LBB7_462
.LBB7_460:
	s_mov_b64 s[0:1], -1
                                        ; implicit-def: $vgpr3_vgpr4
	s_branch .LBB7_465
.LBB7_461:
	s_mov_b64 s[0:1], -1
                                        ; implicit-def: $vgpr3_vgpr4
.LBB7_462:
	s_andn2_b64 vcc, exec, s[0:1]
	s_cbranch_vccnz .LBB7_464
; %bb.463:
	global_load_ushort v3, v[0:1], off
	s_waitcnt vmcnt(0)
	v_cvt_f64_u32_e32 v[3:4], v3
.LBB7_464:
	s_mov_b64 s[0:1], 0
.LBB7_465:
	s_andn2_b64 vcc, exec, s[0:1]
	s_cbranch_vccnz .LBB7_475
; %bb.466:
	global_load_ubyte v5, v[0:1], off
	s_movk_i32 s0, 0x7f
	s_waitcnt vmcnt(0)
	v_cmp_lt_i16_e32 vcc, s0, v5
	s_mov_b64 s[0:1], 0
	s_and_saveexec_b64 s[8:9], vcc
	s_xor_b64 s[8:9], exec, s[8:9]
	s_cbranch_execz .LBB7_470
; %bb.467:
	s_movk_i32 s0, 0x80
	v_cmp_eq_u16_e32 vcc, s0, v5
	s_mov_b64 s[0:1], -1
	s_and_saveexec_b64 s[10:11], vcc
; %bb.468:
	s_xor_b64 s[0:1], exec, -1
; %bb.469:
	s_or_b64 exec, exec, s[10:11]
	s_and_b64 s[0:1], s[0:1], exec
.LBB7_470:
	s_or_saveexec_b64 s[8:9], s[8:9]
	v_bfrev_b32_e32 v3, 4
	v_mov_b32_e32 v4, 0x7ff80000
	s_xor_b64 exec, exec, s[8:9]
; %bb.471:
	v_cmp_ne_u16_e32 vcc, 0, v5
	v_mov_b32_e32 v3, 0
	s_andn2_b64 s[0:1], s[0:1], exec
	s_and_b64 s[10:11], vcc, exec
	v_mov_b32_e32 v4, 0
	s_or_b64 s[0:1], s[0:1], s[10:11]
; %bb.472:
	s_or_b64 exec, exec, s[8:9]
	s_and_saveexec_b64 s[8:9], s[0:1]
	s_cbranch_execz .LBB7_474
; %bb.473:
	v_and_b32_e32 v4, 0xffff, v5
	v_lshlrev_b32_e32 v3, 24, v5
	v_and_b32_e32 v5, 7, v4
	v_ffbh_u32_e32 v7, v5
	v_min_u32_e32 v7, 32, v7
	v_subrev_u32_e32 v9, 28, v7
	v_bfe_u32 v6, v4, 3, 4
	v_lshlrev_b32_e32 v4, v9, v4
	v_sub_u32_e32 v7, 29, v7
	v_and_b32_e32 v4, 7, v4
	v_cmp_eq_u32_e32 vcc, 0, v6
	v_cndmask_b32_e32 v6, v6, v7, vcc
	v_cndmask_b32_e32 v4, v5, v4, vcc
	v_mov_b32_e32 v5, 0x3b800000
	v_lshlrev_b32_e32 v4, 20, v4
	v_and_b32_e32 v3, 0x80000000, v3
	v_lshl_add_u32 v5, v6, 23, v5
	v_or3_b32 v3, v3, v5, v4
	v_cvt_f64_f32_e32 v[3:4], v3
.LBB7_474:
	s_or_b64 exec, exec, s[8:9]
.LBB7_475:
	s_mov_b64 s[0:1], -1
.LBB7_476:
	s_mov_b64 s[8:9], 0
.LBB7_477:
	s_and_b64 vcc, exec, s[8:9]
	s_cbranch_vccz .LBB7_510
; %bb.478:
	s_cmp_gt_i32 s12, 22
	s_cbranch_scc0 .LBB7_490
; %bb.479:
	s_cmp_lt_i32 s12, 24
	s_cbranch_scc1 .LBB7_491
; %bb.480:
	s_cmp_gt_i32 s12, 24
	s_cbranch_scc0 .LBB7_492
; %bb.481:
	global_load_ubyte v5, v[0:1], off
	s_movk_i32 s0, 0x7f
	s_waitcnt vmcnt(0)
	v_cmp_lt_i16_e32 vcc, s0, v5
	s_mov_b64 s[0:1], 0
	s_and_saveexec_b64 s[8:9], vcc
	s_xor_b64 s[8:9], exec, s[8:9]
	s_cbranch_execz .LBB7_485
; %bb.482:
	s_movk_i32 s0, 0x80
	v_cmp_eq_u16_e32 vcc, s0, v5
	s_mov_b64 s[0:1], -1
	s_and_saveexec_b64 s[10:11], vcc
; %bb.483:
	s_xor_b64 s[0:1], exec, -1
; %bb.484:
	s_or_b64 exec, exec, s[10:11]
	s_and_b64 s[0:1], s[0:1], exec
.LBB7_485:
	s_or_saveexec_b64 s[8:9], s[8:9]
	v_bfrev_b32_e32 v3, 4
	v_mov_b32_e32 v4, 0x7ff80000
	s_xor_b64 exec, exec, s[8:9]
; %bb.486:
	v_cmp_ne_u16_e32 vcc, 0, v5
	v_mov_b32_e32 v3, 0
	s_andn2_b64 s[0:1], s[0:1], exec
	s_and_b64 s[10:11], vcc, exec
	v_mov_b32_e32 v4, 0
	s_or_b64 s[0:1], s[0:1], s[10:11]
; %bb.487:
	s_or_b64 exec, exec, s[8:9]
	s_and_saveexec_b64 s[8:9], s[0:1]
	s_cbranch_execz .LBB7_489
; %bb.488:
	v_and_b32_e32 v4, 0xffff, v5
	v_lshlrev_b32_e32 v3, 24, v5
	v_and_b32_e32 v5, 3, v4
	v_ffbh_u32_e32 v7, v5
	v_min_u32_e32 v7, 32, v7
	v_subrev_u32_e32 v9, 29, v7
	v_bfe_u32 v6, v4, 2, 5
	v_lshlrev_b32_e32 v4, v9, v4
	v_sub_u32_e32 v7, 30, v7
	v_and_b32_e32 v4, 3, v4
	v_cmp_eq_u32_e32 vcc, 0, v6
	v_cndmask_b32_e32 v6, v6, v7, vcc
	v_cndmask_b32_e32 v4, v5, v4, vcc
	v_mov_b32_e32 v5, 0x37800000
	v_lshlrev_b32_e32 v4, 21, v4
	v_and_b32_e32 v3, 0x80000000, v3
	v_lshl_add_u32 v5, v6, 23, v5
	v_or3_b32 v3, v3, v5, v4
	v_cvt_f64_f32_e32 v[3:4], v3
.LBB7_489:
	s_or_b64 exec, exec, s[8:9]
	s_mov_b64 s[0:1], 0
	s_branch .LBB7_493
.LBB7_490:
	s_mov_b64 s[8:9], -1
                                        ; implicit-def: $vgpr3_vgpr4
	s_branch .LBB7_499
.LBB7_491:
	s_mov_b64 s[0:1], -1
                                        ; implicit-def: $vgpr3_vgpr4
	s_branch .LBB7_496
.LBB7_492:
	s_mov_b64 s[0:1], -1
                                        ; implicit-def: $vgpr3_vgpr4
.LBB7_493:
	s_and_b64 vcc, exec, s[0:1]
	s_cbranch_vccz .LBB7_495
; %bb.494:
	global_load_ubyte v3, v[0:1], off
	s_mov_b32 s0, 0x7f800000
	s_waitcnt vmcnt(0)
	v_lshlrev_b32_e32 v3, 24, v3
	v_and_b32_e32 v4, 0x7f000000, v3
	v_ffbh_u32_e32 v5, v4
	v_min_u32_e32 v5, 32, v5
	v_sub_u32_e64 v5, v5, 4 clamp
	v_lshlrev_b32_e32 v7, v5, v4
	v_lshlrev_b32_e32 v5, 23, v5
	v_lshrrev_b32_e32 v7, 4, v7
	v_add_u32_e32 v6, 0x1000000, v4
	v_sub_u32_e32 v5, v7, v5
	v_ashrrev_i32_e32 v6, 8, v6
	v_add_u32_e32 v5, 0x3c000000, v5
	v_and_or_b32 v5, v6, s0, v5
	v_cmp_ne_u32_e32 vcc, 0, v4
	v_cndmask_b32_e32 v4, 0, v5, vcc
	s_brev_b32 s0, 1
	v_and_or_b32 v3, v3, s0, v4
	v_cvt_f64_f32_e32 v[3:4], v3
.LBB7_495:
	s_mov_b64 s[0:1], 0
.LBB7_496:
	s_andn2_b64 vcc, exec, s[0:1]
	s_cbranch_vccnz .LBB7_498
; %bb.497:
	global_load_ubyte v3, v[0:1], off
	s_movk_i32 s0, 0x7f00
	s_brev_b32 s1, 16
	s_waitcnt vmcnt(0)
	v_lshlrev_b16_e32 v4, 8, v3
	v_lshlrev_b32_e32 v3, 25, v3
	v_lshrrev_b32_e32 v5, 4, v3
	v_and_or_b32 v6, v4, s0, 0.5
	v_or_b32_e32 v5, 0x70000000, v5
	v_add_f32_e32 v6, -0.5, v6
	v_mul_f32_e32 v5, 0x7800000, v5
	v_cmp_gt_u32_e32 vcc, s1, v3
	v_bfe_i32 v4, v4, 0, 16
	v_cndmask_b32_e32 v3, v5, v6, vcc
	s_brev_b32 s0, 1
	v_and_or_b32 v3, v4, s0, v3
	v_cvt_f64_f32_e32 v[3:4], v3
.LBB7_498:
	s_mov_b64 s[8:9], 0
	s_mov_b64 s[0:1], -1
.LBB7_499:
	s_andn2_b64 vcc, exec, s[8:9]
	s_cbranch_vccnz .LBB7_510
; %bb.500:
	s_cmp_gt_i32 s12, 14
	s_cbranch_scc0 .LBB7_503
; %bb.501:
	s_cmp_eq_u32 s12, 15
	s_cbranch_scc0 .LBB7_504
; %bb.502:
	global_load_ushort v3, v[0:1], off
	s_mov_b64 s[0:1], -1
	s_mov_b64 s[2:3], 0
	s_waitcnt vmcnt(0)
	v_lshlrev_b32_e32 v3, 16, v3
	v_cvt_f64_f32_e32 v[3:4], v3
	s_branch .LBB7_505
.LBB7_503:
	s_mov_b64 s[8:9], -1
                                        ; implicit-def: $vgpr3_vgpr4
	s_branch .LBB7_506
.LBB7_504:
	s_mov_b64 s[2:3], -1
                                        ; implicit-def: $vgpr3_vgpr4
.LBB7_505:
	s_mov_b64 s[8:9], 0
.LBB7_506:
	s_and_b64 vcc, exec, s[8:9]
	s_cbranch_vccz .LBB7_510
; %bb.507:
	s_cmp_eq_u32 s12, 11
	s_cbranch_scc0 .LBB7_509
; %bb.508:
	global_load_ubyte v4, v[0:1], off
	v_mov_b32_e32 v5, 0x3ff00000
	s_waitcnt vmcnt(1)
	v_mov_b32_e32 v3, 0
	s_mov_b64 s[0:1], -1
	s_mov_b64 s[2:3], 0
	s_waitcnt vmcnt(0)
	v_cmp_ne_u16_e32 vcc, 0, v4
	v_cndmask_b32_e32 v4, 0, v5, vcc
	s_branch .LBB7_510
.LBB7_509:
	s_mov_b64 s[2:3], -1
                                        ; implicit-def: $vgpr3_vgpr4
.LBB7_510:
	s_branch .LBB7_303
.LBB7_511:
	s_cmp_lt_i32 s12, 5
	s_cbranch_scc1 .LBB7_516
; %bb.512:
	s_cmp_lt_i32 s12, 8
	s_cbranch_scc1 .LBB7_517
; %bb.513:
	;; [unrolled: 3-line block ×3, first 2 shown]
	s_cmp_gt_i32 s12, 9
	s_cbranch_scc0 .LBB7_519
; %bb.515:
	global_load_dwordx2 v[3:4], v[0:1], off
	s_mov_b64 s[0:1], 0
	s_branch .LBB7_520
.LBB7_516:
	s_mov_b64 s[0:1], -1
                                        ; implicit-def: $vgpr3_vgpr4
	s_branch .LBB7_538
.LBB7_517:
	s_mov_b64 s[0:1], -1
                                        ; implicit-def: $vgpr3_vgpr4
	s_branch .LBB7_526
.LBB7_518:
	s_mov_b64 s[0:1], -1
                                        ; implicit-def: $vgpr3_vgpr4
	s_branch .LBB7_523
.LBB7_519:
	s_mov_b64 s[0:1], -1
                                        ; implicit-def: $vgpr3_vgpr4
.LBB7_520:
	s_andn2_b64 vcc, exec, s[0:1]
	s_cbranch_vccnz .LBB7_522
; %bb.521:
	global_load_dword v3, v[0:1], off
	s_waitcnt vmcnt(0)
	v_cvt_f64_f32_e32 v[3:4], v3
.LBB7_522:
	s_mov_b64 s[0:1], 0
.LBB7_523:
	s_andn2_b64 vcc, exec, s[0:1]
	s_cbranch_vccnz .LBB7_525
; %bb.524:
	global_load_dword v3, v[0:1], off
	s_waitcnt vmcnt(0)
	v_cvt_f32_f16_e32 v3, v3
	v_cvt_f64_f32_e32 v[3:4], v3
.LBB7_525:
	s_mov_b64 s[0:1], 0
.LBB7_526:
	s_andn2_b64 vcc, exec, s[0:1]
	s_cbranch_vccnz .LBB7_537
; %bb.527:
	s_cmp_lt_i32 s12, 6
	s_cbranch_scc1 .LBB7_530
; %bb.528:
	s_cmp_gt_i32 s12, 6
	s_cbranch_scc0 .LBB7_531
; %bb.529:
	global_load_dwordx2 v[3:4], v[0:1], off
	s_mov_b64 s[0:1], 0
	s_branch .LBB7_532
.LBB7_530:
	s_mov_b64 s[0:1], -1
                                        ; implicit-def: $vgpr3_vgpr4
	s_branch .LBB7_535
.LBB7_531:
	s_mov_b64 s[0:1], -1
                                        ; implicit-def: $vgpr3_vgpr4
.LBB7_532:
	s_andn2_b64 vcc, exec, s[0:1]
	s_cbranch_vccnz .LBB7_534
; %bb.533:
	global_load_dword v3, v[0:1], off
	s_waitcnt vmcnt(0)
	v_cvt_f64_f32_e32 v[3:4], v3
.LBB7_534:
	s_mov_b64 s[0:1], 0
.LBB7_535:
	s_andn2_b64 vcc, exec, s[0:1]
	s_cbranch_vccnz .LBB7_537
; %bb.536:
	global_load_ushort v3, v[0:1], off
	s_waitcnt vmcnt(0)
	v_cvt_f32_f16_e32 v3, v3
	v_cvt_f64_f32_e32 v[3:4], v3
.LBB7_537:
	s_mov_b64 s[0:1], 0
.LBB7_538:
	s_andn2_b64 vcc, exec, s[0:1]
	s_cbranch_vccnz .LBB7_558
; %bb.539:
	s_cmp_lt_i32 s12, 2
	s_cbranch_scc1 .LBB7_543
; %bb.540:
	s_cmp_lt_i32 s12, 3
	s_cbranch_scc1 .LBB7_544
; %bb.541:
	s_cmp_gt_i32 s12, 3
	s_cbranch_scc0 .LBB7_545
; %bb.542:
	global_load_dwordx2 v[3:4], v[0:1], off
	s_mov_b64 s[0:1], 0
	s_waitcnt vmcnt(0)
	v_cvt_f64_i32_e32 v[4:5], v4
	v_cvt_f64_u32_e32 v[6:7], v3
	v_ldexp_f64 v[4:5], v[4:5], 32
	v_add_f64 v[3:4], v[4:5], v[6:7]
	s_branch .LBB7_546
.LBB7_543:
	s_mov_b64 s[0:1], -1
                                        ; implicit-def: $vgpr3_vgpr4
	s_branch .LBB7_552
.LBB7_544:
	s_mov_b64 s[0:1], -1
                                        ; implicit-def: $vgpr3_vgpr4
	s_branch .LBB7_549
.LBB7_545:
	s_mov_b64 s[0:1], -1
                                        ; implicit-def: $vgpr3_vgpr4
.LBB7_546:
	s_andn2_b64 vcc, exec, s[0:1]
	s_cbranch_vccnz .LBB7_548
; %bb.547:
	global_load_dword v3, v[0:1], off
	s_waitcnt vmcnt(0)
	v_cvt_f64_i32_e32 v[3:4], v3
.LBB7_548:
	s_mov_b64 s[0:1], 0
.LBB7_549:
	s_andn2_b64 vcc, exec, s[0:1]
	s_cbranch_vccnz .LBB7_551
; %bb.550:
	global_load_sshort v3, v[0:1], off
	s_waitcnt vmcnt(0)
	v_cvt_f64_i32_e32 v[3:4], v3
.LBB7_551:
	s_mov_b64 s[0:1], 0
.LBB7_552:
	s_andn2_b64 vcc, exec, s[0:1]
	s_cbranch_vccnz .LBB7_558
; %bb.553:
	s_cmp_gt_i32 s12, 0
	s_cbranch_scc0 .LBB7_555
; %bb.554:
	global_load_sbyte v3, v[0:1], off
	s_mov_b64 s[0:1], 0
	s_waitcnt vmcnt(0)
	v_cvt_f64_i32_e32 v[3:4], v3
	s_branch .LBB7_556
.LBB7_555:
	s_mov_b64 s[0:1], -1
                                        ; implicit-def: $vgpr3_vgpr4
.LBB7_556:
	s_andn2_b64 vcc, exec, s[0:1]
	s_cbranch_vccnz .LBB7_558
; %bb.557:
	global_load_ubyte v0, v[0:1], off
	s_waitcnt vmcnt(0)
	v_cvt_f64_u32_e32 v[3:4], v0
.LBB7_558:
	s_branch .LBB7_304
.LBB7_559:
	s_mov_b64 s[8:9], 0
	s_mov_b64 s[0:1], s[52:53]
.LBB7_560:
                                        ; implicit-def: $vgpr8
.LBB7_561:
	s_andn2_b64 s[10:11], s[52:53], exec
	s_and_b64 s[0:1], s[0:1], exec
	s_or_b64 s[60:61], s[10:11], s[0:1]
	s_andn2_b64 s[0:1], s[54:55], exec
	s_and_b64 s[2:3], s[2:3], exec
	s_or_b64 s[58:59], s[0:1], s[2:3]
	s_orn2_b64 s[0:1], s[8:9], exec
.LBB7_562:
	s_or_b64 exec, exec, s[62:63]
	s_mov_b64 s[2:3], 0
	s_mov_b64 s[8:9], 0
	;; [unrolled: 1-line block ×3, first 2 shown]
                                        ; implicit-def: $vgpr0_vgpr1
                                        ; implicit-def: $vgpr2
                                        ; implicit-def: $vgpr3_vgpr4
	s_and_saveexec_b64 s[62:63], s[0:1]
	s_cbranch_execz .LBB7_947
; %bb.563:
	v_cmp_gt_i32_e32 vcc, s70, v8
	s_mov_b64 s[2:3], -1
	s_mov_b64 s[66:67], s[58:59]
	s_mov_b64 s[68:69], s[60:61]
	s_and_saveexec_b64 s[64:65], vcc
	s_cbranch_execz .LBB7_847
; %bb.564:
	s_andn2_b64 vcc, exec, s[40:41]
	s_cbranch_vccnz .LBB7_569
; %bb.565:
	s_andn2_b64 vcc, exec, s[50:51]
	s_cbranch_vccnz .LBB7_570
; %bb.566:
	s_add_i32 s76, s75, 1
	s_cmp_eq_u32 s72, 2
	s_cbranch_scc1 .LBB7_571
; %bb.567:
	s_and_b32 s71, s76, 28
	v_mov_b32_e32 v0, 0
	s_mov_b32 s77, 0
	s_mov_b64 s[66:67], s[34:35]
	s_mov_b64 s[68:69], s[48:49]
	v_mov_b32_e32 v2, 0
	v_mov_b32_e32 v1, v8
.LBB7_568:                              ; =>This Inner Loop Header: Depth=1
	s_load_dwordx8 s[16:23], s[66:67], 0x4
	s_load_dwordx4 s[0:3], s[66:67], 0x24
	s_load_dwordx8 s[8:15], s[68:69], 0x0
	s_add_u32 s66, s66, 48
	s_addc_u32 s67, s67, 0
	s_waitcnt vmcnt(0) lgkmcnt(0)
	v_mul_hi_u32 v3, s17, v1
	s_add_i32 s77, s77, 4
	s_add_u32 s68, s68, 32
	s_addc_u32 s69, s69, 0
	v_add_u32_e32 v3, v1, v3
	v_lshrrev_b32_e32 v3, s18, v3
	v_mul_lo_u32 v4, v3, s16
	v_mul_hi_u32 v5, s20, v3
	s_cmp_eq_u32 s71, s77
	v_sub_u32_e32 v1, v1, v4
	v_add_u32_e32 v4, v3, v5
	v_mul_lo_u32 v5, v1, s8
	v_mul_lo_u32 v6, v1, s9
	v_lshrrev_b32_e32 v1, s21, v4
	v_mul_lo_u32 v4, v1, s19
	v_mul_hi_u32 v7, s23, v1
	v_sub_u32_e32 v3, v3, v4
	v_add_u32_e32 v4, v1, v7
	v_lshrrev_b32_e32 v4, s0, v4
	v_mul_hi_u32 v9, s2, v4
	v_mul_lo_u32 v10, v4, s22
	v_mul_lo_u32 v7, v3, s10
	;; [unrolled: 1-line block ×3, first 2 shown]
	v_sub_u32_e32 v10, v1, v10
	v_add_u32_e32 v1, v4, v9
	v_lshrrev_b32_e32 v1, s3, v1
	v_mul_lo_u32 v9, v1, s1
	v_mul_lo_u32 v11, v10, s12
	;; [unrolled: 1-line block ×3, first 2 shown]
	v_add3_u32 v2, v5, v2, v7
	v_sub_u32_e32 v4, v4, v9
	v_mul_lo_u32 v9, v4, s14
	v_mul_lo_u32 v4, v4, s15
	v_add3_u32 v0, v6, v0, v3
	v_add3_u32 v2, v11, v2, v9
	;; [unrolled: 1-line block ×3, first 2 shown]
	s_cbranch_scc0 .LBB7_568
	s_branch .LBB7_572
.LBB7_569:
	s_mov_b64 s[0:1], -1
                                        ; implicit-def: $vgpr2
                                        ; implicit-def: $vgpr0
	s_branch .LBB7_576
.LBB7_570:
	v_mov_b32_e32 v2, 0
	v_mov_b32_e32 v0, 0
	s_branch .LBB7_575
.LBB7_571:
	s_mov_b32 s71, 0
	v_mov_b32_e32 v2, 0
	v_mov_b32_e32 v0, 0
	;; [unrolled: 1-line block ×3, first 2 shown]
.LBB7_572:
	s_and_b32 s8, s76, 3
	s_cmp_eq_u32 s8, 0
	s_cbranch_scc1 .LBB7_575
; %bb.573:
	s_lshl_b32 s0, s71, 3
	s_add_u32 s0, s34, s0
	s_addc_u32 s1, s35, 0
	s_add_u32 s0, s0, 0xc4
	s_addc_u32 s1, s1, 0
	s_mul_i32 s2, s71, 12
	s_add_u32 s2, s34, s2
	s_addc_u32 s3, s35, 0
.LBB7_574:                              ; =>This Inner Loop Header: Depth=1
	s_load_dwordx2 s[10:11], s[2:3], 0x4
	s_load_dword s9, s[2:3], 0xc
	s_load_dwordx2 s[12:13], s[0:1], 0x0
	s_add_u32 s2, s2, 12
	s_addc_u32 s3, s3, 0
	s_waitcnt vmcnt(0) lgkmcnt(0)
	v_mul_hi_u32 v3, s11, v1
	s_add_u32 s0, s0, 8
	s_addc_u32 s1, s1, 0
	s_add_i32 s8, s8, -1
	v_add_u32_e32 v3, v1, v3
	v_lshrrev_b32_e32 v4, s9, v3
	v_mul_lo_u32 v3, v4, s10
	s_cmp_lg_u32 s8, 0
	v_sub_u32_e32 v1, v1, v3
	v_mad_u64_u32 v[2:3], s[10:11], v1, s12, v[2:3]
	v_mad_u64_u32 v[0:1], s[10:11], v1, s13, v[0:1]
	v_mov_b32_e32 v1, v4
	s_cbranch_scc1 .LBB7_574
.LBB7_575:
	s_mov_b64 s[0:1], 0
.LBB7_576:
	s_andn2_b64 vcc, exec, s[0:1]
	s_cbranch_vccnz .LBB7_579
; %bb.577:
	s_waitcnt lgkmcnt(0)
	v_mul_hi_u32 v0, s37, v8
	s_andn2_b64 vcc, exec, s[46:47]
	v_add_u32_e32 v0, v8, v0
	v_lshrrev_b32_e32 v1, s38, v0
	v_mul_lo_u32 v0, v1, s36
	v_sub_u32_e32 v0, v8, v0
	v_mul_lo_u32 v2, v0, s28
	v_mul_lo_u32 v0, v0, s29
	s_cbranch_vccnz .LBB7_579
; %bb.578:
	s_waitcnt vmcnt(0)
	v_mul_hi_u32 v3, s44, v1
	v_add_u32_e32 v3, v1, v3
	v_lshrrev_b32_e32 v3, s45, v3
	v_mul_lo_u32 v3, v3, s39
	v_sub_u32_e32 v1, v1, v3
	v_mad_u64_u32 v[2:3], s[0:1], v1, s30, v[2:3]
	v_mad_u64_u32 v[0:1], s[0:1], v1, s31, v[0:1]
.LBB7_579:
	s_waitcnt lgkmcnt(0)
	v_mov_b32_e32 v1, s27
	s_and_b32 s12, 0xffff, s74
	v_add_co_u32_e32 v0, vcc, s26, v0
	s_cmp_lt_i32 s12, 11
	v_addc_co_u32_e32 v1, vcc, 0, v1, vcc
	s_cbranch_scc1 .LBB7_586
; %bb.580:
	s_cmp_gt_i32 s12, 25
	s_cbranch_scc0 .LBB7_587
; %bb.581:
	s_cmp_gt_i32 s12, 28
	s_cbranch_scc0 .LBB7_588
	;; [unrolled: 3-line block ×4, first 2 shown]
; %bb.584:
	s_cmp_eq_u32 s12, 46
	s_mov_b64 s[8:9], 0
	s_cbranch_scc0 .LBB7_595
; %bb.585:
	global_load_dword v3, v[0:1], off
	s_mov_b64 s[0:1], -1
	s_mov_b64 s[2:3], 0
	s_waitcnt vmcnt(0)
	v_lshlrev_b32_e32 v3, 16, v3
	v_cvt_f64_f32_e32 v[3:4], v3
	s_branch .LBB7_596
.LBB7_586:
	s_mov_b64 s[8:9], -1
	s_mov_b64 s[0:1], 0
                                        ; implicit-def: $vgpr3_vgpr4
	s_mov_b64 s[2:3], s[58:59]
	s_branch .LBB7_661
.LBB7_587:
	s_mov_b64 s[8:9], -1
	s_mov_b64 s[0:1], 0
	s_mov_b64 s[2:3], s[58:59]
                                        ; implicit-def: $vgpr3_vgpr4
	s_branch .LBB7_627
.LBB7_588:
	s_mov_b64 s[8:9], -1
	s_mov_b64 s[0:1], 0
	s_mov_b64 s[2:3], s[58:59]
                                        ; implicit-def: $vgpr3_vgpr4
	s_branch .LBB7_606
.LBB7_589:
	s_mov_b64 s[8:9], -1
	s_mov_b64 s[0:1], 0
	s_mov_b64 s[2:3], s[58:59]
                                        ; implicit-def: $vgpr3_vgpr4
	s_branch .LBB7_601
.LBB7_590:
	s_andn2_saveexec_b64 s[12:13], s[12:13]
	s_cbranch_execz .LBB7_359
.LBB7_591:
	s_mov_b32 s16, 0x46000000
	v_add_f32_e64 v3, |v2|, s16
	v_and_b32_e32 v3, 0xff, v3
	v_cmp_ne_u32_e32 vcc, 0, v3
	s_andn2_b64 s[10:11], s[10:11], exec
	s_and_b64 s[16:17], vcc, exec
	s_or_b64 s[10:11], s[10:11], s[16:17]
	s_or_b64 exec, exec, s[12:13]
	v_mov_b32_e32 v6, 0
	s_and_saveexec_b64 s[12:13], s[10:11]
	s_cbranch_execnz .LBB7_360
	s_branch .LBB7_361
.LBB7_592:
	s_mov_b64 s[8:9], -1
	s_mov_b64 s[0:1], 0
	s_mov_b64 s[2:3], s[58:59]
                                        ; implicit-def: $vgpr3_vgpr4
	s_branch .LBB7_596
.LBB7_593:
	s_andn2_saveexec_b64 s[12:13], s[12:13]
	s_cbranch_execz .LBB7_372
.LBB7_594:
	s_mov_b32 s16, 0x42800000
	v_add_f32_e64 v3, |v2|, s16
	v_and_b32_e32 v3, 0xff, v3
	v_cmp_ne_u32_e32 vcc, 0, v3
	s_andn2_b64 s[10:11], s[10:11], exec
	s_and_b64 s[16:17], vcc, exec
	s_or_b64 s[10:11], s[10:11], s[16:17]
	s_or_b64 exec, exec, s[12:13]
	v_mov_b32_e32 v6, 0
	s_and_saveexec_b64 s[12:13], s[10:11]
	s_cbranch_execnz .LBB7_373
	s_branch .LBB7_374
.LBB7_595:
	s_mov_b64 s[2:3], -1
                                        ; implicit-def: $vgpr3_vgpr4
	s_mov_b64 s[0:1], 0
.LBB7_596:
	s_and_b64 vcc, exec, s[8:9]
	s_cbranch_vccz .LBB7_600
; %bb.597:
	s_cmp_eq_u32 s12, 44
	s_cbranch_scc0 .LBB7_599
; %bb.598:
	global_load_ubyte v5, v[0:1], off
	s_movk_i32 s2, 0xff
	v_bfrev_b32_e32 v6, 4
	v_mov_b32_e32 v7, 0x7ff80000
	v_bfrev_b32_e32 v9, 28
	s_mov_b64 s[0:1], -1
	s_waitcnt vmcnt(0)
	v_lshlrev_b32_e32 v3, 23, v5
	v_cvt_f64_f32_e32 v[3:4], v3
	v_cmp_ne_u32_e32 vcc, s2, v5
	s_mov_b64 s[2:3], 0
	v_cndmask_b32_e32 v3, v6, v3, vcc
	v_cndmask_b32_e32 v4, v7, v4, vcc
	v_cmp_ne_u32_e32 vcc, 0, v5
	v_cndmask_b32_e32 v4, v9, v4, vcc
	v_cndmask_b32_e32 v3, 0, v3, vcc
	s_branch .LBB7_600
.LBB7_599:
	s_mov_b64 s[2:3], -1
                                        ; implicit-def: $vgpr3_vgpr4
.LBB7_600:
	s_mov_b64 s[8:9], 0
.LBB7_601:
	s_and_b64 vcc, exec, s[8:9]
	s_cbranch_vccz .LBB7_605
; %bb.602:
	s_cmp_eq_u32 s12, 29
	s_cbranch_scc0 .LBB7_604
; %bb.603:
	global_load_dwordx2 v[3:4], v[0:1], off
	s_mov_b64 s[0:1], -1
	s_mov_b64 s[2:3], 0
	s_mov_b64 s[8:9], 0
	s_waitcnt vmcnt(0)
	v_cvt_f64_u32_e32 v[4:5], v4
	v_cvt_f64_u32_e32 v[6:7], v3
	v_ldexp_f64 v[4:5], v[4:5], 32
	v_add_f64 v[3:4], v[4:5], v[6:7]
	s_branch .LBB7_606
.LBB7_604:
	s_mov_b64 s[2:3], -1
                                        ; implicit-def: $vgpr3_vgpr4
.LBB7_605:
	s_mov_b64 s[8:9], 0
.LBB7_606:
	s_and_b64 vcc, exec, s[8:9]
	s_cbranch_vccz .LBB7_626
; %bb.607:
	s_cmp_lt_i32 s12, 27
	s_cbranch_scc1 .LBB7_610
; %bb.608:
	s_cmp_gt_i32 s12, 27
	s_cbranch_scc0 .LBB7_611
; %bb.609:
	global_load_dword v3, v[0:1], off
	s_mov_b64 s[0:1], 0
	s_waitcnt vmcnt(0)
	v_cvt_f64_u32_e32 v[3:4], v3
	s_branch .LBB7_612
.LBB7_610:
	s_mov_b64 s[0:1], -1
                                        ; implicit-def: $vgpr3_vgpr4
	s_branch .LBB7_615
.LBB7_611:
	s_mov_b64 s[0:1], -1
                                        ; implicit-def: $vgpr3_vgpr4
.LBB7_612:
	s_andn2_b64 vcc, exec, s[0:1]
	s_cbranch_vccnz .LBB7_614
; %bb.613:
	global_load_ushort v3, v[0:1], off
	s_waitcnt vmcnt(0)
	v_cvt_f64_u32_e32 v[3:4], v3
.LBB7_614:
	s_mov_b64 s[0:1], 0
.LBB7_615:
	s_andn2_b64 vcc, exec, s[0:1]
	s_cbranch_vccnz .LBB7_625
; %bb.616:
	global_load_ubyte v5, v[0:1], off
	s_movk_i32 s0, 0x7f
	s_waitcnt vmcnt(0)
	v_cmp_lt_i16_e32 vcc, s0, v5
	s_mov_b64 s[0:1], 0
	s_and_saveexec_b64 s[8:9], vcc
	s_xor_b64 s[8:9], exec, s[8:9]
	s_cbranch_execz .LBB7_620
; %bb.617:
	s_movk_i32 s0, 0x80
	v_cmp_eq_u16_e32 vcc, s0, v5
	s_mov_b64 s[0:1], -1
	s_and_saveexec_b64 s[10:11], vcc
; %bb.618:
	s_xor_b64 s[0:1], exec, -1
; %bb.619:
	s_or_b64 exec, exec, s[10:11]
	s_and_b64 s[0:1], s[0:1], exec
.LBB7_620:
	s_or_saveexec_b64 s[8:9], s[8:9]
	v_bfrev_b32_e32 v3, 4
	v_mov_b32_e32 v4, 0x7ff80000
	s_xor_b64 exec, exec, s[8:9]
; %bb.621:
	v_cmp_ne_u16_e32 vcc, 0, v5
	v_mov_b32_e32 v3, 0
	s_andn2_b64 s[0:1], s[0:1], exec
	s_and_b64 s[10:11], vcc, exec
	v_mov_b32_e32 v4, 0
	s_or_b64 s[0:1], s[0:1], s[10:11]
; %bb.622:
	s_or_b64 exec, exec, s[8:9]
	s_and_saveexec_b64 s[8:9], s[0:1]
	s_cbranch_execz .LBB7_624
; %bb.623:
	v_and_b32_e32 v4, 0xffff, v5
	v_lshlrev_b32_e32 v3, 24, v5
	v_and_b32_e32 v5, 7, v4
	v_ffbh_u32_e32 v7, v5
	v_min_u32_e32 v7, 32, v7
	v_subrev_u32_e32 v9, 28, v7
	v_bfe_u32 v6, v4, 3, 4
	v_lshlrev_b32_e32 v4, v9, v4
	v_sub_u32_e32 v7, 29, v7
	v_and_b32_e32 v4, 7, v4
	v_cmp_eq_u32_e32 vcc, 0, v6
	v_cndmask_b32_e32 v6, v6, v7, vcc
	v_cndmask_b32_e32 v4, v5, v4, vcc
	v_mov_b32_e32 v5, 0x3b800000
	v_lshlrev_b32_e32 v4, 20, v4
	v_and_b32_e32 v3, 0x80000000, v3
	v_lshl_add_u32 v5, v6, 23, v5
	v_or3_b32 v3, v3, v5, v4
	v_cvt_f64_f32_e32 v[3:4], v3
.LBB7_624:
	s_or_b64 exec, exec, s[8:9]
.LBB7_625:
	s_mov_b64 s[0:1], -1
.LBB7_626:
	s_mov_b64 s[8:9], 0
.LBB7_627:
	s_and_b64 vcc, exec, s[8:9]
	s_cbranch_vccz .LBB7_660
; %bb.628:
	s_cmp_gt_i32 s12, 22
	s_cbranch_scc0 .LBB7_640
; %bb.629:
	s_cmp_lt_i32 s12, 24
	s_cbranch_scc1 .LBB7_641
; %bb.630:
	s_cmp_gt_i32 s12, 24
	s_cbranch_scc0 .LBB7_642
; %bb.631:
	global_load_ubyte v5, v[0:1], off
	s_movk_i32 s0, 0x7f
	s_waitcnt vmcnt(0)
	v_cmp_lt_i16_e32 vcc, s0, v5
	s_mov_b64 s[0:1], 0
	s_and_saveexec_b64 s[8:9], vcc
	s_xor_b64 s[8:9], exec, s[8:9]
	s_cbranch_execz .LBB7_635
; %bb.632:
	s_movk_i32 s0, 0x80
	v_cmp_eq_u16_e32 vcc, s0, v5
	s_mov_b64 s[0:1], -1
	s_and_saveexec_b64 s[10:11], vcc
; %bb.633:
	s_xor_b64 s[0:1], exec, -1
; %bb.634:
	s_or_b64 exec, exec, s[10:11]
	s_and_b64 s[0:1], s[0:1], exec
.LBB7_635:
	s_or_saveexec_b64 s[8:9], s[8:9]
	v_bfrev_b32_e32 v3, 4
	v_mov_b32_e32 v4, 0x7ff80000
	s_xor_b64 exec, exec, s[8:9]
; %bb.636:
	v_cmp_ne_u16_e32 vcc, 0, v5
	v_mov_b32_e32 v3, 0
	s_andn2_b64 s[0:1], s[0:1], exec
	s_and_b64 s[10:11], vcc, exec
	v_mov_b32_e32 v4, 0
	s_or_b64 s[0:1], s[0:1], s[10:11]
; %bb.637:
	s_or_b64 exec, exec, s[8:9]
	s_and_saveexec_b64 s[8:9], s[0:1]
	s_cbranch_execz .LBB7_639
; %bb.638:
	v_and_b32_e32 v4, 0xffff, v5
	v_lshlrev_b32_e32 v3, 24, v5
	v_and_b32_e32 v5, 3, v4
	v_ffbh_u32_e32 v7, v5
	v_min_u32_e32 v7, 32, v7
	v_subrev_u32_e32 v9, 29, v7
	v_bfe_u32 v6, v4, 2, 5
	v_lshlrev_b32_e32 v4, v9, v4
	v_sub_u32_e32 v7, 30, v7
	v_and_b32_e32 v4, 3, v4
	v_cmp_eq_u32_e32 vcc, 0, v6
	v_cndmask_b32_e32 v6, v6, v7, vcc
	v_cndmask_b32_e32 v4, v5, v4, vcc
	v_mov_b32_e32 v5, 0x37800000
	v_lshlrev_b32_e32 v4, 21, v4
	v_and_b32_e32 v3, 0x80000000, v3
	v_lshl_add_u32 v5, v6, 23, v5
	v_or3_b32 v3, v3, v5, v4
	v_cvt_f64_f32_e32 v[3:4], v3
.LBB7_639:
	s_or_b64 exec, exec, s[8:9]
	s_mov_b64 s[0:1], 0
	s_branch .LBB7_643
.LBB7_640:
	s_mov_b64 s[8:9], -1
                                        ; implicit-def: $vgpr3_vgpr4
	s_branch .LBB7_649
.LBB7_641:
	s_mov_b64 s[0:1], -1
                                        ; implicit-def: $vgpr3_vgpr4
	s_branch .LBB7_646
.LBB7_642:
	s_mov_b64 s[0:1], -1
                                        ; implicit-def: $vgpr3_vgpr4
.LBB7_643:
	s_and_b64 vcc, exec, s[0:1]
	s_cbranch_vccz .LBB7_645
; %bb.644:
	global_load_ubyte v3, v[0:1], off
	s_mov_b32 s0, 0x7f800000
	s_waitcnt vmcnt(0)
	v_lshlrev_b32_e32 v3, 24, v3
	v_and_b32_e32 v4, 0x7f000000, v3
	v_ffbh_u32_e32 v5, v4
	v_min_u32_e32 v5, 32, v5
	v_sub_u32_e64 v5, v5, 4 clamp
	v_lshlrev_b32_e32 v7, v5, v4
	v_lshlrev_b32_e32 v5, 23, v5
	v_lshrrev_b32_e32 v7, 4, v7
	v_add_u32_e32 v6, 0x1000000, v4
	v_sub_u32_e32 v5, v7, v5
	v_ashrrev_i32_e32 v6, 8, v6
	v_add_u32_e32 v5, 0x3c000000, v5
	v_and_or_b32 v5, v6, s0, v5
	v_cmp_ne_u32_e32 vcc, 0, v4
	v_cndmask_b32_e32 v4, 0, v5, vcc
	s_brev_b32 s0, 1
	v_and_or_b32 v3, v3, s0, v4
	v_cvt_f64_f32_e32 v[3:4], v3
.LBB7_645:
	s_mov_b64 s[0:1], 0
.LBB7_646:
	s_andn2_b64 vcc, exec, s[0:1]
	s_cbranch_vccnz .LBB7_648
; %bb.647:
	global_load_ubyte v3, v[0:1], off
	s_movk_i32 s0, 0x7f00
	s_brev_b32 s1, 16
	s_waitcnt vmcnt(0)
	v_lshlrev_b16_e32 v4, 8, v3
	v_lshlrev_b32_e32 v3, 25, v3
	v_lshrrev_b32_e32 v5, 4, v3
	v_and_or_b32 v6, v4, s0, 0.5
	v_or_b32_e32 v5, 0x70000000, v5
	v_add_f32_e32 v6, -0.5, v6
	v_mul_f32_e32 v5, 0x7800000, v5
	v_cmp_gt_u32_e32 vcc, s1, v3
	v_bfe_i32 v4, v4, 0, 16
	v_cndmask_b32_e32 v3, v5, v6, vcc
	s_brev_b32 s0, 1
	v_and_or_b32 v3, v4, s0, v3
	v_cvt_f64_f32_e32 v[3:4], v3
.LBB7_648:
	s_mov_b64 s[8:9], 0
	s_mov_b64 s[0:1], -1
.LBB7_649:
	s_andn2_b64 vcc, exec, s[8:9]
	s_cbranch_vccnz .LBB7_660
; %bb.650:
	s_cmp_gt_i32 s12, 14
	s_cbranch_scc0 .LBB7_653
; %bb.651:
	s_cmp_eq_u32 s12, 15
	s_cbranch_scc0 .LBB7_654
; %bb.652:
	global_load_ushort v3, v[0:1], off
	s_mov_b64 s[0:1], -1
	s_mov_b64 s[2:3], 0
	s_waitcnt vmcnt(0)
	v_lshlrev_b32_e32 v3, 16, v3
	v_cvt_f64_f32_e32 v[3:4], v3
	s_branch .LBB7_655
.LBB7_653:
	s_mov_b64 s[8:9], -1
                                        ; implicit-def: $vgpr3_vgpr4
	s_branch .LBB7_656
.LBB7_654:
	s_mov_b64 s[2:3], -1
                                        ; implicit-def: $vgpr3_vgpr4
.LBB7_655:
	s_mov_b64 s[8:9], 0
.LBB7_656:
	s_and_b64 vcc, exec, s[8:9]
	s_cbranch_vccz .LBB7_660
; %bb.657:
	s_cmp_eq_u32 s12, 11
	s_cbranch_scc0 .LBB7_659
; %bb.658:
	global_load_ubyte v4, v[0:1], off
	v_mov_b32_e32 v5, 0x3ff00000
	s_waitcnt vmcnt(1)
	v_mov_b32_e32 v3, 0
	s_mov_b64 s[0:1], -1
	s_mov_b64 s[2:3], 0
	s_waitcnt vmcnt(0)
	v_cmp_ne_u16_e32 vcc, 0, v4
	v_cndmask_b32_e32 v4, 0, v5, vcc
	s_branch .LBB7_660
.LBB7_659:
	s_mov_b64 s[2:3], -1
                                        ; implicit-def: $vgpr3_vgpr4
.LBB7_660:
	s_mov_b64 s[8:9], 0
.LBB7_661:
	s_and_b64 vcc, exec, s[8:9]
	s_cbranch_vccz .LBB7_710
; %bb.662:
	s_cmp_lt_i32 s12, 5
	s_cbranch_scc1 .LBB7_667
; %bb.663:
	s_cmp_lt_i32 s12, 8
	s_cbranch_scc1 .LBB7_668
	;; [unrolled: 3-line block ×3, first 2 shown]
; %bb.665:
	s_cmp_gt_i32 s12, 9
	s_cbranch_scc0 .LBB7_670
; %bb.666:
	global_load_dwordx2 v[3:4], v[0:1], off
	s_mov_b64 s[0:1], 0
	s_branch .LBB7_671
.LBB7_667:
	s_mov_b64 s[0:1], -1
                                        ; implicit-def: $vgpr3_vgpr4
	s_branch .LBB7_689
.LBB7_668:
	s_mov_b64 s[0:1], -1
                                        ; implicit-def: $vgpr3_vgpr4
	s_branch .LBB7_677
.LBB7_669:
	s_mov_b64 s[0:1], -1
                                        ; implicit-def: $vgpr3_vgpr4
	s_branch .LBB7_674
.LBB7_670:
	s_mov_b64 s[0:1], -1
                                        ; implicit-def: $vgpr3_vgpr4
.LBB7_671:
	s_andn2_b64 vcc, exec, s[0:1]
	s_cbranch_vccnz .LBB7_673
; %bb.672:
	global_load_dword v3, v[0:1], off
	s_waitcnt vmcnt(0)
	v_cvt_f64_f32_e32 v[3:4], v3
.LBB7_673:
	s_mov_b64 s[0:1], 0
.LBB7_674:
	s_andn2_b64 vcc, exec, s[0:1]
	s_cbranch_vccnz .LBB7_676
; %bb.675:
	global_load_dword v3, v[0:1], off
	s_waitcnt vmcnt(0)
	v_cvt_f32_f16_e32 v3, v3
	v_cvt_f64_f32_e32 v[3:4], v3
.LBB7_676:
	s_mov_b64 s[0:1], 0
.LBB7_677:
	s_andn2_b64 vcc, exec, s[0:1]
	s_cbranch_vccnz .LBB7_688
; %bb.678:
	s_cmp_lt_i32 s12, 6
	s_cbranch_scc1 .LBB7_681
; %bb.679:
	s_cmp_gt_i32 s12, 6
	s_cbranch_scc0 .LBB7_682
; %bb.680:
	global_load_dwordx2 v[3:4], v[0:1], off
	s_mov_b64 s[0:1], 0
	s_branch .LBB7_683
.LBB7_681:
	s_mov_b64 s[0:1], -1
                                        ; implicit-def: $vgpr3_vgpr4
	s_branch .LBB7_686
.LBB7_682:
	s_mov_b64 s[0:1], -1
                                        ; implicit-def: $vgpr3_vgpr4
.LBB7_683:
	s_andn2_b64 vcc, exec, s[0:1]
	s_cbranch_vccnz .LBB7_685
; %bb.684:
	global_load_dword v3, v[0:1], off
	s_waitcnt vmcnt(0)
	v_cvt_f64_f32_e32 v[3:4], v3
.LBB7_685:
	s_mov_b64 s[0:1], 0
.LBB7_686:
	s_andn2_b64 vcc, exec, s[0:1]
	s_cbranch_vccnz .LBB7_688
; %bb.687:
	global_load_ushort v3, v[0:1], off
	s_waitcnt vmcnt(0)
	v_cvt_f32_f16_e32 v3, v3
	v_cvt_f64_f32_e32 v[3:4], v3
.LBB7_688:
	s_mov_b64 s[0:1], 0
.LBB7_689:
	s_andn2_b64 vcc, exec, s[0:1]
	s_cbranch_vccnz .LBB7_709
; %bb.690:
	s_cmp_lt_i32 s12, 2
	s_cbranch_scc1 .LBB7_694
; %bb.691:
	s_cmp_lt_i32 s12, 3
	s_cbranch_scc1 .LBB7_695
; %bb.692:
	s_cmp_gt_i32 s12, 3
	s_cbranch_scc0 .LBB7_696
; %bb.693:
	global_load_dwordx2 v[3:4], v[0:1], off
	s_mov_b64 s[0:1], 0
	s_waitcnt vmcnt(0)
	v_cvt_f64_i32_e32 v[4:5], v4
	v_cvt_f64_u32_e32 v[6:7], v3
	v_ldexp_f64 v[4:5], v[4:5], 32
	v_add_f64 v[3:4], v[4:5], v[6:7]
	s_branch .LBB7_697
.LBB7_694:
	s_mov_b64 s[0:1], -1
                                        ; implicit-def: $vgpr3_vgpr4
	s_branch .LBB7_703
.LBB7_695:
	s_mov_b64 s[0:1], -1
                                        ; implicit-def: $vgpr3_vgpr4
	s_branch .LBB7_700
.LBB7_696:
	s_mov_b64 s[0:1], -1
                                        ; implicit-def: $vgpr3_vgpr4
.LBB7_697:
	s_andn2_b64 vcc, exec, s[0:1]
	s_cbranch_vccnz .LBB7_699
; %bb.698:
	global_load_dword v3, v[0:1], off
	s_waitcnt vmcnt(0)
	v_cvt_f64_i32_e32 v[3:4], v3
.LBB7_699:
	s_mov_b64 s[0:1], 0
.LBB7_700:
	s_andn2_b64 vcc, exec, s[0:1]
	s_cbranch_vccnz .LBB7_702
; %bb.701:
	global_load_sshort v3, v[0:1], off
	s_waitcnt vmcnt(0)
	v_cvt_f64_i32_e32 v[3:4], v3
.LBB7_702:
	s_mov_b64 s[0:1], 0
.LBB7_703:
	s_andn2_b64 vcc, exec, s[0:1]
	s_cbranch_vccnz .LBB7_709
; %bb.704:
	s_cmp_gt_i32 s12, 0
	s_cbranch_scc0 .LBB7_706
; %bb.705:
	global_load_sbyte v3, v[0:1], off
	s_mov_b64 s[0:1], 0
	s_waitcnt vmcnt(0)
	v_cvt_f64_i32_e32 v[3:4], v3
	s_branch .LBB7_707
.LBB7_706:
	s_mov_b64 s[0:1], -1
                                        ; implicit-def: $vgpr3_vgpr4
.LBB7_707:
	s_andn2_b64 vcc, exec, s[0:1]
	s_cbranch_vccnz .LBB7_709
; %bb.708:
	global_load_ubyte v0, v[0:1], off
	s_waitcnt vmcnt(0)
	v_cvt_f64_u32_e32 v[3:4], v0
.LBB7_709:
	s_mov_b64 s[0:1], -1
.LBB7_710:
	s_andn2_b64 vcc, exec, s[0:1]
	s_cbranch_vccnz .LBB7_728
; %bb.711:
	s_mov_b32 s0, 0
	s_mov_b32 s1, 0x7ff00000
	s_waitcnt vmcnt(0)
	v_cmp_neq_f64_e64 s[0:1], |v[3:4]|, s[0:1]
	v_mov_b32_e32 v0, 0
	v_mov_b32_e32 v1, 0
	s_and_saveexec_b64 s[8:9], s[0:1]
	s_cbranch_execz .LBB7_721
; %bb.712:
	v_cmp_nlt_f64_e64 s[0:1], |v[3:4]|, 0.5
                                        ; implicit-def: $vgpr0_vgpr1
	s_and_saveexec_b64 s[10:11], s[0:1]
	s_xor_b64 s[10:11], exec, s[10:11]
	s_cbranch_execz .LBB7_718
; %bb.713:
	s_mov_b32 s0, 0
	s_mov_b32 s1, 0x41d00000
	v_cmp_nlt_f64_e64 s[0:1], |v[3:4]|, s[0:1]
                                        ; implicit-def: $vgpr7
                                        ; implicit-def: $vgpr0_vgpr1
                                        ; implicit-def: $vgpr5_vgpr6
	s_and_saveexec_b64 s[12:13], s[0:1]
	s_xor_b64 s[12:13], exec, s[12:13]
	s_cbranch_execz .LBB7_715
; %bb.714:
	v_trig_preop_f64 v[0:1], |v[3:4]|, 0
	s_mov_b32 s0, 0
	s_mov_b32 s1, 0x7b000000
	s_movk_i32 s14, 0xff80
	v_ldexp_f64 v[9:10], |v[3:4]|, s14
	v_cmp_ge_f64_e64 vcc, |v[3:4]|, s[0:1]
	v_trig_preop_f64 v[5:6], |v[3:4]|, 1
	v_and_b32_e32 v7, 0x7fffffff, v4
	v_trig_preop_f64 v[17:18], |v[3:4]|, 2
	s_mov_b32 s0, 0
	s_mov_b32 s1, 0x7ff00000
	v_mov_b32_e32 v27, 0
	s_mov_b32 s14, 0x33145c07
	v_cndmask_b32_e32 v10, v7, v10, vcc
	v_cndmask_b32_e32 v9, v3, v9, vcc
	v_mov_b32_e32 v7, 0x40100000
	v_mul_f64 v[11:12], v[0:1], v[9:10]
	s_mov_b32 s15, 0x3c91a626
	v_mul_f64 v[13:14], v[5:6], v[9:10]
	v_mul_f64 v[23:24], v[17:18], v[9:10]
	v_fma_f64 v[0:1], v[0:1], v[9:10], -v[11:12]
	v_fma_f64 v[5:6], v[5:6], v[9:10], -v[13:14]
	;; [unrolled: 1-line block ×3, first 2 shown]
	v_add_f64 v[15:16], v[13:14], v[0:1]
	v_add_f64 v[19:20], v[15:16], -v[13:14]
	v_add_f64 v[25:26], v[11:12], v[15:16]
	v_add_f64 v[21:22], v[15:16], -v[19:20]
	v_add_f64 v[0:1], v[0:1], -v[19:20]
	v_add_f64 v[19:20], v[23:24], v[5:6]
	v_add_f64 v[11:12], v[25:26], -v[11:12]
	v_add_f64 v[13:14], v[13:14], -v[21:22]
	v_ldexp_f64 v[21:22], v[25:26], -2
	v_add_f64 v[29:30], v[19:20], -v[23:24]
	v_add_f64 v[11:12], v[15:16], -v[11:12]
	v_add_f64 v[0:1], v[0:1], v[13:14]
	v_fract_f64_e32 v[13:14], v[21:22]
	v_cmp_neq_f64_e64 vcc, |v[21:22]|, s[0:1]
	v_add_f64 v[5:6], v[5:6], -v[29:30]
	v_add_f64 v[15:16], v[19:20], v[0:1]
	v_ldexp_f64 v[13:14], v[13:14], 2
	v_add_f64 v[21:22], v[11:12], v[15:16]
	v_cndmask_b32_e32 v14, 0, v14, vcc
	v_cndmask_b32_e32 v13, 0, v13, vcc
	v_add_f64 v[31:32], v[15:16], -v[19:20]
	v_add_f64 v[25:26], v[21:22], v[13:14]
	v_add_f64 v[11:12], v[21:22], -v[11:12]
	v_add_f64 v[33:34], v[15:16], -v[31:32]
	;; [unrolled: 1-line block ×3, first 2 shown]
	v_cmp_gt_f64_e32 vcc, 0, v[25:26]
	v_add_f64 v[25:26], v[19:20], -v[29:30]
	v_add_f64 v[11:12], v[15:16], -v[11:12]
	;; [unrolled: 1-line block ×3, first 2 shown]
	v_cndmask_b32_e32 v28, 0, v7, vcc
	v_add_f64 v[13:14], v[13:14], v[27:28]
	v_add_f64 v[25:26], v[23:24], -v[25:26]
	v_add_f64 v[0:1], v[0:1], v[19:20]
	v_add_f64 v[35:36], v[21:22], v[13:14]
	;; [unrolled: 1-line block ×3, first 2 shown]
	v_cvt_i32_f64_e32 v7, v[35:36]
	v_add_f64 v[0:1], v[5:6], v[0:1]
	v_cvt_f64_i32_e32 v[28:29], v7
	v_add_f64 v[13:14], v[13:14], -v[28:29]
	v_add_f64 v[0:1], v[9:10], v[0:1]
	v_add_f64 v[5:6], v[21:22], v[13:14]
	;; [unrolled: 1-line block ×3, first 2 shown]
	v_mov_b32_e32 v11, 0x3ff00000
	v_add_f64 v[9:10], v[5:6], -v[13:14]
	v_cmp_le_f64_e32 vcc, 0.5, v[5:6]
	v_add_f64 v[9:10], v[21:22], -v[9:10]
	v_cndmask_b32_e32 v28, 0, v11, vcc
	v_add_f64 v[5:6], v[5:6], -v[27:28]
	v_addc_co_u32_e64 v7, s[0:1], 0, v7, vcc
	s_mov_b32 s0, 0x54442d18
	s_mov_b32 s1, 0x3ff921fb
	v_add_f64 v[0:1], v[0:1], v[9:10]
	v_add_f64 v[9:10], v[5:6], v[0:1]
	v_mul_f64 v[11:12], v[9:10], s[0:1]
	v_add_f64 v[5:6], v[9:10], -v[5:6]
	v_fma_f64 v[13:14], v[9:10], s[0:1], -v[11:12]
	v_add_f64 v[0:1], v[0:1], -v[5:6]
	v_fma_f64 v[5:6], v[9:10], s[14:15], v[13:14]
	v_fma_f64 v[5:6], v[0:1], s[0:1], v[5:6]
	v_add_f64 v[0:1], v[11:12], v[5:6]
	v_add_f64 v[9:10], v[0:1], -v[11:12]
	v_add_f64 v[5:6], v[5:6], -v[9:10]
.LBB7_715:
	s_andn2_saveexec_b64 s[0:1], s[12:13]
	s_cbranch_execz .LBB7_717
; %bb.716:
	s_mov_b32 s12, 0x6dc9c883
	s_mov_b32 s13, 0x3fe45f30
	v_mul_f64 v[0:1], |v[3:4]|, s[12:13]
	s_mov_b32 s12, 0x54442d18
	s_mov_b32 s13, 0xbff921fb
	;; [unrolled: 1-line block ×4, first 2 shown]
	v_rndne_f64_e32 v[9:10], v[0:1]
	v_fma_f64 v[0:1], v[9:10], s[12:13], |v[3:4]|
	v_mul_f64 v[5:6], v[9:10], s[14:15]
	s_mov_b32 s12, 0x252049c0
	s_mov_b32 s13, 0xb97b839a
	v_cvt_i32_f64_e32 v7, v[9:10]
	v_fma_f64 v[15:16], v[9:10], s[14:15], v[0:1]
	v_add_f64 v[11:12], v[0:1], v[5:6]
	s_mov_b32 s15, 0x3c91a626
	v_add_f64 v[13:14], v[0:1], -v[11:12]
	v_add_f64 v[11:12], v[11:12], -v[15:16]
	v_add_f64 v[0:1], v[13:14], v[5:6]
	v_fma_f64 v[5:6], v[9:10], s[14:15], v[5:6]
	v_add_f64 v[0:1], v[11:12], v[0:1]
	v_add_f64 v[0:1], v[0:1], -v[5:6]
	v_fma_f64 v[5:6], v[9:10], s[12:13], v[0:1]
	v_add_f64 v[0:1], v[15:16], v[5:6]
	v_add_f64 v[11:12], v[0:1], -v[15:16]
	v_add_f64 v[5:6], v[5:6], -v[11:12]
.LBB7_717:
	s_or_b64 exec, exec, s[0:1]
	v_mul_f64 v[9:10], v[0:1], v[0:1]
	s_mov_b32 s0, 0xf9a43bb8
	v_mov_b32_e32 v12, 0xb42fdfa7
	v_mov_b32_e32 v13, 0xbe5ae600
	s_mov_b32 s1, 0x3de5e0b2
	s_mov_b32 s12, 0x796cde01
	v_mov_b32_e32 v11, 0x9037ab78
	s_mov_b32 s13, 0x3ec71de3
	v_fma_f64 v[13:14], v[9:10], s[0:1], v[12:13]
	s_mov_b32 s0, 0x46cc5e42
	v_mov_b32_e32 v12, 0x3e21eeb6
	s_mov_b32 s1, 0xbda907db
	v_fma_f64 v[11:12], v[9:10], s[0:1], v[11:12]
	v_mul_f64 v[15:16], v[9:10], 0.5
	s_mov_b32 s0, 0xa17f65f6
	s_mov_b32 s14, 0x19e83e5c
	v_fma_f64 v[13:14], v[9:10], v[13:14], s[12:13]
	s_mov_b32 s1, 0xbe927e4f
	s_mov_b32 s15, 0xbf2a01a0
	;; [unrolled: 1-line block ×3, first 2 shown]
	v_fma_f64 v[11:12], v[9:10], v[11:12], s[0:1]
	v_add_f64 v[17:18], -v[15:16], 1.0
	s_mov_b32 s0, 0x11110bb3
	s_mov_b32 s13, 0x3efa01a0
	v_fma_f64 v[13:14], v[9:10], v[13:14], s[14:15]
	s_mov_b32 s1, 0x3f811111
	v_mul_f64 v[19:20], v[5:6], 0.5
	v_mul_f64 v[21:22], v[0:1], -v[9:10]
	v_fma_f64 v[11:12], v[9:10], v[11:12], s[12:13]
	v_add_f64 v[23:24], -v[17:18], 1.0
	v_fma_f64 v[13:14], v[9:10], v[13:14], s[0:1]
	s_mov_b32 s0, 0x16c16967
	s_mov_b32 s1, 0xbf56c16c
	v_fma_f64 v[11:12], v[9:10], v[11:12], s[0:1]
	v_add_f64 v[15:16], v[23:24], -v[15:16]
	s_mov_b32 s1, 0x3fa55555
	s_mov_b32 s0, 0x55555555
	v_fma_f64 v[13:14], v[21:22], v[13:14], v[19:20]
	v_mul_f64 v[19:20], v[9:10], v[9:10]
	v_fma_f64 v[11:12], v[9:10], v[11:12], s[0:1]
	v_fma_f64 v[15:16], v[0:1], -v[5:6], v[15:16]
	s_mov_b32 s1, 0xbfc55555
	v_fma_f64 v[5:6], v[9:10], v[13:14], -v[5:6]
	v_fma_f64 v[9:10], v[19:20], v[11:12], v[15:16]
	v_fma_f64 v[5:6], v[21:22], s[0:1], v[5:6]
	s_movk_i32 s0, 0x1f8
	v_cmp_class_f64_e64 s[0:1], v[3:4], s0
	v_add_f64 v[9:10], v[17:18], v[9:10]
	v_add_f64 v[0:1], v[0:1], -v[5:6]
	v_and_b32_e32 v5, 1, v7
	v_cmp_eq_u32_e32 vcc, 0, v5
	v_lshlrev_b32_e32 v5, 30, v7
	v_xor_b32_e32 v5, v5, v4
	v_and_b32_e32 v5, 0x80000000, v5
	v_mov_b32_e32 v6, 0x7ff80000
	v_cndmask_b32_e32 v1, v10, v1, vcc
	v_cndmask_b32_e32 v0, v9, v0, vcc
	v_xor_b32_e32 v1, v1, v5
	v_cndmask_b32_e64 v0, 0, v0, s[0:1]
	v_cndmask_b32_e64 v1, v6, v1, s[0:1]
	v_div_scale_f64 v[5:6], s[0:1], v[3:4], v[3:4], v[0:1]
	v_div_scale_f64 v[13:14], vcc, v[0:1], v[3:4], v[0:1]
	v_rcp_f64_e32 v[9:10], v[5:6]
	v_fma_f64 v[11:12], -v[5:6], v[9:10], 1.0
	v_fma_f64 v[9:10], v[9:10], v[11:12], v[9:10]
	v_fma_f64 v[11:12], -v[5:6], v[9:10], 1.0
	v_fma_f64 v[9:10], v[9:10], v[11:12], v[9:10]
	v_mul_f64 v[11:12], v[13:14], v[9:10]
	v_fma_f64 v[5:6], -v[5:6], v[11:12], v[13:14]
	v_div_fmas_f64 v[5:6], v[5:6], v[9:10], v[11:12]
	v_div_fixup_f64 v[0:1], v[5:6], v[3:4], v[0:1]
                                        ; implicit-def: $vgpr3_vgpr4
.LBB7_718:
	s_andn2_saveexec_b64 s[0:1], s[10:11]
	s_cbranch_execz .LBB7_720
; %bb.719:
	v_mul_f64 v[0:1], v[3:4], v[3:4]
	s_mov_b32 s10, 0x13a86d09
	v_mov_b32_e32 v3, 0x67f544e4
	v_mov_b32_e32 v4, 0xbe5ae645
	s_mov_b32 s11, 0x3de61246
	v_fma_f64 v[3:4], v[0:1], s[10:11], v[3:4]
	s_mov_b32 s10, 0xa556c734
	s_mov_b32 s11, 0x3ec71de3
	v_fma_f64 v[3:4], v[0:1], v[3:4], s[10:11]
	s_mov_b32 s10, 0x1a01a01a
	;; [unrolled: 3-line block ×4, first 2 shown]
	s_mov_b32 s11, 0xbfc55555
	v_fma_f64 v[3:4], v[0:1], v[3:4], s[10:11]
	v_fma_f64 v[0:1], v[0:1], v[3:4], 1.0
.LBB7_720:
	s_or_b64 exec, exec, s[0:1]
.LBB7_721:
	s_or_b64 exec, exec, s[8:9]
	v_mov_b32_e32 v3, s25
	s_and_b32 s14, s73, 0xff
	v_add_co_u32_e32 v4, vcc, s24, v2
	s_cmp_lt_i32 s14, 11
	v_addc_co_u32_e32 v5, vcc, 0, v3, vcc
	s_cbranch_scc1 .LBB7_729
; %bb.722:
	s_and_b32 s15, 0xffff, s14
	s_cmp_gt_i32 s15, 25
	s_cbranch_scc0 .LBB7_730
; %bb.723:
	s_cmp_gt_i32 s15, 28
	s_cbranch_scc0 .LBB7_731
; %bb.724:
	;; [unrolled: 3-line block ×4, first 2 shown]
	s_mov_b64 s[10:11], 0
	s_mov_b64 s[0:1], -1
	s_cmp_eq_u32 s15, 46
	s_mov_b64 s[8:9], 0
	s_cbranch_scc0 .LBB7_734
; %bb.727:
	v_cvt_f32_f64_e32 v2, v[0:1]
	s_movk_i32 s0, 0x7fff
	v_mov_b32_e32 v3, 0x7fc0
	s_mov_b64 s[8:9], -1
	v_bfe_u32 v6, v2, 16, 1
	v_cmp_o_f32_e32 vcc, v2, v2
	v_add3_u32 v2, v2, v6, s0
	v_cndmask_b32_sdwa v2, v3, v2, vcc dst_sel:DWORD dst_unused:UNUSED_PAD src0_sel:DWORD src1_sel:WORD_1
	global_store_dword v[4:5], v2, off
	s_mov_b64 s[0:1], 0
	s_branch .LBB7_734
.LBB7_728:
	s_mov_b64 s[8:9], 0
	s_mov_b64 s[0:1], s[60:61]
	s_branch .LBB7_845
.LBB7_729:
	s_mov_b64 s[10:11], -1
	s_mov_b64 s[8:9], 0
	s_mov_b64 s[0:1], s[60:61]
	s_branch .LBB7_803
.LBB7_730:
	s_mov_b64 s[10:11], -1
	s_mov_b64 s[8:9], 0
	s_mov_b64 s[0:1], s[60:61]
	s_branch .LBB7_761
.LBB7_731:
	s_mov_b64 s[10:11], -1
	s_mov_b64 s[8:9], 0
	s_mov_b64 s[0:1], s[60:61]
	s_branch .LBB7_744
.LBB7_732:
	s_mov_b64 s[10:11], -1
	s_mov_b64 s[8:9], 0
	s_mov_b64 s[0:1], s[60:61]
	s_branch .LBB7_740
.LBB7_733:
	s_mov_b64 s[10:11], -1
	s_mov_b64 s[8:9], 0
	s_mov_b64 s[0:1], s[60:61]
.LBB7_734:
	s_and_b64 vcc, exec, s[10:11]
	s_cbranch_vccz .LBB7_739
; %bb.735:
	s_cmp_eq_u32 s15, 44
	s_mov_b64 s[0:1], -1
	s_cbranch_scc0 .LBB7_739
; %bb.736:
	v_cvt_f32_f64_e32 v2, v[0:1]
	s_movk_i32 s0, 0xff
	v_mov_b32_e32 v6, 0xff
	v_bfe_u32 v3, v2, 23, 8
	v_cmp_ne_u32_e32 vcc, s0, v3
	s_and_saveexec_b64 s[8:9], vcc
; %bb.737:
	s_mov_b32 s0, 0x3fffff
	v_lshrrev_b32_e32 v6, 23, v2
	v_and_b32_e32 v7, 0x400000, v2
	v_and_or_b32 v2, v2, s0, v3
	v_cmp_ne_u32_e32 vcc, 0, v7
	v_cmp_ne_u32_e64 s[0:1], 0, v2
	s_and_b64 s[0:1], vcc, s[0:1]
	v_cndmask_b32_e64 v2, 0, 1, s[0:1]
	v_add_u32_e32 v6, v6, v2
; %bb.738:
	s_or_b64 exec, exec, s[8:9]
	s_mov_b64 s[8:9], -1
	s_mov_b64 s[0:1], 0
	global_store_byte v[4:5], v6, off
.LBB7_739:
	s_mov_b64 s[10:11], 0
.LBB7_740:
	s_and_b64 vcc, exec, s[10:11]
	s_cbranch_vccz .LBB7_743
; %bb.741:
	s_cmp_eq_u32 s15, 29
	s_mov_b64 s[0:1], -1
	s_cbranch_scc0 .LBB7_743
; %bb.742:
	v_trunc_f64_e32 v[2:3], v[0:1]
	s_movk_i32 s0, 0xffe0
	s_mov_b64 s[8:9], -1
	s_mov_b64 s[10:11], 0
	v_ldexp_f64 v[6:7], v[2:3], s0
	s_mov_b32 s0, 0
	s_mov_b32 s1, 0xc1f00000
	v_floor_f64_e32 v[6:7], v[6:7]
	v_fma_f64 v[2:3], v[6:7], s[0:1], v[2:3]
	v_cvt_u32_f64_e32 v7, v[6:7]
	s_mov_b64 s[0:1], 0
	v_cvt_u32_f64_e32 v6, v[2:3]
	global_store_dwordx2 v[4:5], v[6:7], off
	s_branch .LBB7_744
.LBB7_743:
	s_mov_b64 s[10:11], 0
.LBB7_744:
	s_and_b64 vcc, exec, s[10:11]
	s_cbranch_vccz .LBB7_760
; %bb.745:
	s_cmp_lt_i32 s15, 27
	s_mov_b64 s[8:9], -1
	s_cbranch_scc1 .LBB7_751
; %bb.746:
	v_cvt_u32_f64_e32 v2, v[0:1]
	s_cmp_gt_i32 s15, 27
	s_cbranch_scc0 .LBB7_748
; %bb.747:
	s_mov_b64 s[8:9], 0
	global_store_dword v[4:5], v2, off
.LBB7_748:
	s_andn2_b64 vcc, exec, s[8:9]
	s_cbranch_vccnz .LBB7_750
; %bb.749:
	global_store_short v[4:5], v2, off
.LBB7_750:
	s_mov_b64 s[8:9], 0
.LBB7_751:
	s_andn2_b64 vcc, exec, s[8:9]
	s_cbranch_vccnz .LBB7_759
; %bb.752:
	v_cvt_f32_f64_e32 v2, v[0:1]
	s_mov_b32 s8, 0x43800000
	v_mov_b32_e32 v6, 0x80
	v_and_b32_e32 v3, 0x7fffffff, v2
	v_cmp_gt_u32_e32 vcc, s8, v3
	s_and_saveexec_b64 s[8:9], vcc
	s_cbranch_execz .LBB7_758
; %bb.753:
	s_mov_b32 s10, 0x3bffffff
	v_cmp_lt_u32_e32 vcc, s10, v3
	s_mov_b64 s[10:11], 0
                                        ; implicit-def: $vgpr3
	s_and_saveexec_b64 s[12:13], vcc
	s_xor_b64 s[12:13], exec, s[12:13]
	s_cbranch_execz .LBB7_875
; %bb.754:
	v_bfe_u32 v3, v2, 20, 1
	s_mov_b32 s16, 0x487ffff
	v_add3_u32 v3, v2, v3, s16
	s_mov_b64 s[10:11], exec
	v_lshrrev_b32_e32 v3, 20, v3
	s_andn2_saveexec_b64 s[12:13], s[12:13]
	s_cbranch_execnz .LBB7_876
.LBB7_755:
	s_or_b64 exec, exec, s[12:13]
	v_mov_b32_e32 v6, 0
	s_and_saveexec_b64 s[12:13], s[10:11]
.LBB7_756:
	v_lshrrev_b32_e32 v2, 24, v2
	s_movk_i32 s10, 0x80
	v_and_or_b32 v6, v2, s10, v3
.LBB7_757:
	s_or_b64 exec, exec, s[12:13]
.LBB7_758:
	s_or_b64 exec, exec, s[8:9]
	global_store_byte v[4:5], v6, off
.LBB7_759:
	s_mov_b64 s[8:9], -1
.LBB7_760:
	s_mov_b64 s[10:11], 0
.LBB7_761:
	s_and_b64 vcc, exec, s[10:11]
	s_cbranch_vccz .LBB7_802
; %bb.762:
	s_cmp_gt_i32 s15, 22
	s_mov_b64 s[10:11], -1
	s_cbranch_scc0 .LBB7_794
; %bb.763:
	s_cmp_lt_i32 s15, 24
	s_mov_b64 s[8:9], -1
	s_cbranch_scc1 .LBB7_783
; %bb.764:
	s_cmp_gt_i32 s15, 24
	s_cbranch_scc0 .LBB7_772
; %bb.765:
	v_cvt_f32_f64_e32 v2, v[0:1]
	s_mov_b32 s8, 0x47800000
	v_mov_b32_e32 v6, 0x80
	v_and_b32_e32 v3, 0x7fffffff, v2
	v_cmp_gt_u32_e32 vcc, s8, v3
	s_and_saveexec_b64 s[8:9], vcc
	s_cbranch_execz .LBB7_771
; %bb.766:
	s_mov_b32 s10, 0x37ffffff
	v_cmp_lt_u32_e32 vcc, s10, v3
	s_mov_b64 s[10:11], 0
                                        ; implicit-def: $vgpr3
	s_and_saveexec_b64 s[12:13], vcc
	s_xor_b64 s[12:13], exec, s[12:13]
	s_cbranch_execz .LBB7_878
; %bb.767:
	v_bfe_u32 v3, v2, 21, 1
	s_mov_b32 s16, 0x88fffff
	v_add3_u32 v3, v2, v3, s16
	s_mov_b64 s[10:11], exec
	v_lshrrev_b32_e32 v3, 21, v3
	s_andn2_saveexec_b64 s[12:13], s[12:13]
	s_cbranch_execnz .LBB7_879
.LBB7_768:
	s_or_b64 exec, exec, s[12:13]
	v_mov_b32_e32 v6, 0
	s_and_saveexec_b64 s[12:13], s[10:11]
.LBB7_769:
	v_lshrrev_b32_e32 v2, 24, v2
	s_movk_i32 s10, 0x80
	v_and_or_b32 v6, v2, s10, v3
.LBB7_770:
	s_or_b64 exec, exec, s[12:13]
.LBB7_771:
	s_or_b64 exec, exec, s[8:9]
	s_mov_b64 s[8:9], 0
	global_store_byte v[4:5], v6, off
.LBB7_772:
	s_and_b64 vcc, exec, s[8:9]
	s_cbranch_vccz .LBB7_782
; %bb.773:
	v_cvt_f32_f64_e32 v2, v[0:1]
	s_mov_b32 s8, 0x43f00000
                                        ; implicit-def: $vgpr3
	v_and_b32_e32 v6, 0x7fffffff, v2
	v_cmp_gt_u32_e32 vcc, s8, v6
	s_and_saveexec_b64 s[8:9], vcc
	s_xor_b64 s[8:9], exec, s[8:9]
	s_cbranch_execz .LBB7_779
; %bb.774:
	s_mov_b32 s10, 0x3c7fffff
	v_cmp_lt_u32_e32 vcc, s10, v6
                                        ; implicit-def: $vgpr3
	s_and_saveexec_b64 s[10:11], vcc
	s_xor_b64 s[10:11], exec, s[10:11]
; %bb.775:
	v_bfe_u32 v3, v2, 20, 1
	s_mov_b32 s12, 0x407ffff
	v_add3_u32 v3, v2, v3, s12
	v_lshrrev_b32_e32 v6, 20, v3
	v_and_b32_e32 v3, 0xff00000, v3
	s_mov_b32 s12, 0x7f00000
	v_mov_b32_e32 v7, 0x7e
	v_cmp_ne_u32_e32 vcc, s12, v3
	v_cndmask_b32_e32 v3, v7, v6, vcc
; %bb.776:
	s_andn2_saveexec_b64 s[10:11], s[10:11]
; %bb.777:
	s_mov_b32 s12, 0x46800000
	v_add_f32_e64 v3, |v2|, s12
; %bb.778:
	s_or_b64 exec, exec, s[10:11]
                                        ; implicit-def: $vgpr6
.LBB7_779:
	s_andn2_saveexec_b64 s[8:9], s[8:9]
; %bb.780:
	s_mov_b32 s10, 0x7f800000
	v_mov_b32_e32 v3, 0x7e
	v_mov_b32_e32 v7, 0x7f
	v_cmp_lt_u32_e32 vcc, s10, v6
	v_cndmask_b32_e32 v3, v3, v7, vcc
; %bb.781:
	s_or_b64 exec, exec, s[8:9]
	v_lshrrev_b32_e32 v2, 24, v2
	s_movk_i32 s8, 0x80
	v_and_or_b32 v2, v2, s8, v3
	global_store_byte v[4:5], v2, off
.LBB7_782:
	s_mov_b64 s[8:9], 0
.LBB7_783:
	s_andn2_b64 vcc, exec, s[8:9]
	s_cbranch_vccnz .LBB7_793
; %bb.784:
	v_cvt_f32_f64_e32 v2, v[0:1]
	s_mov_b32 s8, 0x47800000
                                        ; implicit-def: $vgpr3
	v_and_b32_e32 v6, 0x7fffffff, v2
	v_cmp_gt_u32_e32 vcc, s8, v6
	s_and_saveexec_b64 s[8:9], vcc
	s_xor_b64 s[8:9], exec, s[8:9]
	s_cbranch_execz .LBB7_790
; %bb.785:
	s_mov_b32 s10, 0x387fffff
	v_cmp_lt_u32_e32 vcc, s10, v6
                                        ; implicit-def: $vgpr3
	s_and_saveexec_b64 s[10:11], vcc
	s_xor_b64 s[10:11], exec, s[10:11]
; %bb.786:
	v_bfe_u32 v3, v2, 21, 1
	s_mov_b32 s12, 0x80fffff
	v_add3_u32 v3, v2, v3, s12
	v_lshrrev_b32_e32 v3, 21, v3
; %bb.787:
	s_andn2_saveexec_b64 s[10:11], s[10:11]
; %bb.788:
	s_mov_b32 s12, 0x43000000
	v_add_f32_e64 v3, |v2|, s12
; %bb.789:
	s_or_b64 exec, exec, s[10:11]
                                        ; implicit-def: $vgpr6
.LBB7_790:
	s_andn2_saveexec_b64 s[8:9], s[8:9]
; %bb.791:
	s_mov_b32 s10, 0x7f800000
	v_mov_b32_e32 v3, 0x7c
	v_mov_b32_e32 v7, 0x7f
	v_cmp_lt_u32_e32 vcc, s10, v6
	v_cndmask_b32_e32 v3, v3, v7, vcc
; %bb.792:
	s_or_b64 exec, exec, s[8:9]
	v_lshrrev_b32_e32 v2, 24, v2
	s_movk_i32 s8, 0x80
	v_and_or_b32 v2, v2, s8, v3
	global_store_byte v[4:5], v2, off
.LBB7_793:
	s_mov_b64 s[10:11], 0
	s_mov_b64 s[8:9], -1
.LBB7_794:
	s_andn2_b64 vcc, exec, s[10:11]
	s_cbranch_vccnz .LBB7_802
; %bb.795:
	s_cmp_gt_i32 s15, 14
	s_mov_b64 s[10:11], -1
	s_cbranch_scc0 .LBB7_799
; %bb.796:
	s_cmp_eq_u32 s15, 15
	s_mov_b64 s[0:1], -1
	s_cbranch_scc0 .LBB7_798
; %bb.797:
	v_cvt_f32_f64_e32 v2, v[0:1]
	s_movk_i32 s0, 0x7fff
	v_mov_b32_e32 v3, 0x7fc0
	s_mov_b64 s[8:9], -1
	v_bfe_u32 v6, v2, 16, 1
	v_cmp_o_f32_e32 vcc, v2, v2
	v_add3_u32 v2, v2, v6, s0
	v_cndmask_b32_sdwa v2, v3, v2, vcc dst_sel:DWORD dst_unused:UNUSED_PAD src0_sel:DWORD src1_sel:WORD_1
	global_store_short v[4:5], v2, off
	s_mov_b64 s[0:1], 0
.LBB7_798:
	s_mov_b64 s[10:11], 0
.LBB7_799:
	s_and_b64 vcc, exec, s[10:11]
	s_cbranch_vccz .LBB7_802
; %bb.800:
	s_cmp_eq_u32 s15, 11
	s_mov_b64 s[0:1], -1
	s_cbranch_scc0 .LBB7_802
; %bb.801:
	v_cmp_neq_f64_e32 vcc, 0, v[0:1]
	s_mov_b64 s[0:1], 0
	s_mov_b64 s[8:9], -1
	v_cndmask_b32_e64 v2, 0, 1, vcc
	global_store_byte v[4:5], v2, off
.LBB7_802:
	s_mov_b64 s[10:11], 0
.LBB7_803:
	s_and_b64 vcc, exec, s[10:11]
	s_cbranch_vccz .LBB7_842
; %bb.804:
	s_and_b32 s10, 0xffff, s14
	s_cmp_lt_i32 s10, 5
	s_mov_b64 s[8:9], -1
	s_cbranch_scc1 .LBB7_825
; %bb.805:
	s_cmp_lt_i32 s10, 8
	s_cbranch_scc1 .LBB7_815
; %bb.806:
	s_cmp_lt_i32 s10, 9
	s_cbranch_scc1 .LBB7_812
; %bb.807:
	s_cmp_gt_i32 s10, 9
	s_cbranch_scc0 .LBB7_809
; %bb.808:
	v_mov_b32_e32 v2, 0
	v_mov_b32_e32 v3, v2
	s_mov_b64 s[8:9], 0
	global_store_dwordx4 v[4:5], v[0:3], off
.LBB7_809:
	s_andn2_b64 vcc, exec, s[8:9]
	s_cbranch_vccnz .LBB7_811
; %bb.810:
	v_cvt_f32_f64_e32 v2, v[0:1]
	v_mov_b32_e32 v3, 0
	global_store_dwordx2 v[4:5], v[2:3], off
.LBB7_811:
	s_mov_b64 s[8:9], 0
.LBB7_812:
	s_andn2_b64 vcc, exec, s[8:9]
	s_cbranch_vccnz .LBB7_814
; %bb.813:
	s_movk_i32 s8, 0x1ff
	v_and_or_b32 v2, v1, s8, v0
	v_cmp_ne_u32_e32 vcc, 0, v2
	v_cndmask_b32_e64 v2, 0, 1, vcc
	v_lshrrev_b32_e32 v3, 8, v1
	s_movk_i32 s8, 0xffe
	v_bfe_u32 v6, v1, 20, 11
	v_and_or_b32 v2, v3, s8, v2
	v_sub_u32_e32 v7, 0x3f1, v6
	v_or_b32_e32 v3, 0x1000, v2
	v_med3_i32 v7, v7, 0, 13
	v_lshrrev_b32_e32 v9, v7, v3
	v_lshlrev_b32_e32 v7, v7, v9
	v_cmp_ne_u32_e32 vcc, v7, v3
	v_cndmask_b32_e64 v3, 0, 1, vcc
	v_add_u32_e32 v6, 0xfffffc10, v6
	v_or_b32_e32 v3, v9, v3
	v_lshl_or_b32 v7, v6, 12, v2
	v_cmp_gt_i32_e32 vcc, 1, v6
	v_cndmask_b32_e32 v3, v7, v3, vcc
	v_and_b32_e32 v7, 7, v3
	v_cmp_lt_i32_e32 vcc, 5, v7
	v_cndmask_b32_e64 v9, 0, 1, vcc
	v_cmp_eq_u32_e32 vcc, 3, v7
	v_cndmask_b32_e64 v7, 0, 1, vcc
	v_or_b32_e32 v7, v7, v9
	v_lshrrev_b32_e32 v3, 2, v3
	v_add_u32_e32 v3, v3, v7
	v_mov_b32_e32 v7, 0x7c00
	v_cmp_gt_i32_e32 vcc, 31, v6
	v_cndmask_b32_e32 v3, v7, v3, vcc
	v_mov_b32_e32 v9, 0x7e00
	v_cmp_ne_u32_e32 vcc, 0, v2
	s_movk_i32 s8, 0x40f
	v_cndmask_b32_e32 v2, v7, v9, vcc
	v_cmp_eq_u32_e32 vcc, s8, v6
	v_cndmask_b32_e32 v2, v3, v2, vcc
	v_lshrrev_b32_e32 v3, 16, v1
	s_mov_b32 s8, 0x8000
	v_and_or_b32 v2, v3, s8, v2
	v_and_b32_e32 v2, 0xffff, v2
	global_store_dword v[4:5], v2, off
.LBB7_814:
	s_mov_b64 s[8:9], 0
.LBB7_815:
	s_andn2_b64 vcc, exec, s[8:9]
	s_cbranch_vccnz .LBB7_824
; %bb.816:
	s_cmp_lt_i32 s10, 6
	s_mov_b64 s[8:9], -1
	s_cbranch_scc1 .LBB7_822
; %bb.817:
	s_cmp_gt_i32 s10, 6
	s_cbranch_scc0 .LBB7_819
; %bb.818:
	s_mov_b64 s[8:9], 0
	global_store_dwordx2 v[4:5], v[0:1], off
.LBB7_819:
	s_andn2_b64 vcc, exec, s[8:9]
	s_cbranch_vccnz .LBB7_821
; %bb.820:
	v_cvt_f32_f64_e32 v2, v[0:1]
	global_store_dword v[4:5], v2, off
.LBB7_821:
	s_mov_b64 s[8:9], 0
.LBB7_822:
	s_andn2_b64 vcc, exec, s[8:9]
	s_cbranch_vccnz .LBB7_824
; %bb.823:
	s_movk_i32 s8, 0x1ff
	v_and_or_b32 v2, v1, s8, v0
	v_cmp_ne_u32_e32 vcc, 0, v2
	v_cndmask_b32_e64 v2, 0, 1, vcc
	v_lshrrev_b32_e32 v3, 8, v1
	s_movk_i32 s8, 0xffe
	v_bfe_u32 v6, v1, 20, 11
	v_and_or_b32 v2, v3, s8, v2
	v_sub_u32_e32 v7, 0x3f1, v6
	v_or_b32_e32 v3, 0x1000, v2
	v_med3_i32 v7, v7, 0, 13
	v_lshrrev_b32_e32 v9, v7, v3
	v_lshlrev_b32_e32 v7, v7, v9
	v_cmp_ne_u32_e32 vcc, v7, v3
	v_cndmask_b32_e64 v3, 0, 1, vcc
	v_add_u32_e32 v6, 0xfffffc10, v6
	v_or_b32_e32 v3, v9, v3
	v_lshl_or_b32 v7, v6, 12, v2
	v_cmp_gt_i32_e32 vcc, 1, v6
	v_cndmask_b32_e32 v3, v7, v3, vcc
	v_and_b32_e32 v7, 7, v3
	v_cmp_lt_i32_e32 vcc, 5, v7
	v_cndmask_b32_e64 v9, 0, 1, vcc
	v_cmp_eq_u32_e32 vcc, 3, v7
	v_cndmask_b32_e64 v7, 0, 1, vcc
	v_or_b32_e32 v7, v7, v9
	v_lshrrev_b32_e32 v3, 2, v3
	v_add_u32_e32 v3, v3, v7
	v_mov_b32_e32 v7, 0x7c00
	v_cmp_gt_i32_e32 vcc, 31, v6
	v_cndmask_b32_e32 v3, v7, v3, vcc
	v_mov_b32_e32 v9, 0x7e00
	v_cmp_ne_u32_e32 vcc, 0, v2
	s_movk_i32 s8, 0x40f
	v_cndmask_b32_e32 v2, v7, v9, vcc
	v_cmp_eq_u32_e32 vcc, s8, v6
	v_cndmask_b32_e32 v2, v3, v2, vcc
	v_lshrrev_b32_e32 v3, 16, v1
	s_mov_b32 s8, 0x8000
	v_and_or_b32 v2, v3, s8, v2
	global_store_short v[4:5], v2, off
.LBB7_824:
	s_mov_b64 s[8:9], 0
.LBB7_825:
	s_andn2_b64 vcc, exec, s[8:9]
	s_cbranch_vccnz .LBB7_841
; %bb.826:
	s_cmp_lt_i32 s10, 2
	s_mov_b64 s[8:9], -1
	s_cbranch_scc1 .LBB7_836
; %bb.827:
	s_cmp_lt_i32 s10, 3
	s_cbranch_scc1 .LBB7_833
; %bb.828:
	s_cmp_gt_i32 s10, 3
	s_cbranch_scc0 .LBB7_830
; %bb.829:
	v_trunc_f64_e32 v[2:3], v[0:1]
	s_movk_i32 s8, 0xffe0
	v_ldexp_f64 v[6:7], v[2:3], s8
	s_mov_b32 s8, 0
	s_mov_b32 s9, 0xc1f00000
	v_floor_f64_e32 v[6:7], v[6:7]
	v_fma_f64 v[2:3], v[6:7], s[8:9], v[2:3]
	v_cvt_i32_f64_e32 v7, v[6:7]
	s_mov_b64 s[8:9], 0
	v_cvt_u32_f64_e32 v6, v[2:3]
	global_store_dwordx2 v[4:5], v[6:7], off
.LBB7_830:
	s_andn2_b64 vcc, exec, s[8:9]
	s_cbranch_vccnz .LBB7_832
; %bb.831:
	v_cvt_i32_f64_e32 v2, v[0:1]
	global_store_dword v[4:5], v2, off
.LBB7_832:
	s_mov_b64 s[8:9], 0
.LBB7_833:
	s_andn2_b64 vcc, exec, s[8:9]
	s_cbranch_vccnz .LBB7_835
; %bb.834:
	v_cvt_i32_f64_e32 v2, v[0:1]
	global_store_short v[4:5], v2, off
.LBB7_835:
	s_mov_b64 s[8:9], 0
.LBB7_836:
	s_andn2_b64 vcc, exec, s[8:9]
	s_cbranch_vccnz .LBB7_841
; %bb.837:
	s_cmp_gt_i32 s10, 0
	s_mov_b64 s[8:9], -1
	s_cbranch_scc0 .LBB7_839
; %bb.838:
	v_cvt_i32_f64_e32 v2, v[0:1]
	s_mov_b64 s[8:9], 0
	global_store_byte v[4:5], v2, off
.LBB7_839:
	s_andn2_b64 vcc, exec, s[8:9]
	s_cbranch_vccnz .LBB7_841
; %bb.840:
	v_trunc_f64_e32 v[0:1], v[0:1]
	s_movk_i32 s8, 0xffe0
	v_ldexp_f64 v[2:3], v[0:1], s8
	s_mov_b32 s8, 0
	s_mov_b32 s9, 0xc1f00000
	v_floor_f64_e32 v[2:3], v[2:3]
	v_fma_f64 v[0:1], v[2:3], s[8:9], v[0:1]
	v_cvt_u32_f64_e32 v0, v[0:1]
	global_store_byte v[4:5], v0, off
.LBB7_841:
	s_mov_b64 s[8:9], -1
.LBB7_842:
	s_andn2_b64 vcc, exec, s[8:9]
	s_cbranch_vccnz .LBB7_844
; %bb.843:
	v_add_u32_e32 v8, 0x80, v8
	s_mov_b64 s[8:9], -1
	s_branch .LBB7_846
.LBB7_844:
	s_mov_b64 s[8:9], 0
.LBB7_845:
                                        ; implicit-def: $vgpr8
.LBB7_846:
	s_andn2_b64 s[10:11], s[60:61], exec
	s_and_b64 s[0:1], s[0:1], exec
	s_or_b64 s[68:69], s[10:11], s[0:1]
	s_andn2_b64 s[0:1], s[58:59], exec
	s_and_b64 s[2:3], s[2:3], exec
	s_or_b64 s[66:67], s[0:1], s[2:3]
	s_orn2_b64 s[2:3], s[8:9], exec
.LBB7_847:
	s_or_b64 exec, exec, s[64:65]
	s_mov_b64 s[0:1], 0
	s_mov_b64 s[8:9], 0
	;; [unrolled: 1-line block ×3, first 2 shown]
                                        ; implicit-def: $vgpr0_vgpr1
                                        ; implicit-def: $vgpr2
                                        ; implicit-def: $vgpr3_vgpr4
	s_and_saveexec_b64 s[64:65], s[2:3]
	s_cbranch_execz .LBB7_946
; %bb.848:
	v_cmp_gt_i32_e32 vcc, s70, v8
	s_mov_b64 s[2:3], 0
	s_mov_b64 s[12:13], s[66:67]
                                        ; implicit-def: $vgpr0_vgpr1
                                        ; implicit-def: $vgpr2
                                        ; implicit-def: $vgpr3_vgpr4
	s_and_saveexec_b64 s[70:71], vcc
	s_cbranch_execz .LBB7_945
; %bb.849:
	s_andn2_b64 vcc, exec, s[40:41]
	s_cbranch_vccnz .LBB7_854
; %bb.850:
	s_andn2_b64 vcc, exec, s[50:51]
	s_cbranch_vccnz .LBB7_855
; %bb.851:
	s_add_i32 s76, s75, 1
	s_cmp_eq_u32 s72, 2
	s_cbranch_scc1 .LBB7_856
; %bb.852:
	s_and_b32 s75, s76, 28
	v_mov_b32_e32 v0, 0
	s_mov_b32 s77, 0
	s_mov_b64 s[50:51], s[34:35]
	v_mov_b32_e32 v2, 0
	v_mov_b32_e32 v1, v8
.LBB7_853:                              ; =>This Inner Loop Header: Depth=1
	s_load_dwordx8 s[16:23], s[50:51], 0x4
	s_load_dwordx4 s[0:3], s[50:51], 0x24
	s_load_dwordx8 s[8:15], s[48:49], 0x0
	s_add_u32 s50, s50, 48
	s_addc_u32 s51, s51, 0
	s_waitcnt vmcnt(0) lgkmcnt(0)
	v_mul_hi_u32 v3, s17, v1
	s_add_i32 s77, s77, 4
	s_add_u32 s48, s48, 32
	s_addc_u32 s49, s49, 0
	v_add_u32_e32 v3, v1, v3
	v_lshrrev_b32_e32 v3, s18, v3
	v_mul_lo_u32 v4, v3, s16
	v_mul_hi_u32 v5, s20, v3
	s_cmp_eq_u32 s75, s77
	v_sub_u32_e32 v1, v1, v4
	v_add_u32_e32 v4, v3, v5
	v_mul_lo_u32 v5, v1, s8
	v_mul_lo_u32 v6, v1, s9
	v_lshrrev_b32_e32 v1, s21, v4
	v_mul_lo_u32 v4, v1, s19
	v_mul_hi_u32 v7, s23, v1
	v_sub_u32_e32 v3, v3, v4
	v_add_u32_e32 v4, v1, v7
	v_lshrrev_b32_e32 v4, s0, v4
	v_mul_hi_u32 v9, s2, v4
	v_mul_lo_u32 v10, v4, s22
	v_mul_lo_u32 v7, v3, s10
	;; [unrolled: 1-line block ×3, first 2 shown]
	v_sub_u32_e32 v10, v1, v10
	v_add_u32_e32 v1, v4, v9
	v_lshrrev_b32_e32 v1, s3, v1
	v_mul_lo_u32 v9, v1, s1
	v_mul_lo_u32 v11, v10, s12
	;; [unrolled: 1-line block ×3, first 2 shown]
	v_add3_u32 v2, v5, v2, v7
	v_sub_u32_e32 v4, v4, v9
	v_mul_lo_u32 v9, v4, s14
	v_mul_lo_u32 v4, v4, s15
	v_add3_u32 v0, v6, v0, v3
	v_add3_u32 v2, v11, v2, v9
	;; [unrolled: 1-line block ×3, first 2 shown]
	s_cbranch_scc0 .LBB7_853
	s_branch .LBB7_857
.LBB7_854:
	s_mov_b64 s[0:1], -1
                                        ; implicit-def: $vgpr2
                                        ; implicit-def: $vgpr0
	s_branch .LBB7_861
.LBB7_855:
	v_mov_b32_e32 v2, 0
	v_mov_b32_e32 v0, 0
	s_branch .LBB7_860
.LBB7_856:
	s_mov_b32 s75, 0
	v_mov_b32_e32 v2, 0
	v_mov_b32_e32 v0, 0
	;; [unrolled: 1-line block ×3, first 2 shown]
.LBB7_857:
	s_and_b32 s8, s76, 3
	s_cmp_eq_u32 s8, 0
	s_cbranch_scc1 .LBB7_860
; %bb.858:
	s_lshl_b32 s0, s75, 3
	s_add_u32 s0, s34, s0
	s_addc_u32 s1, s35, 0
	s_add_u32 s0, s0, 0xc4
	s_addc_u32 s1, s1, 0
	s_mul_i32 s2, s75, 12
	s_add_u32 s2, s34, s2
	s_addc_u32 s3, s35, 0
.LBB7_859:                              ; =>This Inner Loop Header: Depth=1
	s_load_dwordx2 s[10:11], s[2:3], 0x4
	s_load_dword s9, s[2:3], 0xc
	s_load_dwordx2 s[12:13], s[0:1], 0x0
	s_add_u32 s2, s2, 12
	s_addc_u32 s3, s3, 0
	s_waitcnt vmcnt(0) lgkmcnt(0)
	v_mul_hi_u32 v3, s11, v1
	s_add_u32 s0, s0, 8
	s_addc_u32 s1, s1, 0
	s_add_i32 s8, s8, -1
	v_add_u32_e32 v3, v1, v3
	v_lshrrev_b32_e32 v4, s9, v3
	v_mul_lo_u32 v3, v4, s10
	s_cmp_lg_u32 s8, 0
	v_sub_u32_e32 v1, v1, v3
	v_mad_u64_u32 v[2:3], s[10:11], v1, s12, v[2:3]
	v_mad_u64_u32 v[0:1], s[10:11], v1, s13, v[0:1]
	v_mov_b32_e32 v1, v4
	s_cbranch_scc1 .LBB7_859
.LBB7_860:
	s_mov_b64 s[0:1], 0
.LBB7_861:
	s_andn2_b64 vcc, exec, s[0:1]
	s_cbranch_vccnz .LBB7_864
; %bb.862:
	s_waitcnt lgkmcnt(0)
	v_mul_hi_u32 v0, s37, v8
	s_andn2_b64 vcc, exec, s[46:47]
	v_add_u32_e32 v0, v8, v0
	v_lshrrev_b32_e32 v1, s38, v0
	v_mul_lo_u32 v0, v1, s36
	v_sub_u32_e32 v0, v8, v0
	v_mul_lo_u32 v2, v0, s28
	v_mul_lo_u32 v0, v0, s29
	s_cbranch_vccnz .LBB7_864
; %bb.863:
	s_waitcnt vmcnt(0)
	v_mul_hi_u32 v3, s44, v1
	v_add_u32_e32 v3, v1, v3
	v_lshrrev_b32_e32 v3, s45, v3
	v_mul_lo_u32 v3, v3, s39
	v_sub_u32_e32 v1, v1, v3
	v_mad_u64_u32 v[2:3], s[0:1], v1, s30, v[2:3]
	v_mad_u64_u32 v[0:1], s[0:1], v1, s31, v[0:1]
.LBB7_864:
	s_waitcnt lgkmcnt(0)
	v_mov_b32_e32 v1, s27
	s_and_b32 s14, 0xffff, s74
	v_add_co_u32_e32 v0, vcc, s26, v0
	s_cmp_lt_i32 s14, 11
	v_addc_co_u32_e32 v1, vcc, 0, v1, vcc
	s_cbranch_scc1 .LBB7_871
; %bb.865:
	s_cmp_gt_i32 s14, 25
	s_mov_b64 s[2:3], 0
	s_cbranch_scc0 .LBB7_872
; %bb.866:
	s_cmp_gt_i32 s14, 28
	s_cbranch_scc0 .LBB7_873
; %bb.867:
	s_cmp_gt_i32 s14, 43
	;; [unrolled: 3-line block ×3, first 2 shown]
	s_cbranch_scc0 .LBB7_877
; %bb.869:
	s_cmp_eq_u32 s14, 46
	s_mov_b64 s[10:11], 0
	s_cbranch_scc0 .LBB7_880
; %bb.870:
	global_load_dword v3, v[0:1], off
	s_mov_b64 s[0:1], 0
	s_mov_b64 s[8:9], -1
	s_waitcnt vmcnt(0)
	v_lshlrev_b32_e32 v3, 16, v3
	v_cvt_f64_f32_e32 v[3:4], v3
	s_branch .LBB7_881
.LBB7_871:
	s_mov_b64 s[12:13], -1
	s_mov_b64 s[8:9], 0
	s_mov_b64 s[2:3], 0
	;; [unrolled: 1-line block ×3, first 2 shown]
                                        ; implicit-def: $vgpr3_vgpr4
	s_branch .LBB7_944
.LBB7_872:
	s_mov_b64 s[10:11], -1
	s_mov_b64 s[8:9], 0
	s_mov_b64 s[0:1], s[66:67]
                                        ; implicit-def: $vgpr3_vgpr4
	s_branch .LBB7_912
.LBB7_873:
	s_mov_b64 s[10:11], -1
	s_mov_b64 s[8:9], 0
	s_mov_b64 s[0:1], s[66:67]
                                        ; implicit-def: $vgpr3_vgpr4
	s_branch .LBB7_891
.LBB7_874:
	s_mov_b64 s[10:11], -1
	s_mov_b64 s[8:9], 0
	s_mov_b64 s[0:1], s[66:67]
                                        ; implicit-def: $vgpr3_vgpr4
	s_branch .LBB7_886
.LBB7_875:
	s_andn2_saveexec_b64 s[12:13], s[12:13]
	s_cbranch_execz .LBB7_755
.LBB7_876:
	s_mov_b32 s16, 0x46000000
	v_add_f32_e64 v3, |v2|, s16
	v_and_b32_e32 v3, 0xff, v3
	v_cmp_ne_u32_e32 vcc, 0, v3
	s_andn2_b64 s[10:11], s[10:11], exec
	s_and_b64 s[16:17], vcc, exec
	s_or_b64 s[10:11], s[10:11], s[16:17]
	s_or_b64 exec, exec, s[12:13]
	v_mov_b32_e32 v6, 0
	s_and_saveexec_b64 s[12:13], s[10:11]
	s_cbranch_execnz .LBB7_756
	s_branch .LBB7_757
.LBB7_877:
	s_mov_b64 s[10:11], -1
	s_mov_b64 s[8:9], 0
	s_mov_b64 s[0:1], s[66:67]
                                        ; implicit-def: $vgpr3_vgpr4
	s_branch .LBB7_881
.LBB7_878:
	s_andn2_saveexec_b64 s[12:13], s[12:13]
	s_cbranch_execz .LBB7_768
.LBB7_879:
	s_mov_b32 s16, 0x42800000
	v_add_f32_e64 v3, |v2|, s16
	v_and_b32_e32 v3, 0xff, v3
	v_cmp_ne_u32_e32 vcc, 0, v3
	s_andn2_b64 s[10:11], s[10:11], exec
	s_and_b64 s[16:17], vcc, exec
	s_or_b64 s[10:11], s[10:11], s[16:17]
	s_or_b64 exec, exec, s[12:13]
	v_mov_b32_e32 v6, 0
	s_and_saveexec_b64 s[12:13], s[10:11]
	s_cbranch_execnz .LBB7_769
	s_branch .LBB7_770
.LBB7_880:
	s_mov_b64 s[0:1], -1
                                        ; implicit-def: $vgpr3_vgpr4
	s_mov_b64 s[8:9], 0
.LBB7_881:
	s_and_b64 vcc, exec, s[10:11]
	s_cbranch_vccz .LBB7_885
; %bb.882:
	s_cmp_eq_u32 s14, 44
	s_cbranch_scc0 .LBB7_884
; %bb.883:
	global_load_ubyte v5, v[0:1], off
	s_movk_i32 s8, 0xff
	v_bfrev_b32_e32 v6, 4
	v_mov_b32_e32 v7, 0x7ff80000
	v_bfrev_b32_e32 v8, 28
	s_mov_b64 s[0:1], 0
	s_waitcnt vmcnt(0)
	v_lshlrev_b32_e32 v3, 23, v5
	v_cvt_f64_f32_e32 v[3:4], v3
	v_cmp_ne_u32_e32 vcc, s8, v5
	s_mov_b64 s[8:9], -1
	v_cndmask_b32_e32 v3, v6, v3, vcc
	v_cndmask_b32_e32 v4, v7, v4, vcc
	v_cmp_ne_u32_e32 vcc, 0, v5
	v_cndmask_b32_e32 v4, v8, v4, vcc
	v_cndmask_b32_e32 v3, 0, v3, vcc
	s_branch .LBB7_885
.LBB7_884:
	s_mov_b64 s[0:1], -1
                                        ; implicit-def: $vgpr3_vgpr4
.LBB7_885:
	s_mov_b64 s[10:11], 0
.LBB7_886:
	s_and_b64 vcc, exec, s[10:11]
	s_cbranch_vccz .LBB7_890
; %bb.887:
	s_cmp_eq_u32 s14, 29
	s_cbranch_scc0 .LBB7_889
; %bb.888:
	global_load_dwordx2 v[3:4], v[0:1], off
	s_mov_b64 s[0:1], 0
	s_mov_b64 s[8:9], -1
	s_mov_b64 s[10:11], 0
	s_waitcnt vmcnt(0)
	v_cvt_f64_u32_e32 v[4:5], v4
	v_cvt_f64_u32_e32 v[6:7], v3
	v_ldexp_f64 v[4:5], v[4:5], 32
	v_add_f64 v[3:4], v[4:5], v[6:7]
	s_branch .LBB7_891
.LBB7_889:
	s_mov_b64 s[0:1], -1
                                        ; implicit-def: $vgpr3_vgpr4
.LBB7_890:
	s_mov_b64 s[10:11], 0
.LBB7_891:
	s_and_b64 vcc, exec, s[10:11]
	s_cbranch_vccz .LBB7_911
; %bb.892:
	s_cmp_lt_i32 s14, 27
	s_cbranch_scc1 .LBB7_895
; %bb.893:
	s_cmp_gt_i32 s14, 27
	s_cbranch_scc0 .LBB7_896
; %bb.894:
	global_load_dword v3, v[0:1], off
	s_mov_b64 s[8:9], 0
	s_waitcnt vmcnt(0)
	v_cvt_f64_u32_e32 v[3:4], v3
	s_branch .LBB7_897
.LBB7_895:
	s_mov_b64 s[8:9], -1
                                        ; implicit-def: $vgpr3_vgpr4
	s_branch .LBB7_900
.LBB7_896:
	s_mov_b64 s[8:9], -1
                                        ; implicit-def: $vgpr3_vgpr4
.LBB7_897:
	s_andn2_b64 vcc, exec, s[8:9]
	s_cbranch_vccnz .LBB7_899
; %bb.898:
	global_load_ushort v3, v[0:1], off
	s_waitcnt vmcnt(0)
	v_cvt_f64_u32_e32 v[3:4], v3
.LBB7_899:
	s_mov_b64 s[8:9], 0
.LBB7_900:
	s_andn2_b64 vcc, exec, s[8:9]
	s_cbranch_vccnz .LBB7_910
; %bb.901:
	global_load_ubyte v5, v[0:1], off
	s_movk_i32 s8, 0x7f
	s_waitcnt vmcnt(0)
	v_cmp_lt_i16_e32 vcc, s8, v5
	s_mov_b64 s[8:9], 0
	s_and_saveexec_b64 s[10:11], vcc
	s_xor_b64 s[10:11], exec, s[10:11]
	s_cbranch_execz .LBB7_905
; %bb.902:
	s_movk_i32 s8, 0x80
	v_cmp_eq_u16_e32 vcc, s8, v5
	s_mov_b64 s[8:9], -1
	s_and_saveexec_b64 s[12:13], vcc
; %bb.903:
	s_xor_b64 s[8:9], exec, -1
; %bb.904:
	s_or_b64 exec, exec, s[12:13]
	s_and_b64 s[8:9], s[8:9], exec
.LBB7_905:
	s_or_saveexec_b64 s[10:11], s[10:11]
	v_bfrev_b32_e32 v3, 4
	v_mov_b32_e32 v4, 0x7ff80000
	s_xor_b64 exec, exec, s[10:11]
; %bb.906:
	v_cmp_ne_u16_e32 vcc, 0, v5
	v_mov_b32_e32 v3, 0
	s_andn2_b64 s[8:9], s[8:9], exec
	s_and_b64 s[12:13], vcc, exec
	v_mov_b32_e32 v4, 0
	s_or_b64 s[8:9], s[8:9], s[12:13]
; %bb.907:
	s_or_b64 exec, exec, s[10:11]
	s_and_saveexec_b64 s[10:11], s[8:9]
	s_cbranch_execz .LBB7_909
; %bb.908:
	v_and_b32_e32 v4, 0xffff, v5
	v_lshlrev_b32_e32 v3, 24, v5
	v_and_b32_e32 v5, 7, v4
	v_ffbh_u32_e32 v7, v5
	v_min_u32_e32 v7, 32, v7
	v_subrev_u32_e32 v8, 28, v7
	v_bfe_u32 v6, v4, 3, 4
	v_lshlrev_b32_e32 v4, v8, v4
	v_sub_u32_e32 v7, 29, v7
	v_and_b32_e32 v4, 7, v4
	v_cmp_eq_u32_e32 vcc, 0, v6
	v_cndmask_b32_e32 v6, v6, v7, vcc
	v_cndmask_b32_e32 v4, v5, v4, vcc
	v_mov_b32_e32 v5, 0x3b800000
	v_lshlrev_b32_e32 v4, 20, v4
	v_and_b32_e32 v3, 0x80000000, v3
	v_lshl_add_u32 v5, v6, 23, v5
	v_or3_b32 v3, v3, v5, v4
	v_cvt_f64_f32_e32 v[3:4], v3
.LBB7_909:
	s_or_b64 exec, exec, s[10:11]
.LBB7_910:
	s_mov_b64 s[8:9], -1
.LBB7_911:
	s_mov_b64 s[10:11], 0
.LBB7_912:
	s_and_b64 vcc, exec, s[10:11]
	s_cbranch_vccz .LBB7_943
; %bb.913:
	s_cmp_gt_i32 s14, 22
	s_cbranch_scc0 .LBB7_925
; %bb.914:
	s_cmp_lt_i32 s14, 24
	s_cbranch_scc1 .LBB7_926
; %bb.915:
	s_cmp_gt_i32 s14, 24
	s_cbranch_scc0 .LBB7_927
; %bb.916:
	global_load_ubyte v5, v[0:1], off
	s_movk_i32 s2, 0x7f
	s_waitcnt vmcnt(0)
	v_cmp_lt_i16_e32 vcc, s2, v5
	s_mov_b64 s[2:3], 0
	s_and_saveexec_b64 s[8:9], vcc
	s_xor_b64 s[8:9], exec, s[8:9]
	s_cbranch_execz .LBB7_920
; %bb.917:
	s_movk_i32 s2, 0x80
	v_cmp_eq_u16_e32 vcc, s2, v5
	s_mov_b64 s[2:3], -1
	s_and_saveexec_b64 s[10:11], vcc
; %bb.918:
	s_xor_b64 s[2:3], exec, -1
; %bb.919:
	s_or_b64 exec, exec, s[10:11]
	s_and_b64 s[2:3], s[2:3], exec
.LBB7_920:
	s_or_saveexec_b64 s[8:9], s[8:9]
	v_bfrev_b32_e32 v3, 4
	v_mov_b32_e32 v4, 0x7ff80000
	s_xor_b64 exec, exec, s[8:9]
; %bb.921:
	v_cmp_ne_u16_e32 vcc, 0, v5
	v_mov_b32_e32 v3, 0
	s_andn2_b64 s[2:3], s[2:3], exec
	s_and_b64 s[10:11], vcc, exec
	v_mov_b32_e32 v4, 0
	s_or_b64 s[2:3], s[2:3], s[10:11]
; %bb.922:
	s_or_b64 exec, exec, s[8:9]
	s_and_saveexec_b64 s[8:9], s[2:3]
	s_cbranch_execz .LBB7_924
; %bb.923:
	v_and_b32_e32 v4, 0xffff, v5
	v_lshlrev_b32_e32 v3, 24, v5
	v_and_b32_e32 v5, 3, v4
	v_ffbh_u32_e32 v7, v5
	v_min_u32_e32 v7, 32, v7
	v_subrev_u32_e32 v8, 29, v7
	v_bfe_u32 v6, v4, 2, 5
	v_lshlrev_b32_e32 v4, v8, v4
	v_sub_u32_e32 v7, 30, v7
	v_and_b32_e32 v4, 3, v4
	v_cmp_eq_u32_e32 vcc, 0, v6
	v_cndmask_b32_e32 v6, v6, v7, vcc
	v_cndmask_b32_e32 v4, v5, v4, vcc
	v_mov_b32_e32 v5, 0x37800000
	v_lshlrev_b32_e32 v4, 21, v4
	v_and_b32_e32 v3, 0x80000000, v3
	v_lshl_add_u32 v5, v6, 23, v5
	v_or3_b32 v3, v3, v5, v4
	v_cvt_f64_f32_e32 v[3:4], v3
.LBB7_924:
	s_or_b64 exec, exec, s[8:9]
	s_mov_b64 s[2:3], 0
	s_branch .LBB7_928
.LBB7_925:
	s_mov_b64 s[2:3], -1
                                        ; implicit-def: $vgpr3_vgpr4
	s_branch .LBB7_934
.LBB7_926:
	s_mov_b64 s[2:3], -1
                                        ; implicit-def: $vgpr3_vgpr4
	s_branch .LBB7_931
.LBB7_927:
	s_mov_b64 s[2:3], -1
                                        ; implicit-def: $vgpr3_vgpr4
.LBB7_928:
	s_and_b64 vcc, exec, s[2:3]
	s_cbranch_vccz .LBB7_930
; %bb.929:
	global_load_ubyte v3, v[0:1], off
	s_mov_b32 s2, 0x7f800000
	s_waitcnt vmcnt(0)
	v_lshlrev_b32_e32 v3, 24, v3
	v_and_b32_e32 v4, 0x7f000000, v3
	v_ffbh_u32_e32 v5, v4
	v_min_u32_e32 v5, 32, v5
	v_sub_u32_e64 v5, v5, 4 clamp
	v_lshlrev_b32_e32 v7, v5, v4
	v_lshlrev_b32_e32 v5, 23, v5
	v_lshrrev_b32_e32 v7, 4, v7
	v_add_u32_e32 v6, 0x1000000, v4
	v_sub_u32_e32 v5, v7, v5
	v_ashrrev_i32_e32 v6, 8, v6
	v_add_u32_e32 v5, 0x3c000000, v5
	v_and_or_b32 v5, v6, s2, v5
	v_cmp_ne_u32_e32 vcc, 0, v4
	v_cndmask_b32_e32 v4, 0, v5, vcc
	s_brev_b32 s2, 1
	v_and_or_b32 v3, v3, s2, v4
	v_cvt_f64_f32_e32 v[3:4], v3
.LBB7_930:
	s_mov_b64 s[2:3], 0
.LBB7_931:
	s_andn2_b64 vcc, exec, s[2:3]
	s_cbranch_vccnz .LBB7_933
; %bb.932:
	global_load_ubyte v3, v[0:1], off
	s_movk_i32 s2, 0x7f00
	s_brev_b32 s3, 16
	s_waitcnt vmcnt(0)
	v_lshlrev_b16_e32 v4, 8, v3
	v_lshlrev_b32_e32 v3, 25, v3
	v_lshrrev_b32_e32 v5, 4, v3
	v_and_or_b32 v6, v4, s2, 0.5
	v_or_b32_e32 v5, 0x70000000, v5
	v_add_f32_e32 v6, -0.5, v6
	v_mul_f32_e32 v5, 0x7800000, v5
	v_cmp_gt_u32_e32 vcc, s3, v3
	v_bfe_i32 v4, v4, 0, 16
	v_cndmask_b32_e32 v3, v5, v6, vcc
	s_brev_b32 s2, 1
	v_and_or_b32 v3, v4, s2, v3
	v_cvt_f64_f32_e32 v[3:4], v3
.LBB7_933:
	s_mov_b64 s[2:3], 0
	s_mov_b64 s[8:9], -1
.LBB7_934:
	s_andn2_b64 vcc, exec, s[2:3]
	s_mov_b64 s[2:3], 0
	s_cbranch_vccnz .LBB7_943
; %bb.935:
	s_cmp_gt_i32 s14, 14
	s_cbranch_scc0 .LBB7_938
; %bb.936:
	s_cmp_eq_u32 s14, 15
	s_cbranch_scc0 .LBB7_939
; %bb.937:
	global_load_ushort v3, v[0:1], off
	s_mov_b64 s[0:1], 0
	s_mov_b64 s[8:9], -1
	s_waitcnt vmcnt(0)
	v_lshlrev_b32_e32 v3, 16, v3
	v_cvt_f64_f32_e32 v[3:4], v3
	s_branch .LBB7_940
.LBB7_938:
	s_mov_b64 s[10:11], -1
                                        ; implicit-def: $vgpr3_vgpr4
	s_branch .LBB7_941
.LBB7_939:
	s_mov_b64 s[0:1], -1
                                        ; implicit-def: $vgpr3_vgpr4
.LBB7_940:
	s_mov_b64 s[10:11], 0
.LBB7_941:
	s_and_b64 vcc, exec, s[10:11]
	s_cbranch_vccz .LBB7_943
; %bb.942:
	s_cmp_lg_u32 s14, 11
	s_cselect_b64 s[10:11], -1, 0
	s_andn2_b64 s[0:1], s[0:1], exec
	s_and_b64 s[10:11], s[10:11], exec
	s_mov_b64 s[2:3], -1
	s_or_b64 s[0:1], s[0:1], s[10:11]
.LBB7_943:
	s_mov_b64 s[12:13], 0
.LBB7_944:
	s_and_b64 s[10:11], s[8:9], exec
	s_and_b64 s[8:9], s[12:13], exec
	s_andn2_b64 s[12:13], s[66:67], exec
	s_and_b64 s[0:1], s[0:1], exec
	s_and_b64 s[2:3], s[2:3], exec
	s_or_b64 s[12:13], s[12:13], s[0:1]
.LBB7_945:
	s_or_b64 exec, exec, s[70:71]
	s_and_b64 s[0:1], s[2:3], exec
	s_andn2_b64 s[2:3], s[66:67], exec
	s_and_b64 s[12:13], s[12:13], exec
	s_and_b64 s[10:11], s[10:11], exec
	;; [unrolled: 1-line block ×3, first 2 shown]
	s_or_b64 s[66:67], s[2:3], s[12:13]
.LBB7_946:
	s_or_b64 exec, exec, s[64:65]
	s_andn2_b64 s[2:3], s[60:61], exec
	s_and_b64 s[12:13], s[68:69], exec
	s_or_b64 s[60:61], s[2:3], s[12:13]
	s_and_b64 s[2:3], s[0:1], exec
	s_andn2_b64 s[0:1], s[58:59], exec
	s_and_b64 s[12:13], s[66:67], exec
	s_and_b64 s[10:11], s[10:11], exec
	;; [unrolled: 1-line block ×3, first 2 shown]
	s_or_b64 s[58:59], s[0:1], s[12:13]
.LBB7_947:
	s_or_b64 exec, exec, s[62:63]
	s_andn2_b64 s[0:1], s[52:53], exec
	s_and_b64 s[12:13], s[60:61], exec
	s_or_b64 s[52:53], s[0:1], s[12:13]
	s_and_b64 s[0:1], s[10:11], exec
	s_and_b64 s[10:11], s[8:9], exec
	;; [unrolled: 1-line block ×3, first 2 shown]
	s_andn2_b64 s[2:3], s[54:55], exec
	s_and_b64 s[8:9], s[58:59], exec
	s_or_b64 s[54:55], s[2:3], s[8:9]
	s_or_b64 exec, exec, s[56:57]
	s_mov_b64 s[2:3], 0
	s_and_saveexec_b64 s[8:9], s[54:55]
	s_cbranch_execz .LBB7_284
.LBB7_948:
	s_mov_b64 s[2:3], exec
	s_andn2_b64 s[60:61], s[60:61], exec
	s_trap 2
	s_or_b64 exec, exec, s[8:9]
	s_and_saveexec_b64 s[8:9], s[60:61]
	s_xor_b64 s[8:9], exec, s[8:9]
	s_cbranch_execnz .LBB7_285
.LBB7_949:
	s_or_b64 exec, exec, s[8:9]
	s_and_saveexec_b64 s[8:9], s[10:11]
	s_cbranch_execz .LBB7_995
.LBB7_950:
	s_sext_i32_i16 s10, s74
	s_cmp_lt_i32 s10, 5
	s_cbranch_scc1 .LBB7_955
; %bb.951:
	s_cmp_lt_i32 s10, 8
	s_cbranch_scc1 .LBB7_956
; %bb.952:
	;; [unrolled: 3-line block ×3, first 2 shown]
	s_cmp_gt_i32 s10, 9
	s_cbranch_scc0 .LBB7_958
; %bb.954:
	global_load_dwordx2 v[3:4], v[0:1], off
	s_mov_b64 s[10:11], 0
	s_branch .LBB7_959
.LBB7_955:
                                        ; implicit-def: $vgpr3_vgpr4
	s_branch .LBB7_976
.LBB7_956:
                                        ; implicit-def: $vgpr3_vgpr4
	s_branch .LBB7_965
.LBB7_957:
	s_mov_b64 s[10:11], -1
                                        ; implicit-def: $vgpr3_vgpr4
	s_branch .LBB7_962
.LBB7_958:
	s_mov_b64 s[10:11], -1
                                        ; implicit-def: $vgpr3_vgpr4
.LBB7_959:
	s_andn2_b64 vcc, exec, s[10:11]
	s_cbranch_vccnz .LBB7_961
; %bb.960:
	global_load_dword v3, v[0:1], off
	s_waitcnt vmcnt(0)
	v_cvt_f64_f32_e32 v[3:4], v3
.LBB7_961:
	s_mov_b64 s[10:11], 0
.LBB7_962:
	s_andn2_b64 vcc, exec, s[10:11]
	s_cbranch_vccnz .LBB7_964
; %bb.963:
	global_load_dword v3, v[0:1], off
	s_waitcnt vmcnt(0)
	v_cvt_f32_f16_e32 v3, v3
	v_cvt_f64_f32_e32 v[3:4], v3
.LBB7_964:
	s_cbranch_execnz .LBB7_975
.LBB7_965:
	s_sext_i32_i16 s10, s74
	s_cmp_lt_i32 s10, 6
	s_cbranch_scc1 .LBB7_968
; %bb.966:
	s_cmp_gt_i32 s10, 6
	s_cbranch_scc0 .LBB7_969
; %bb.967:
	global_load_dwordx2 v[3:4], v[0:1], off
	s_mov_b64 s[10:11], 0
	s_branch .LBB7_970
.LBB7_968:
	s_mov_b64 s[10:11], -1
                                        ; implicit-def: $vgpr3_vgpr4
	s_branch .LBB7_973
.LBB7_969:
	s_mov_b64 s[10:11], -1
                                        ; implicit-def: $vgpr3_vgpr4
.LBB7_970:
	s_andn2_b64 vcc, exec, s[10:11]
	s_cbranch_vccnz .LBB7_972
; %bb.971:
	global_load_dword v3, v[0:1], off
	s_waitcnt vmcnt(0)
	v_cvt_f64_f32_e32 v[3:4], v3
.LBB7_972:
	s_mov_b64 s[10:11], 0
.LBB7_973:
	s_andn2_b64 vcc, exec, s[10:11]
	s_cbranch_vccnz .LBB7_975
; %bb.974:
	global_load_ushort v3, v[0:1], off
	s_waitcnt vmcnt(0)
	v_cvt_f32_f16_e32 v3, v3
	v_cvt_f64_f32_e32 v[3:4], v3
.LBB7_975:
	s_cbranch_execnz .LBB7_994
.LBB7_976:
	s_sext_i32_i16 s10, s74
	s_cmp_lt_i32 s10, 2
	s_cbranch_scc1 .LBB7_980
; %bb.977:
	s_cmp_lt_i32 s10, 3
	s_cbranch_scc1 .LBB7_981
; %bb.978:
	s_cmp_gt_i32 s10, 3
	s_cbranch_scc0 .LBB7_982
; %bb.979:
	global_load_dwordx2 v[3:4], v[0:1], off
	s_mov_b64 s[10:11], 0
	s_waitcnt vmcnt(0)
	v_cvt_f64_i32_e32 v[4:5], v4
	v_cvt_f64_u32_e32 v[6:7], v3
	v_ldexp_f64 v[4:5], v[4:5], 32
	v_add_f64 v[3:4], v[4:5], v[6:7]
	s_branch .LBB7_983
.LBB7_980:
                                        ; implicit-def: $vgpr3_vgpr4
	s_branch .LBB7_989
.LBB7_981:
	s_mov_b64 s[10:11], -1
                                        ; implicit-def: $vgpr3_vgpr4
	s_branch .LBB7_986
.LBB7_982:
	s_mov_b64 s[10:11], -1
                                        ; implicit-def: $vgpr3_vgpr4
.LBB7_983:
	s_andn2_b64 vcc, exec, s[10:11]
	s_cbranch_vccnz .LBB7_985
; %bb.984:
	global_load_dword v3, v[0:1], off
	s_waitcnt vmcnt(0)
	v_cvt_f64_i32_e32 v[3:4], v3
.LBB7_985:
	s_mov_b64 s[10:11], 0
.LBB7_986:
	s_andn2_b64 vcc, exec, s[10:11]
	s_cbranch_vccnz .LBB7_988
; %bb.987:
	global_load_sshort v3, v[0:1], off
	s_waitcnt vmcnt(0)
	v_cvt_f64_i32_e32 v[3:4], v3
.LBB7_988:
	s_cbranch_execnz .LBB7_994
.LBB7_989:
	s_sext_i32_i16 s10, s74
	s_cmp_gt_i32 s10, 0
	s_cbranch_scc0 .LBB7_991
; %bb.990:
	global_load_sbyte v3, v[0:1], off
	s_mov_b64 s[10:11], 0
	s_waitcnt vmcnt(0)
	v_cvt_f64_i32_e32 v[3:4], v3
	s_branch .LBB7_992
.LBB7_991:
	s_mov_b64 s[10:11], -1
                                        ; implicit-def: $vgpr3_vgpr4
.LBB7_992:
	s_andn2_b64 vcc, exec, s[10:11]
	s_cbranch_vccnz .LBB7_994
; %bb.993:
	global_load_ubyte v0, v[0:1], off
	s_waitcnt vmcnt(0)
	v_cvt_f64_u32_e32 v[3:4], v0
.LBB7_994:
	s_or_b64 s[0:1], s[0:1], exec
.LBB7_995:
	s_or_b64 exec, exec, s[8:9]
	s_mov_b64 s[12:13], 0
	s_mov_b64 s[10:11], 0
                                        ; implicit-def: $sgpr18
                                        ; implicit-def: $vgpr5_vgpr6
                                        ; implicit-def: $vgpr0_vgpr1
	s_and_saveexec_b64 s[8:9], s[0:1]
	s_cbranch_execz .LBB7_1013
; %bb.996:
	s_mov_b32 s0, 0
	s_mov_b32 s1, 0x7ff00000
	s_waitcnt vmcnt(0)
	v_cmp_neq_f64_e64 s[0:1], |v[3:4]|, s[0:1]
	v_mov_b32_e32 v0, 0
	v_mov_b32_e32 v1, 0
	s_and_saveexec_b64 s[10:11], s[0:1]
	s_cbranch_execz .LBB7_1006
; %bb.997:
	v_cmp_nlt_f64_e64 s[0:1], |v[3:4]|, 0.5
                                        ; implicit-def: $vgpr0_vgpr1
	s_and_saveexec_b64 s[12:13], s[0:1]
	s_xor_b64 s[12:13], exec, s[12:13]
	s_cbranch_execz .LBB7_1003
; %bb.998:
	s_mov_b32 s0, 0
	s_mov_b32 s1, 0x41d00000
	v_cmp_nlt_f64_e64 s[0:1], |v[3:4]|, s[0:1]
                                        ; implicit-def: $vgpr7
                                        ; implicit-def: $vgpr0_vgpr1
                                        ; implicit-def: $vgpr5_vgpr6
	s_and_saveexec_b64 s[14:15], s[0:1]
	s_xor_b64 s[14:15], exec, s[14:15]
	s_cbranch_execz .LBB7_1000
; %bb.999:
	v_trig_preop_f64 v[0:1], |v[3:4]|, 0
	s_mov_b32 s0, 0
	s_mov_b32 s1, 0x7b000000
	s_movk_i32 s16, 0xff80
	v_ldexp_f64 v[7:8], |v[3:4]|, s16
	v_cmp_ge_f64_e64 vcc, |v[3:4]|, s[0:1]
	v_trig_preop_f64 v[5:6], |v[3:4]|, 1
	v_and_b32_e32 v9, 0x7fffffff, v4
	v_trig_preop_f64 v[15:16], |v[3:4]|, 2
	s_mov_b32 s0, 0
	s_mov_b32 s1, 0x7ff00000
	v_mov_b32_e32 v26, 0x40100000
	v_mov_b32_e32 v25, 0
	v_cndmask_b32_e32 v8, v9, v8, vcc
	v_cndmask_b32_e32 v7, v3, v7, vcc
	s_mov_b32 s16, 0x33145c07
	v_mul_f64 v[9:10], v[0:1], v[7:8]
	s_mov_b32 s17, 0x3c91a626
	v_mul_f64 v[11:12], v[5:6], v[7:8]
	v_mul_f64 v[21:22], v[15:16], v[7:8]
	v_fma_f64 v[0:1], v[0:1], v[7:8], -v[9:10]
	v_fma_f64 v[5:6], v[5:6], v[7:8], -v[11:12]
	;; [unrolled: 1-line block ×3, first 2 shown]
	v_add_f64 v[13:14], v[11:12], v[0:1]
	v_add_f64 v[17:18], v[13:14], -v[11:12]
	v_add_f64 v[23:24], v[9:10], v[13:14]
	v_add_f64 v[19:20], v[13:14], -v[17:18]
	v_add_f64 v[0:1], v[0:1], -v[17:18]
	v_add_f64 v[17:18], v[21:22], v[5:6]
	v_add_f64 v[9:10], v[23:24], -v[9:10]
	v_add_f64 v[11:12], v[11:12], -v[19:20]
	v_ldexp_f64 v[19:20], v[23:24], -2
	v_add_f64 v[27:28], v[17:18], -v[21:22]
	v_add_f64 v[9:10], v[13:14], -v[9:10]
	v_add_f64 v[0:1], v[0:1], v[11:12]
	v_fract_f64_e32 v[11:12], v[19:20]
	v_cmp_neq_f64_e64 vcc, |v[19:20]|, s[0:1]
	v_add_f64 v[5:6], v[5:6], -v[27:28]
	v_add_f64 v[13:14], v[17:18], v[0:1]
	v_ldexp_f64 v[11:12], v[11:12], 2
	v_add_f64 v[19:20], v[9:10], v[13:14]
	v_cndmask_b32_e32 v12, 0, v12, vcc
	v_cndmask_b32_e32 v11, 0, v11, vcc
	v_add_f64 v[29:30], v[13:14], -v[17:18]
	v_add_f64 v[23:24], v[19:20], v[11:12]
	v_add_f64 v[9:10], v[19:20], -v[9:10]
	v_add_f64 v[31:32], v[13:14], -v[29:30]
	;; [unrolled: 1-line block ×3, first 2 shown]
	v_cmp_gt_f64_e32 vcc, 0, v[23:24]
	v_add_f64 v[23:24], v[17:18], -v[27:28]
	v_add_f64 v[9:10], v[13:14], -v[9:10]
	;; [unrolled: 1-line block ×3, first 2 shown]
	v_cndmask_b32_e32 v26, 0, v26, vcc
	v_add_f64 v[11:12], v[11:12], v[25:26]
	v_add_f64 v[23:24], v[21:22], -v[23:24]
	v_add_f64 v[0:1], v[0:1], v[17:18]
	v_add_f64 v[33:34], v[19:20], v[11:12]
	v_add_f64 v[5:6], v[5:6], v[23:24]
	v_cvt_i32_f64_e32 v28, v[33:34]
	v_add_f64 v[0:1], v[5:6], v[0:1]
	v_cvt_f64_i32_e32 v[26:27], v28
	v_add_f64 v[11:12], v[11:12], -v[26:27]
	v_add_f64 v[0:1], v[7:8], v[0:1]
	v_add_f64 v[5:6], v[19:20], v[11:12]
	;; [unrolled: 1-line block ×3, first 2 shown]
	v_mov_b32_e32 v10, 0x3ff00000
	v_add_f64 v[7:8], v[5:6], -v[11:12]
	v_cmp_le_f64_e32 vcc, 0.5, v[5:6]
	v_add_f64 v[8:9], v[19:20], -v[7:8]
	v_cndmask_b32_e32 v26, 0, v10, vcc
	v_add_f64 v[5:6], v[5:6], -v[25:26]
	v_addc_co_u32_e64 v7, s[0:1], 0, v28, vcc
	s_mov_b32 s0, 0x54442d18
	s_mov_b32 s1, 0x3ff921fb
	v_add_f64 v[0:1], v[0:1], v[8:9]
	v_add_f64 v[8:9], v[5:6], v[0:1]
	v_mul_f64 v[10:11], v[8:9], s[0:1]
	v_add_f64 v[5:6], v[8:9], -v[5:6]
	v_fma_f64 v[12:13], v[8:9], s[0:1], -v[10:11]
	v_add_f64 v[0:1], v[0:1], -v[5:6]
	v_fma_f64 v[5:6], v[8:9], s[16:17], v[12:13]
	v_fma_f64 v[5:6], v[0:1], s[0:1], v[5:6]
	v_add_f64 v[0:1], v[10:11], v[5:6]
	v_add_f64 v[8:9], v[0:1], -v[10:11]
	v_add_f64 v[5:6], v[5:6], -v[8:9]
.LBB7_1000:
	s_andn2_saveexec_b64 s[0:1], s[14:15]
	s_cbranch_execz .LBB7_1002
; %bb.1001:
	s_mov_b32 s14, 0x6dc9c883
	s_mov_b32 s15, 0x3fe45f30
	v_mul_f64 v[0:1], |v[3:4]|, s[14:15]
	s_mov_b32 s14, 0x54442d18
	s_mov_b32 s15, 0xbff921fb
	;; [unrolled: 1-line block ×4, first 2 shown]
	v_rndne_f64_e32 v[7:8], v[0:1]
	v_fma_f64 v[0:1], v[7:8], s[14:15], |v[3:4]|
	v_mul_f64 v[5:6], v[7:8], s[16:17]
	s_mov_b32 s14, 0x252049c0
	s_mov_b32 s15, 0xb97b839a
	v_fma_f64 v[13:14], v[7:8], s[16:17], v[0:1]
	v_add_f64 v[9:10], v[0:1], v[5:6]
	s_mov_b32 s17, 0x3c91a626
	v_add_f64 v[11:12], v[0:1], -v[9:10]
	v_add_f64 v[9:10], v[9:10], -v[13:14]
	v_add_f64 v[0:1], v[11:12], v[5:6]
	v_fma_f64 v[5:6], v[7:8], s[16:17], v[5:6]
	v_add_f64 v[0:1], v[9:10], v[0:1]
	v_add_f64 v[0:1], v[0:1], -v[5:6]
	v_fma_f64 v[5:6], v[7:8], s[14:15], v[0:1]
	v_cvt_i32_f64_e32 v7, v[7:8]
	v_add_f64 v[0:1], v[13:14], v[5:6]
	v_add_f64 v[9:10], v[0:1], -v[13:14]
	v_add_f64 v[5:6], v[5:6], -v[9:10]
.LBB7_1002:
	s_or_b64 exec, exec, s[0:1]
	v_mul_f64 v[8:9], v[0:1], v[0:1]
	s_mov_b32 s0, 0xf9a43bb8
	v_mov_b32_e32 v11, 0xb42fdfa7
	v_mov_b32_e32 v12, 0xbe5ae600
	s_mov_b32 s1, 0x3de5e0b2
	s_mov_b32 s14, 0x796cde01
	v_mov_b32_e32 v10, 0x9037ab78
	s_mov_b32 s15, 0x3ec71de3
	v_fma_f64 v[12:13], v[8:9], s[0:1], v[11:12]
	s_mov_b32 s0, 0x46cc5e42
	v_mov_b32_e32 v11, 0x3e21eeb6
	s_mov_b32 s1, 0xbda907db
	v_fma_f64 v[10:11], v[8:9], s[0:1], v[10:11]
	v_mul_f64 v[14:15], v[8:9], 0.5
	s_mov_b32 s0, 0xa17f65f6
	s_mov_b32 s16, 0x19e83e5c
	v_fma_f64 v[12:13], v[8:9], v[12:13], s[14:15]
	s_mov_b32 s1, 0xbe927e4f
	s_mov_b32 s17, 0xbf2a01a0
	;; [unrolled: 1-line block ×3, first 2 shown]
	v_fma_f64 v[10:11], v[8:9], v[10:11], s[0:1]
	v_add_f64 v[16:17], -v[14:15], 1.0
	s_mov_b32 s0, 0x11110bb3
	s_mov_b32 s15, 0x3efa01a0
	v_fma_f64 v[12:13], v[8:9], v[12:13], s[16:17]
	s_mov_b32 s1, 0x3f811111
	v_mul_f64 v[18:19], v[5:6], 0.5
	v_mul_f64 v[20:21], v[0:1], -v[8:9]
	v_fma_f64 v[10:11], v[8:9], v[10:11], s[14:15]
	v_add_f64 v[22:23], -v[16:17], 1.0
	v_fma_f64 v[12:13], v[8:9], v[12:13], s[0:1]
	s_mov_b32 s0, 0x16c16967
	s_mov_b32 s1, 0xbf56c16c
	v_fma_f64 v[10:11], v[8:9], v[10:11], s[0:1]
	v_add_f64 v[14:15], v[22:23], -v[14:15]
	s_mov_b32 s1, 0x3fa55555
	s_mov_b32 s0, 0x55555555
	v_fma_f64 v[12:13], v[20:21], v[12:13], v[18:19]
	v_mul_f64 v[18:19], v[8:9], v[8:9]
	v_fma_f64 v[10:11], v[8:9], v[10:11], s[0:1]
	v_fma_f64 v[14:15], v[0:1], -v[5:6], v[14:15]
	s_mov_b32 s1, 0xbfc55555
	v_fma_f64 v[5:6], v[8:9], v[12:13], -v[5:6]
	v_fma_f64 v[8:9], v[18:19], v[10:11], v[14:15]
	v_fma_f64 v[5:6], v[20:21], s[0:1], v[5:6]
	s_movk_i32 s0, 0x1f8
	v_cmp_class_f64_e64 s[0:1], v[3:4], s0
	v_add_f64 v[8:9], v[16:17], v[8:9]
	v_add_f64 v[0:1], v[0:1], -v[5:6]
	v_and_b32_e32 v5, 1, v7
	v_cmp_eq_u32_e32 vcc, 0, v5
	v_lshlrev_b32_e32 v5, 30, v7
	v_xor_b32_e32 v5, v5, v4
	v_and_b32_e32 v5, 0x80000000, v5
	v_mov_b32_e32 v6, 0x7ff80000
	v_cndmask_b32_e32 v1, v9, v1, vcc
	v_cndmask_b32_e32 v0, v8, v0, vcc
	v_xor_b32_e32 v1, v1, v5
	v_cndmask_b32_e64 v0, 0, v0, s[0:1]
	v_cndmask_b32_e64 v1, v6, v1, s[0:1]
	v_div_scale_f64 v[5:6], s[0:1], v[3:4], v[3:4], v[0:1]
	v_div_scale_f64 v[11:12], vcc, v[0:1], v[3:4], v[0:1]
	v_rcp_f64_e32 v[7:8], v[5:6]
	v_fma_f64 v[9:10], -v[5:6], v[7:8], 1.0
	v_fma_f64 v[7:8], v[7:8], v[9:10], v[7:8]
	v_fma_f64 v[9:10], -v[5:6], v[7:8], 1.0
	v_fma_f64 v[7:8], v[7:8], v[9:10], v[7:8]
	v_mul_f64 v[9:10], v[11:12], v[7:8]
	v_fma_f64 v[5:6], -v[5:6], v[9:10], v[11:12]
	v_div_fmas_f64 v[5:6], v[5:6], v[7:8], v[9:10]
	v_div_fixup_f64 v[0:1], v[5:6], v[3:4], v[0:1]
                                        ; implicit-def: $vgpr3_vgpr4
.LBB7_1003:
	s_andn2_saveexec_b64 s[0:1], s[12:13]
	s_cbranch_execz .LBB7_1005
; %bb.1004:
	v_mul_f64 v[0:1], v[3:4], v[3:4]
	s_mov_b32 s12, 0x13a86d09
	v_mov_b32_e32 v3, 0x67f544e4
	v_mov_b32_e32 v4, 0xbe5ae645
	s_mov_b32 s13, 0x3de61246
	v_fma_f64 v[3:4], v[0:1], s[12:13], v[3:4]
	s_mov_b32 s12, 0xa556c734
	s_mov_b32 s13, 0x3ec71de3
	v_fma_f64 v[3:4], v[0:1], v[3:4], s[12:13]
	s_mov_b32 s12, 0x1a01a01a
	;; [unrolled: 3-line block ×4, first 2 shown]
	s_mov_b32 s13, 0xbfc55555
	v_fma_f64 v[3:4], v[0:1], v[3:4], s[12:13]
	v_fma_f64 v[0:1], v[0:1], v[3:4], 1.0
.LBB7_1005:
	s_or_b64 exec, exec, s[0:1]
.LBB7_1006:
	s_or_b64 exec, exec, s[10:11]
	s_waitcnt lgkmcnt(0)
	v_mov_b32_e32 v3, s25
	s_and_b32 s18, s73, 0xff
	v_add_co_u32_e32 v5, vcc, s24, v2
	s_cmp_lt_i32 s18, 11
	v_addc_co_u32_e32 v6, vcc, 0, v3, vcc
	s_cbranch_scc1 .LBB7_1016
; %bb.1007:
	s_and_b32 s19, 0xffff, s18
	s_mov_b64 s[12:13], -1
	s_cmp_gt_i32 s19, 25
	s_mov_b64 s[0:1], s[52:53]
	s_cbranch_scc0 .LBB7_1044
; %bb.1008:
	s_mov_b64 s[10:11], -1
	s_cmp_gt_i32 s19, 28
	s_mov_b64 s[0:1], s[52:53]
	s_cbranch_scc0 .LBB7_1028
; %bb.1009:
	s_cmp_gt_i32 s19, 43
	s_mov_b64 s[0:1], s[52:53]
	s_cbranch_scc0 .LBB7_1024
; %bb.1010:
	;; [unrolled: 4-line block ×3, first 2 shown]
	s_cmp_eq_u32 s19, 46
	s_mov_b64 s[0:1], -1
	s_cbranch_scc0 .LBB7_1017
; %bb.1012:
	v_cvt_f32_f64_e32 v2, v[0:1]
	s_movk_i32 s0, 0x7fff
	v_mov_b32_e32 v3, 0x7fc0
	s_mov_b64 s[10:11], 0
	v_bfe_u32 v4, v2, 16, 1
	v_cmp_o_f32_e32 vcc, v2, v2
	v_add3_u32 v2, v2, v4, s0
	v_cndmask_b32_sdwa v2, v3, v2, vcc dst_sel:DWORD dst_unused:UNUSED_PAD src0_sel:DWORD src1_sel:WORD_1
	global_store_dword v[5:6], v2, off
	s_mov_b64 s[0:1], 0
	s_branch .LBB7_1018
.LBB7_1013:
	s_or_b64 exec, exec, s[8:9]
	s_and_saveexec_b64 s[0:1], s[52:53]
	s_cbranch_execnz .LBB7_1086
.LBB7_1014:
	s_or_b64 exec, exec, s[0:1]
	s_and_saveexec_b64 s[0:1], s[12:13]
	s_xor_b64 s[0:1], exec, s[0:1]
	s_cbranch_execz .LBB7_1087
.LBB7_1015:
	v_cmp_neq_f64_e32 vcc, 0, v[0:1]
	v_cndmask_b32_e64 v2, 0, 1, vcc
	global_store_byte v[5:6], v2, off
	s_or_b64 exec, exec, s[0:1]
	s_and_saveexec_b64 s[0:1], s[10:11]
	s_xor_b64 s[0:1], exec, s[0:1]
	s_cbranch_execz .LBB7_1125
	s_branch .LBB7_1088
.LBB7_1016:
	s_mov_b64 s[12:13], 0
	s_mov_b64 s[10:11], -1
	s_mov_b64 s[0:1], s[52:53]
	s_branch .LBB7_1085
.LBB7_1017:
	s_mov_b64 s[10:11], 0
.LBB7_1018:
	s_and_b64 vcc, exec, s[10:11]
	s_cbranch_vccz .LBB7_1023
; %bb.1019:
	s_cmp_eq_u32 s19, 44
	s_mov_b64 s[0:1], -1
	s_cbranch_scc0 .LBB7_1023
; %bb.1020:
	v_cvt_f32_f64_e32 v2, v[0:1]
	s_movk_i32 s0, 0xff
	v_mov_b32_e32 v4, 0xff
	v_bfe_u32 v3, v2, 23, 8
	v_cmp_ne_u32_e32 vcc, s0, v3
	s_and_saveexec_b64 s[10:11], vcc
; %bb.1021:
	s_mov_b32 s0, 0x3fffff
	v_lshrrev_b32_e32 v4, 23, v2
	v_and_b32_e32 v7, 0x400000, v2
	v_and_or_b32 v2, v2, s0, v3
	v_cmp_ne_u32_e32 vcc, 0, v7
	v_cmp_ne_u32_e64 s[0:1], 0, v2
	s_and_b64 s[0:1], vcc, s[0:1]
	v_cndmask_b32_e64 v2, 0, 1, s[0:1]
	v_add_u32_e32 v4, v4, v2
; %bb.1022:
	s_or_b64 exec, exec, s[10:11]
	s_mov_b64 s[0:1], 0
	global_store_byte v[5:6], v4, off
.LBB7_1023:
	s_mov_b64 s[10:11], 0
.LBB7_1024:
	s_and_b64 vcc, exec, s[10:11]
	s_cbranch_vccz .LBB7_1027
; %bb.1025:
	s_cmp_eq_u32 s19, 29
	s_mov_b64 s[0:1], -1
	s_cbranch_scc0 .LBB7_1027
; %bb.1026:
	v_trunc_f64_e32 v[2:3], v[0:1]
	s_movk_i32 s0, 0xffe0
	s_mov_b64 s[10:11], 0
	v_ldexp_f64 v[7:8], v[2:3], s0
	s_mov_b32 s0, 0
	s_mov_b32 s1, 0xc1f00000
	v_floor_f64_e32 v[7:8], v[7:8]
	v_fma_f64 v[2:3], v[7:8], s[0:1], v[2:3]
	v_cvt_u32_f64_e32 v4, v[7:8]
	s_mov_b64 s[0:1], 0
	v_cvt_u32_f64_e32 v3, v[2:3]
	global_store_dwordx2 v[5:6], v[3:4], off
	s_branch .LBB7_1028
.LBB7_1027:
	s_mov_b64 s[10:11], 0
.LBB7_1028:
	s_and_b64 vcc, exec, s[10:11]
	s_cbranch_vccz .LBB7_1043
; %bb.1029:
	s_cmp_lt_i32 s19, 27
	s_mov_b64 s[10:11], -1
	s_cbranch_scc1 .LBB7_1035
; %bb.1030:
	s_cmp_gt_i32 s19, 27
	s_cbranch_scc0 .LBB7_1032
; %bb.1031:
	v_cvt_u32_f64_e32 v2, v[0:1]
	s_mov_b64 s[10:11], 0
	global_store_dword v[5:6], v2, off
.LBB7_1032:
	s_andn2_b64 vcc, exec, s[10:11]
	s_cbranch_vccnz .LBB7_1034
; %bb.1033:
	v_cvt_u32_f64_e32 v2, v[0:1]
	global_store_short v[5:6], v2, off
.LBB7_1034:
	s_mov_b64 s[10:11], 0
.LBB7_1035:
	s_andn2_b64 vcc, exec, s[10:11]
	s_cbranch_vccnz .LBB7_1043
; %bb.1036:
	v_cvt_f32_f64_e32 v2, v[0:1]
	s_mov_b32 s10, 0x43800000
	v_mov_b32_e32 v4, 0x80
	v_and_b32_e32 v3, 0x7fffffff, v2
	v_cmp_gt_u32_e32 vcc, s10, v3
	s_and_saveexec_b64 s[10:11], vcc
	s_cbranch_execz .LBB7_1042
; %bb.1037:
	s_mov_b32 s12, 0x3bffffff
	v_cmp_lt_u32_e32 vcc, s12, v3
	s_mov_b64 s[12:13], 0
                                        ; implicit-def: $vgpr3
	s_and_saveexec_b64 s[14:15], vcc
	s_xor_b64 s[14:15], exec, s[14:15]
	s_cbranch_execz .LBB7_1196
; %bb.1038:
	v_bfe_u32 v3, v2, 20, 1
	s_mov_b32 s16, 0x487ffff
	v_add3_u32 v3, v2, v3, s16
	s_mov_b64 s[12:13], exec
	v_lshrrev_b32_e32 v3, 20, v3
	s_andn2_saveexec_b64 s[14:15], s[14:15]
	s_cbranch_execnz .LBB7_1197
.LBB7_1039:
	s_or_b64 exec, exec, s[14:15]
	v_mov_b32_e32 v4, 0
	s_and_saveexec_b64 s[14:15], s[12:13]
.LBB7_1040:
	v_lshrrev_b32_e32 v2, 24, v2
	s_movk_i32 s12, 0x80
	v_and_or_b32 v4, v2, s12, v3
.LBB7_1041:
	s_or_b64 exec, exec, s[14:15]
.LBB7_1042:
	s_or_b64 exec, exec, s[10:11]
	global_store_byte v[5:6], v4, off
.LBB7_1043:
	s_mov_b64 s[12:13], 0
.LBB7_1044:
	s_mov_b64 s[10:11], 0
	s_and_b64 vcc, exec, s[12:13]
	s_cbranch_vccz .LBB7_1084
; %bb.1045:
	s_cmp_gt_i32 s19, 22
	s_mov_b64 s[12:13], -1
	s_cbranch_scc0 .LBB7_1077
; %bb.1046:
	s_cmp_lt_i32 s19, 24
	s_cbranch_scc1 .LBB7_1066
; %bb.1047:
	s_cmp_gt_i32 s19, 24
	s_cbranch_scc0 .LBB7_1055
; %bb.1048:
	v_cvt_f32_f64_e32 v2, v[0:1]
	s_mov_b32 s12, 0x47800000
	v_mov_b32_e32 v4, 0x80
	v_and_b32_e32 v3, 0x7fffffff, v2
	v_cmp_gt_u32_e32 vcc, s12, v3
	s_and_saveexec_b64 s[12:13], vcc
	s_cbranch_execz .LBB7_1054
; %bb.1049:
	s_mov_b32 s14, 0x37ffffff
	v_cmp_lt_u32_e32 vcc, s14, v3
	s_mov_b64 s[14:15], 0
                                        ; implicit-def: $vgpr3
	s_and_saveexec_b64 s[16:17], vcc
	s_xor_b64 s[16:17], exec, s[16:17]
	s_cbranch_execz .LBB7_1331
; %bb.1050:
	v_bfe_u32 v3, v2, 21, 1
	s_mov_b32 s20, 0x88fffff
	v_add3_u32 v3, v2, v3, s20
	s_mov_b64 s[14:15], exec
	v_lshrrev_b32_e32 v3, 21, v3
	s_andn2_saveexec_b64 s[16:17], s[16:17]
	s_cbranch_execnz .LBB7_1332
.LBB7_1051:
	s_or_b64 exec, exec, s[16:17]
	v_mov_b32_e32 v4, 0
	s_and_saveexec_b64 s[16:17], s[14:15]
.LBB7_1052:
	v_lshrrev_b32_e32 v2, 24, v2
	s_movk_i32 s14, 0x80
	v_and_or_b32 v4, v2, s14, v3
.LBB7_1053:
	s_or_b64 exec, exec, s[16:17]
.LBB7_1054:
	s_or_b64 exec, exec, s[12:13]
	s_mov_b64 s[12:13], 0
	global_store_byte v[5:6], v4, off
.LBB7_1055:
	s_and_b64 vcc, exec, s[12:13]
	s_cbranch_vccz .LBB7_1065
; %bb.1056:
	v_cvt_f32_f64_e32 v2, v[0:1]
	s_mov_b32 s12, 0x43f00000
                                        ; implicit-def: $vgpr3
	v_and_b32_e32 v4, 0x7fffffff, v2
	v_cmp_gt_u32_e32 vcc, s12, v4
	s_and_saveexec_b64 s[12:13], vcc
	s_xor_b64 s[12:13], exec, s[12:13]
	s_cbranch_execz .LBB7_1062
; %bb.1057:
	s_mov_b32 s14, 0x3c7fffff
	v_cmp_lt_u32_e32 vcc, s14, v4
                                        ; implicit-def: $vgpr3
	s_and_saveexec_b64 s[14:15], vcc
	s_xor_b64 s[14:15], exec, s[14:15]
; %bb.1058:
	v_bfe_u32 v3, v2, 20, 1
	s_mov_b32 s16, 0x407ffff
	v_add3_u32 v3, v2, v3, s16
	v_lshrrev_b32_e32 v4, 20, v3
	v_and_b32_e32 v3, 0xff00000, v3
	s_mov_b32 s16, 0x7f00000
	v_mov_b32_e32 v7, 0x7e
	v_cmp_ne_u32_e32 vcc, s16, v3
	v_cndmask_b32_e32 v3, v7, v4, vcc
; %bb.1059:
	s_andn2_saveexec_b64 s[14:15], s[14:15]
; %bb.1060:
	s_mov_b32 s16, 0x46800000
	v_add_f32_e64 v3, |v2|, s16
; %bb.1061:
	s_or_b64 exec, exec, s[14:15]
                                        ; implicit-def: $vgpr4
.LBB7_1062:
	s_andn2_saveexec_b64 s[12:13], s[12:13]
; %bb.1063:
	s_mov_b32 s14, 0x7f800000
	v_mov_b32_e32 v3, 0x7e
	v_mov_b32_e32 v7, 0x7f
	v_cmp_lt_u32_e32 vcc, s14, v4
	v_cndmask_b32_e32 v3, v3, v7, vcc
; %bb.1064:
	s_or_b64 exec, exec, s[12:13]
	v_lshrrev_b32_e32 v2, 24, v2
	s_movk_i32 s12, 0x80
	v_and_or_b32 v2, v2, s12, v3
	global_store_byte v[5:6], v2, off
.LBB7_1065:
	s_mov_b64 s[12:13], 0
.LBB7_1066:
	s_andn2_b64 vcc, exec, s[12:13]
	s_cbranch_vccnz .LBB7_1076
; %bb.1067:
	v_cvt_f32_f64_e32 v2, v[0:1]
	s_mov_b32 s12, 0x47800000
                                        ; implicit-def: $vgpr3
	v_and_b32_e32 v4, 0x7fffffff, v2
	v_cmp_gt_u32_e32 vcc, s12, v4
	s_and_saveexec_b64 s[12:13], vcc
	s_xor_b64 s[12:13], exec, s[12:13]
	s_cbranch_execz .LBB7_1073
; %bb.1068:
	s_mov_b32 s14, 0x387fffff
	v_cmp_lt_u32_e32 vcc, s14, v4
                                        ; implicit-def: $vgpr3
	s_and_saveexec_b64 s[14:15], vcc
	s_xor_b64 s[14:15], exec, s[14:15]
; %bb.1069:
	v_bfe_u32 v3, v2, 21, 1
	s_mov_b32 s16, 0x80fffff
	v_add3_u32 v3, v2, v3, s16
	v_lshrrev_b32_e32 v3, 21, v3
; %bb.1070:
	s_andn2_saveexec_b64 s[14:15], s[14:15]
; %bb.1071:
	s_mov_b32 s16, 0x43000000
	v_add_f32_e64 v3, |v2|, s16
; %bb.1072:
	s_or_b64 exec, exec, s[14:15]
                                        ; implicit-def: $vgpr4
.LBB7_1073:
	s_andn2_saveexec_b64 s[12:13], s[12:13]
; %bb.1074:
	s_mov_b32 s14, 0x7f800000
	v_mov_b32_e32 v3, 0x7c
	v_mov_b32_e32 v7, 0x7f
	v_cmp_lt_u32_e32 vcc, s14, v4
	v_cndmask_b32_e32 v3, v3, v7, vcc
; %bb.1075:
	s_or_b64 exec, exec, s[12:13]
	v_lshrrev_b32_e32 v2, 24, v2
	s_movk_i32 s12, 0x80
	v_and_or_b32 v2, v2, s12, v3
	global_store_byte v[5:6], v2, off
.LBB7_1076:
	s_mov_b64 s[12:13], 0
.LBB7_1077:
	s_andn2_b64 vcc, exec, s[12:13]
	s_mov_b64 s[12:13], 0
	s_cbranch_vccnz .LBB7_1085
; %bb.1078:
	s_cmp_gt_i32 s19, 14
	s_mov_b64 s[14:15], -1
	s_cbranch_scc0 .LBB7_1082
; %bb.1079:
	s_cmp_eq_u32 s19, 15
	s_mov_b64 s[0:1], -1
	s_cbranch_scc0 .LBB7_1081
; %bb.1080:
	v_cvt_f32_f64_e32 v2, v[0:1]
	s_movk_i32 s0, 0x7fff
	v_mov_b32_e32 v3, 0x7fc0
	v_bfe_u32 v4, v2, 16, 1
	v_cmp_o_f32_e32 vcc, v2, v2
	v_add3_u32 v2, v2, v4, s0
	v_cndmask_b32_sdwa v2, v3, v2, vcc dst_sel:DWORD dst_unused:UNUSED_PAD src0_sel:DWORD src1_sel:WORD_1
	global_store_short v[5:6], v2, off
	s_mov_b64 s[0:1], 0
.LBB7_1081:
	s_mov_b64 s[14:15], 0
.LBB7_1082:
	s_and_b64 vcc, exec, s[14:15]
	s_cbranch_vccz .LBB7_1085
; %bb.1083:
	s_cmp_lg_u32 s19, 11
	s_cselect_b64 s[14:15], -1, 0
	s_andn2_b64 s[0:1], s[0:1], exec
	s_and_b64 s[14:15], s[14:15], exec
	s_mov_b64 s[12:13], -1
	s_or_b64 s[0:1], s[0:1], s[14:15]
	s_branch .LBB7_1085
.LBB7_1084:
	s_mov_b64 s[12:13], 0
.LBB7_1085:
	s_andn2_b64 s[14:15], s[52:53], exec
	s_and_b64 s[0:1], s[0:1], exec
	s_and_b64 s[10:11], s[10:11], exec
	;; [unrolled: 1-line block ×3, first 2 shown]
	s_or_b64 s[52:53], s[14:15], s[0:1]
	s_or_b64 exec, exec, s[8:9]
	s_and_saveexec_b64 s[0:1], s[52:53]
	s_cbranch_execz .LBB7_1014
.LBB7_1086:
	s_or_b64 s[2:3], s[2:3], exec
	s_andn2_b64 s[12:13], s[12:13], exec
	s_trap 2
	s_or_b64 exec, exec, s[0:1]
	s_and_saveexec_b64 s[0:1], s[12:13]
	s_xor_b64 s[0:1], exec, s[0:1]
	s_cbranch_execnz .LBB7_1015
.LBB7_1087:
	s_or_b64 exec, exec, s[0:1]
	s_and_saveexec_b64 s[0:1], s[10:11]
	s_xor_b64 s[0:1], exec, s[0:1]
	s_cbranch_execz .LBB7_1125
.LBB7_1088:
	s_sext_i32_i16 s10, s18
	s_cmp_lt_i32 s10, 5
	s_mov_b64 s[8:9], -1
	s_cbranch_scc1 .LBB7_1109
; %bb.1089:
	s_cmp_lt_i32 s10, 8
	s_cbranch_scc1 .LBB7_1099
; %bb.1090:
	s_cmp_lt_i32 s10, 9
	s_cbranch_scc1 .LBB7_1096
; %bb.1091:
	s_cmp_gt_i32 s10, 9
	s_cbranch_scc0 .LBB7_1093
; %bb.1092:
	v_mov_b32_e32 v2, 0
	s_waitcnt vmcnt(0)
	v_mov_b32_e32 v3, v2
	s_mov_b64 s[8:9], 0
	global_store_dwordx4 v[5:6], v[0:3], off
.LBB7_1093:
	s_andn2_b64 vcc, exec, s[8:9]
	s_cbranch_vccnz .LBB7_1095
; %bb.1094:
	v_cvt_f32_f64_e32 v2, v[0:1]
	s_waitcnt vmcnt(0)
	v_mov_b32_e32 v3, 0
	global_store_dwordx2 v[5:6], v[2:3], off
.LBB7_1095:
	s_mov_b64 s[8:9], 0
.LBB7_1096:
	s_andn2_b64 vcc, exec, s[8:9]
	s_cbranch_vccnz .LBB7_1098
; %bb.1097:
	s_movk_i32 s8, 0x1ff
	v_and_or_b32 v2, v1, s8, v0
	v_cmp_ne_u32_e32 vcc, 0, v2
	v_cndmask_b32_e64 v2, 0, 1, vcc
	s_waitcnt vmcnt(0)
	v_lshrrev_b32_e32 v3, 8, v1
	s_movk_i32 s8, 0xffe
	v_bfe_u32 v4, v1, 20, 11
	v_and_or_b32 v2, v3, s8, v2
	v_sub_u32_e32 v7, 0x3f1, v4
	v_or_b32_e32 v3, 0x1000, v2
	v_med3_i32 v7, v7, 0, 13
	v_lshrrev_b32_e32 v8, v7, v3
	v_lshlrev_b32_e32 v7, v7, v8
	v_cmp_ne_u32_e32 vcc, v7, v3
	v_cndmask_b32_e64 v3, 0, 1, vcc
	v_add_u32_e32 v4, 0xfffffc10, v4
	v_or_b32_e32 v3, v8, v3
	v_lshl_or_b32 v7, v4, 12, v2
	v_cmp_gt_i32_e32 vcc, 1, v4
	v_cndmask_b32_e32 v3, v7, v3, vcc
	v_and_b32_e32 v7, 7, v3
	v_cmp_lt_i32_e32 vcc, 5, v7
	v_cndmask_b32_e64 v8, 0, 1, vcc
	v_cmp_eq_u32_e32 vcc, 3, v7
	v_cndmask_b32_e64 v7, 0, 1, vcc
	v_or_b32_e32 v7, v7, v8
	v_lshrrev_b32_e32 v3, 2, v3
	v_add_u32_e32 v3, v3, v7
	v_mov_b32_e32 v7, 0x7c00
	v_cmp_gt_i32_e32 vcc, 31, v4
	v_cndmask_b32_e32 v3, v7, v3, vcc
	v_mov_b32_e32 v8, 0x7e00
	v_cmp_ne_u32_e32 vcc, 0, v2
	s_movk_i32 s8, 0x40f
	v_cndmask_b32_e32 v2, v7, v8, vcc
	v_cmp_eq_u32_e32 vcc, s8, v4
	v_cndmask_b32_e32 v2, v3, v2, vcc
	v_lshrrev_b32_e32 v3, 16, v1
	s_mov_b32 s8, 0x8000
	v_and_or_b32 v2, v3, s8, v2
	v_and_b32_e32 v2, 0xffff, v2
	global_store_dword v[5:6], v2, off
.LBB7_1098:
	s_mov_b64 s[8:9], 0
.LBB7_1099:
	s_andn2_b64 vcc, exec, s[8:9]
	s_cbranch_vccnz .LBB7_1108
; %bb.1100:
	s_sext_i32_i16 s10, s18
	s_cmp_lt_i32 s10, 6
	s_mov_b64 s[8:9], -1
	s_cbranch_scc1 .LBB7_1106
; %bb.1101:
	s_cmp_gt_i32 s10, 6
	s_cbranch_scc0 .LBB7_1103
; %bb.1102:
	s_mov_b64 s[8:9], 0
	global_store_dwordx2 v[5:6], v[0:1], off
.LBB7_1103:
	s_andn2_b64 vcc, exec, s[8:9]
	s_cbranch_vccnz .LBB7_1105
; %bb.1104:
	v_cvt_f32_f64_e32 v2, v[0:1]
	global_store_dword v[5:6], v2, off
.LBB7_1105:
	s_mov_b64 s[8:9], 0
.LBB7_1106:
	s_andn2_b64 vcc, exec, s[8:9]
	s_cbranch_vccnz .LBB7_1108
; %bb.1107:
	s_movk_i32 s8, 0x1ff
	v_and_or_b32 v2, v1, s8, v0
	v_cmp_ne_u32_e32 vcc, 0, v2
	v_cndmask_b32_e64 v2, 0, 1, vcc
	s_waitcnt vmcnt(0)
	v_lshrrev_b32_e32 v3, 8, v1
	s_movk_i32 s8, 0xffe
	v_bfe_u32 v4, v1, 20, 11
	v_and_or_b32 v2, v3, s8, v2
	v_sub_u32_e32 v7, 0x3f1, v4
	v_or_b32_e32 v3, 0x1000, v2
	v_med3_i32 v7, v7, 0, 13
	v_lshrrev_b32_e32 v8, v7, v3
	v_lshlrev_b32_e32 v7, v7, v8
	v_cmp_ne_u32_e32 vcc, v7, v3
	v_cndmask_b32_e64 v3, 0, 1, vcc
	v_add_u32_e32 v4, 0xfffffc10, v4
	v_or_b32_e32 v3, v8, v3
	v_lshl_or_b32 v7, v4, 12, v2
	v_cmp_gt_i32_e32 vcc, 1, v4
	v_cndmask_b32_e32 v3, v7, v3, vcc
	v_and_b32_e32 v7, 7, v3
	v_cmp_lt_i32_e32 vcc, 5, v7
	v_cndmask_b32_e64 v8, 0, 1, vcc
	v_cmp_eq_u32_e32 vcc, 3, v7
	v_cndmask_b32_e64 v7, 0, 1, vcc
	v_or_b32_e32 v7, v7, v8
	v_lshrrev_b32_e32 v3, 2, v3
	v_add_u32_e32 v3, v3, v7
	v_mov_b32_e32 v7, 0x7c00
	v_cmp_gt_i32_e32 vcc, 31, v4
	v_cndmask_b32_e32 v3, v7, v3, vcc
	v_mov_b32_e32 v8, 0x7e00
	v_cmp_ne_u32_e32 vcc, 0, v2
	s_movk_i32 s8, 0x40f
	v_cndmask_b32_e32 v2, v7, v8, vcc
	v_cmp_eq_u32_e32 vcc, s8, v4
	v_cndmask_b32_e32 v2, v3, v2, vcc
	v_lshrrev_b32_e32 v3, 16, v1
	s_mov_b32 s8, 0x8000
	v_and_or_b32 v2, v3, s8, v2
	global_store_short v[5:6], v2, off
.LBB7_1108:
	s_mov_b64 s[8:9], 0
.LBB7_1109:
	s_andn2_b64 vcc, exec, s[8:9]
	s_cbranch_vccnz .LBB7_1125
; %bb.1110:
	s_sext_i32_i16 s10, s18
	s_cmp_lt_i32 s10, 2
	s_mov_b64 s[8:9], -1
	s_cbranch_scc1 .LBB7_1120
; %bb.1111:
	s_cmp_lt_i32 s10, 3
	s_cbranch_scc1 .LBB7_1117
; %bb.1112:
	s_cmp_gt_i32 s10, 3
	s_cbranch_scc0 .LBB7_1114
; %bb.1113:
	s_waitcnt vmcnt(0)
	v_trunc_f64_e32 v[2:3], v[0:1]
	s_movk_i32 s8, 0xffe0
	v_ldexp_f64 v[7:8], v[2:3], s8
	s_mov_b32 s8, 0
	s_mov_b32 s9, 0xc1f00000
	v_floor_f64_e32 v[7:8], v[7:8]
	v_fma_f64 v[2:3], v[7:8], s[8:9], v[2:3]
	v_cvt_i32_f64_e32 v4, v[7:8]
	s_mov_b64 s[8:9], 0
	v_cvt_u32_f64_e32 v3, v[2:3]
	global_store_dwordx2 v[5:6], v[3:4], off
.LBB7_1114:
	s_andn2_b64 vcc, exec, s[8:9]
	s_cbranch_vccnz .LBB7_1116
; %bb.1115:
	v_cvt_i32_f64_e32 v2, v[0:1]
	global_store_dword v[5:6], v2, off
.LBB7_1116:
	s_mov_b64 s[8:9], 0
.LBB7_1117:
	s_andn2_b64 vcc, exec, s[8:9]
	s_cbranch_vccnz .LBB7_1119
; %bb.1118:
	v_cvt_i32_f64_e32 v2, v[0:1]
	global_store_short v[5:6], v2, off
.LBB7_1119:
	s_mov_b64 s[8:9], 0
.LBB7_1120:
	s_andn2_b64 vcc, exec, s[8:9]
	s_cbranch_vccnz .LBB7_1125
; %bb.1121:
	s_sext_i32_i16 s8, s18
	s_cmp_gt_i32 s8, 0
	s_mov_b64 s[8:9], -1
	s_cbranch_scc0 .LBB7_1123
; %bb.1122:
	v_cvt_i32_f64_e32 v2, v[0:1]
	s_mov_b64 s[8:9], 0
	global_store_byte v[5:6], v2, off
.LBB7_1123:
	s_andn2_b64 vcc, exec, s[8:9]
	s_cbranch_vccnz .LBB7_1125
; %bb.1124:
	v_trunc_f64_e32 v[0:1], v[0:1]
	s_movk_i32 s8, 0xffe0
	s_waitcnt vmcnt(0)
	v_ldexp_f64 v[2:3], v[0:1], s8
	s_mov_b32 s8, 0
	s_mov_b32 s9, 0xc1f00000
	v_floor_f64_e32 v[2:3], v[2:3]
	v_fma_f64 v[0:1], v[2:3], s[8:9], v[0:1]
	v_cvt_u32_f64_e32 v0, v[0:1]
	global_store_byte v[5:6], v0, off
.LBB7_1125:
	s_or_b64 exec, exec, s[0:1]
	s_waitcnt lgkmcnt(0)
	s_and_b64 s[28:29], s[2:3], exec
                                        ; implicit-def: $vgpr5
                                        ; implicit-def: $vgpr8
.LBB7_1126:
	s_or_saveexec_b64 s[30:31], s[42:43]
	s_mov_b64 s[0:1], 0
                                        ; implicit-def: $vgpr0_vgpr1
                                        ; implicit-def: $sgpr14
                                        ; implicit-def: $vgpr12_vgpr13
	s_xor_b64 exec, exec, s[30:31]
	s_cbranch_execz .LBB7_1816
; %bb.1127:
	v_cndmask_b32_e64 v0, 0, 1, s[40:41]
	v_cmp_ne_u32_e64 s[0:1], 1, v0
	s_andn2_b64 vcc, exec, s[40:41]
	s_cbranch_vccnz .LBB7_1133
; %bb.1128:
	s_cmp_lg_u32 s33, 0
	s_mov_b32 s36, 0
	s_cbranch_scc0 .LBB7_1134
; %bb.1129:
	s_min_u32 s37, s72, 15
	s_add_i32 s37, s37, 1
	s_cmp_eq_u32 s72, 2
	s_cbranch_scc1 .LBB7_1135
; %bb.1130:
	s_and_b32 s36, s37, 28
	s_add_u32 s2, s34, 0xc4
	s_addc_u32 s3, s35, 0
	v_mov_b32_e32 v0, 0
	s_mov_b32 s38, 0
	s_mov_b64 s[6:7], s[34:35]
	v_mov_b32_e32 v2, 0
	v_mov_b32_e32 v1, v8
.LBB7_1131:                             ; =>This Inner Loop Header: Depth=1
	s_load_dwordx8 s[16:23], s[6:7], 0x4
	s_load_dwordx4 s[24:27], s[6:7], 0x24
	s_load_dwordx8 s[8:15], s[2:3], 0x0
	s_add_u32 s6, s6, 48
	s_addc_u32 s7, s7, 0
	s_waitcnt vmcnt(0) lgkmcnt(0)
	v_mul_hi_u32 v3, s17, v1
	s_add_i32 s38, s38, 4
	s_add_u32 s2, s2, 32
	s_addc_u32 s3, s3, 0
	v_add_u32_e32 v3, v1, v3
	v_lshrrev_b32_e32 v3, s18, v3
	v_mul_lo_u32 v4, v3, s16
	v_mul_hi_u32 v6, s20, v3
	s_cmp_lg_u32 s36, s38
	v_sub_u32_e32 v1, v1, v4
	v_add_u32_e32 v4, v3, v6
	v_mul_lo_u32 v6, v1, s8
	v_mul_lo_u32 v7, v1, s9
	v_lshrrev_b32_e32 v1, s21, v4
	v_mul_lo_u32 v4, v1, s19
	v_mul_hi_u32 v9, s23, v1
	v_sub_u32_e32 v3, v3, v4
	v_add_u32_e32 v4, v1, v9
	v_lshrrev_b32_e32 v4, s24, v4
	v_mul_hi_u32 v10, s26, v4
	v_mul_lo_u32 v11, v4, s22
	v_mul_lo_u32 v9, v3, s10
	;; [unrolled: 1-line block ×3, first 2 shown]
	v_sub_u32_e32 v11, v1, v11
	v_add_u32_e32 v1, v4, v10
	v_lshrrev_b32_e32 v1, s27, v1
	v_mul_lo_u32 v10, v1, s25
	v_mul_lo_u32 v12, v11, s12
	;; [unrolled: 1-line block ×3, first 2 shown]
	v_add3_u32 v2, v6, v2, v9
	v_sub_u32_e32 v4, v4, v10
	v_mul_lo_u32 v10, v4, s14
	v_mul_lo_u32 v4, v4, s15
	v_add3_u32 v0, v7, v0, v3
	v_add3_u32 v2, v12, v2, v10
	;; [unrolled: 1-line block ×3, first 2 shown]
	s_cbranch_scc1 .LBB7_1131
; %bb.1132:
	s_and_b32 s8, s37, 3
	s_cmp_eq_u32 s8, 0
	s_cbranch_scc0 .LBB7_1136
	s_branch .LBB7_1138
.LBB7_1133:
                                        ; implicit-def: $vgpr2
                                        ; implicit-def: $vgpr0
	s_branch .LBB7_1139
.LBB7_1134:
	v_mov_b32_e32 v2, 0
	v_mov_b32_e32 v0, 0
	s_branch .LBB7_1138
.LBB7_1135:
	v_mov_b32_e32 v2, 0
	v_mov_b32_e32 v0, 0
	;; [unrolled: 1-line block ×3, first 2 shown]
	s_and_b32 s8, s37, 3
	s_cmp_eq_u32 s8, 0
	s_cbranch_scc1 .LBB7_1138
.LBB7_1136:
	s_lshl_b32 s2, s36, 3
	s_add_u32 s2, s34, s2
	s_addc_u32 s3, s35, 0
	s_add_u32 s2, s2, 0xc4
	s_addc_u32 s3, s3, 0
	s_mul_i32 s6, s36, 12
	s_add_u32 s6, s34, s6
	s_addc_u32 s7, s35, 0
.LBB7_1137:                             ; =>This Inner Loop Header: Depth=1
	s_load_dwordx2 s[10:11], s[6:7], 0x4
	s_load_dword s9, s[6:7], 0xc
	s_load_dwordx2 s[12:13], s[2:3], 0x0
	s_add_u32 s6, s6, 12
	s_addc_u32 s7, s7, 0
	s_waitcnt vmcnt(0) lgkmcnt(0)
	v_mul_hi_u32 v3, s11, v1
	s_add_u32 s2, s2, 8
	s_addc_u32 s3, s3, 0
	s_add_i32 s8, s8, -1
	v_add_u32_e32 v3, v1, v3
	v_lshrrev_b32_e32 v4, s9, v3
	v_mul_lo_u32 v3, v4, s10
	s_cmp_lg_u32 s8, 0
	v_sub_u32_e32 v1, v1, v3
	v_mad_u64_u32 v[2:3], s[10:11], v1, s12, v[2:3]
	v_mad_u64_u32 v[0:1], s[10:11], v1, s13, v[0:1]
	v_mov_b32_e32 v1, v4
	s_cbranch_scc1 .LBB7_1137
.LBB7_1138:
	s_cbranch_execnz .LBB7_1141
.LBB7_1139:
	s_load_dwordx4 s[8:11], s[34:35], 0x4
	s_load_dwordx2 s[2:3], s[34:35], 0xc4
	s_cmp_lt_u32 s33, 2
	s_waitcnt lgkmcnt(0)
	v_mul_hi_u32 v0, s9, v8
	v_add_u32_e32 v0, v8, v0
	v_lshrrev_b32_e32 v1, s10, v0
	v_mul_lo_u32 v0, v1, s8
	v_sub_u32_e32 v0, v8, v0
	v_mul_lo_u32 v2, v0, s2
	v_mul_lo_u32 v0, v0, s3
	s_cbranch_scc1 .LBB7_1141
; %bb.1140:
	s_load_dwordx4 s[8:11], s[34:35], 0x10
	s_load_dwordx2 s[2:3], s[34:35], 0xcc
	s_waitcnt vmcnt(0) lgkmcnt(0)
	v_mul_hi_u32 v3, s9, v1
	v_add_u32_e32 v3, v1, v3
	v_lshrrev_b32_e32 v3, s10, v3
	v_mul_lo_u32 v3, v3, s8
	v_sub_u32_e32 v1, v1, v3
	v_mad_u64_u32 v[2:3], s[6:7], v1, s2, v[2:3]
	v_mad_u64_u32 v[0:1], s[2:3], v1, s3, v[0:1]
.LBB7_1141:
	s_and_b64 vcc, exec, s[0:1]
	v_add_u32_e32 v1, 0x80, v8
	s_cbranch_vccnz .LBB7_1147
; %bb.1142:
	s_cmp_lg_u32 s33, 0
	s_mov_b32 s36, 0
	s_cbranch_scc0 .LBB7_1148
; %bb.1143:
	s_min_u32 s37, s72, 15
	s_add_i32 s37, s37, 1
	s_cmp_eq_u32 s72, 2
	s_cbranch_scc1 .LBB7_1149
; %bb.1144:
	s_and_b32 s36, s37, 28
	s_add_u32 s2, s34, 0xc4
	s_addc_u32 s3, s35, 0
	v_mov_b32_e32 v9, 0
	s_mov_b32 s38, 0
	s_mov_b64 s[6:7], s[34:35]
	v_mov_b32_e32 v6, 0
	s_waitcnt vmcnt(0)
	v_mov_b32_e32 v3, v1
.LBB7_1145:                             ; =>This Inner Loop Header: Depth=1
	s_load_dwordx8 s[16:23], s[6:7], 0x4
	s_load_dwordx4 s[24:27], s[6:7], 0x24
	s_load_dwordx8 s[8:15], s[2:3], 0x0
	s_add_u32 s6, s6, 48
	s_addc_u32 s7, s7, 0
	s_waitcnt lgkmcnt(0)
	v_mul_hi_u32 v4, s17, v3
	s_add_i32 s38, s38, 4
	s_add_u32 s2, s2, 32
	s_addc_u32 s3, s3, 0
	v_add_u32_e32 v4, v3, v4
	v_lshrrev_b32_e32 v4, s18, v4
	v_mul_lo_u32 v7, v4, s16
	v_mul_hi_u32 v10, s20, v4
	s_cmp_lg_u32 s36, s38
	v_sub_u32_e32 v3, v3, v7
	v_add_u32_e32 v7, v4, v10
	v_mul_lo_u32 v10, v3, s8
	v_mul_lo_u32 v11, v3, s9
	v_lshrrev_b32_e32 v3, s21, v7
	v_mul_lo_u32 v7, v3, s19
	v_mul_hi_u32 v12, s23, v3
	v_sub_u32_e32 v4, v4, v7
	v_add_u32_e32 v7, v3, v12
	v_lshrrev_b32_e32 v7, s24, v7
	v_mul_hi_u32 v13, s26, v7
	v_mul_lo_u32 v14, v7, s22
	v_mul_lo_u32 v12, v4, s10
	;; [unrolled: 1-line block ×3, first 2 shown]
	v_sub_u32_e32 v14, v3, v14
	v_add_u32_e32 v3, v7, v13
	v_lshrrev_b32_e32 v3, s27, v3
	v_mul_lo_u32 v13, v3, s25
	v_mul_lo_u32 v15, v14, s12
	;; [unrolled: 1-line block ×3, first 2 shown]
	v_add3_u32 v6, v10, v6, v12
	v_sub_u32_e32 v7, v7, v13
	v_mul_lo_u32 v13, v7, s14
	v_mul_lo_u32 v7, v7, s15
	v_add3_u32 v4, v11, v9, v4
	v_add3_u32 v6, v15, v6, v13
	;; [unrolled: 1-line block ×3, first 2 shown]
	s_cbranch_scc1 .LBB7_1145
; %bb.1146:
	s_and_b32 s8, s37, 3
	s_cmp_eq_u32 s8, 0
	s_cbranch_scc0 .LBB7_1150
	s_branch .LBB7_1152
.LBB7_1147:
                                        ; implicit-def: $vgpr6
                                        ; implicit-def: $vgpr9
	s_branch .LBB7_1153
.LBB7_1148:
	v_mov_b32_e32 v6, 0
	v_mov_b32_e32 v9, 0
	s_branch .LBB7_1152
.LBB7_1149:
	v_mov_b32_e32 v6, 0
	v_mov_b32_e32 v9, 0
	s_waitcnt vmcnt(0)
	v_mov_b32_e32 v3, v1
	s_and_b32 s8, s37, 3
	s_cmp_eq_u32 s8, 0
	s_cbranch_scc1 .LBB7_1152
.LBB7_1150:
	s_lshl_b32 s2, s36, 3
	s_add_u32 s2, s34, s2
	s_addc_u32 s3, s35, 0
	s_add_u32 s2, s2, 0xc4
	s_addc_u32 s3, s3, 0
	s_mul_i32 s6, s36, 12
	s_add_u32 s6, s34, s6
	s_addc_u32 s7, s35, 0
.LBB7_1151:                             ; =>This Inner Loop Header: Depth=1
	s_load_dwordx2 s[10:11], s[6:7], 0x4
	s_load_dword s9, s[6:7], 0xc
	s_load_dwordx2 s[12:13], s[2:3], 0x0
	s_add_u32 s6, s6, 12
	s_addc_u32 s7, s7, 0
	s_waitcnt lgkmcnt(0)
	v_mul_hi_u32 v4, s11, v3
	s_add_u32 s2, s2, 8
	s_addc_u32 s3, s3, 0
	s_add_i32 s8, s8, -1
	v_add_u32_e32 v4, v3, v4
	v_lshrrev_b32_e32 v4, s9, v4
	v_mul_lo_u32 v7, v4, s10
	s_cmp_lg_u32 s8, 0
	v_sub_u32_e32 v3, v3, v7
	v_mad_u64_u32 v[6:7], s[10:11], v3, s12, v[6:7]
	v_mad_u64_u32 v[9:10], s[10:11], v3, s13, v[9:10]
	v_mov_b32_e32 v3, v4
	s_cbranch_scc1 .LBB7_1151
.LBB7_1152:
	s_cbranch_execnz .LBB7_1155
.LBB7_1153:
	s_load_dwordx4 s[8:11], s[34:35], 0x4
	s_load_dwordx2 s[2:3], s[34:35], 0xc4
	s_cmp_lt_u32 s33, 2
	s_waitcnt vmcnt(0) lgkmcnt(0)
	v_mul_hi_u32 v3, s9, v1
	v_add_u32_e32 v3, v1, v3
	v_lshrrev_b32_e32 v3, s10, v3
	v_mul_lo_u32 v4, v3, s8
	v_sub_u32_e32 v1, v1, v4
	v_mul_lo_u32 v6, v1, s2
	v_mul_lo_u32 v9, v1, s3
	s_cbranch_scc1 .LBB7_1155
; %bb.1154:
	s_load_dwordx4 s[8:11], s[34:35], 0x10
	s_load_dwordx2 s[2:3], s[34:35], 0xcc
	s_waitcnt lgkmcnt(0)
	v_mul_hi_u32 v1, s9, v3
	v_add_u32_e32 v1, v3, v1
	v_lshrrev_b32_e32 v1, s10, v1
	v_mul_lo_u32 v1, v1, s8
	v_sub_u32_e32 v1, v3, v1
	v_mad_u64_u32 v[6:7], s[6:7], v1, s2, v[6:7]
	v_mad_u64_u32 v[9:10], s[2:3], v1, s3, v[9:10]
.LBB7_1155:
	s_and_b64 vcc, exec, s[0:1]
	v_add_u32_e32 v1, 0x100, v8
	s_cbranch_vccnz .LBB7_1161
; %bb.1156:
	s_cmp_lg_u32 s33, 0
	s_mov_b32 s36, 0
	s_cbranch_scc0 .LBB7_1162
; %bb.1157:
	s_min_u32 s37, s72, 15
	s_add_i32 s37, s37, 1
	s_cmp_eq_u32 s72, 2
	s_cbranch_scc1 .LBB7_1163
; %bb.1158:
	s_and_b32 s36, s37, 28
	s_add_u32 s2, s34, 0xc4
	s_addc_u32 s3, s35, 0
	v_mov_b32_e32 v7, 0
	s_mov_b32 s38, 0
	s_mov_b64 s[6:7], s[34:35]
	v_mov_b32_e32 v10, 0
	s_waitcnt vmcnt(0)
	v_mov_b32_e32 v3, v1
.LBB7_1159:                             ; =>This Inner Loop Header: Depth=1
	s_load_dwordx8 s[16:23], s[6:7], 0x4
	s_load_dwordx4 s[24:27], s[6:7], 0x24
	s_load_dwordx8 s[8:15], s[2:3], 0x0
	s_add_u32 s6, s6, 48
	s_addc_u32 s7, s7, 0
	s_waitcnt lgkmcnt(0)
	v_mul_hi_u32 v4, s17, v3
	s_add_i32 s38, s38, 4
	s_add_u32 s2, s2, 32
	s_addc_u32 s3, s3, 0
	v_add_u32_e32 v4, v3, v4
	v_lshrrev_b32_e32 v4, s18, v4
	v_mul_lo_u32 v8, v4, s16
	v_mul_hi_u32 v11, s20, v4
	s_cmp_lg_u32 s36, s38
	v_sub_u32_e32 v3, v3, v8
	v_add_u32_e32 v8, v4, v11
	v_mul_lo_u32 v11, v3, s8
	v_mul_lo_u32 v12, v3, s9
	v_lshrrev_b32_e32 v3, s21, v8
	v_mul_lo_u32 v8, v3, s19
	v_mul_hi_u32 v13, s23, v3
	v_sub_u32_e32 v4, v4, v8
	v_add_u32_e32 v8, v3, v13
	v_lshrrev_b32_e32 v8, s24, v8
	v_mul_hi_u32 v14, s26, v8
	v_mul_lo_u32 v15, v8, s22
	v_mul_lo_u32 v13, v4, s10
	;; [unrolled: 1-line block ×3, first 2 shown]
	v_sub_u32_e32 v15, v3, v15
	v_add_u32_e32 v3, v8, v14
	v_lshrrev_b32_e32 v3, s27, v3
	v_mul_lo_u32 v14, v3, s25
	v_mul_lo_u32 v16, v15, s12
	;; [unrolled: 1-line block ×3, first 2 shown]
	v_add3_u32 v10, v11, v10, v13
	v_sub_u32_e32 v8, v8, v14
	v_mul_lo_u32 v14, v8, s14
	v_mul_lo_u32 v8, v8, s15
	v_add3_u32 v4, v12, v7, v4
	v_add3_u32 v10, v16, v10, v14
	;; [unrolled: 1-line block ×3, first 2 shown]
	s_cbranch_scc1 .LBB7_1159
; %bb.1160:
	s_and_b32 s8, s37, 3
	s_cmp_eq_u32 s8, 0
	s_cbranch_scc0 .LBB7_1164
	s_branch .LBB7_1166
.LBB7_1161:
                                        ; implicit-def: $vgpr10
                                        ; implicit-def: $vgpr7
	s_branch .LBB7_1167
.LBB7_1162:
	v_mov_b32_e32 v10, 0
	v_mov_b32_e32 v7, 0
	s_branch .LBB7_1166
.LBB7_1163:
	v_mov_b32_e32 v10, 0
	v_mov_b32_e32 v7, 0
	s_waitcnt vmcnt(0)
	v_mov_b32_e32 v3, v1
	s_and_b32 s8, s37, 3
	s_cmp_eq_u32 s8, 0
	s_cbranch_scc1 .LBB7_1166
.LBB7_1164:
	s_lshl_b32 s2, s36, 3
	s_add_u32 s2, s34, s2
	s_addc_u32 s3, s35, 0
	s_add_u32 s2, s2, 0xc4
	s_addc_u32 s3, s3, 0
	s_mul_i32 s6, s36, 12
	s_add_u32 s6, s34, s6
	s_addc_u32 s7, s35, 0
.LBB7_1165:                             ; =>This Inner Loop Header: Depth=1
	s_load_dwordx2 s[10:11], s[6:7], 0x4
	s_load_dword s9, s[6:7], 0xc
	s_load_dwordx2 s[12:13], s[2:3], 0x0
	s_add_u32 s6, s6, 12
	s_addc_u32 s7, s7, 0
	s_waitcnt lgkmcnt(0)
	v_mul_hi_u32 v4, s11, v3
	s_add_u32 s2, s2, 8
	s_addc_u32 s3, s3, 0
	s_add_i32 s8, s8, -1
	v_add_u32_e32 v4, v3, v4
	v_lshrrev_b32_e32 v4, s9, v4
	v_mul_lo_u32 v8, v4, s10
	s_cmp_lg_u32 s8, 0
	v_sub_u32_e32 v3, v3, v8
	v_mad_u64_u32 v[10:11], s[10:11], v3, s12, v[10:11]
	v_mad_u64_u32 v[7:8], s[10:11], v3, s13, v[7:8]
	v_mov_b32_e32 v3, v4
	s_cbranch_scc1 .LBB7_1165
.LBB7_1166:
	s_cbranch_execnz .LBB7_1169
.LBB7_1167:
	s_load_dwordx4 s[8:11], s[34:35], 0x4
	s_load_dwordx2 s[2:3], s[34:35], 0xc4
	s_cmp_lt_u32 s33, 2
	s_waitcnt vmcnt(0) lgkmcnt(0)
	v_mul_hi_u32 v3, s9, v1
	v_add_u32_e32 v3, v1, v3
	v_lshrrev_b32_e32 v3, s10, v3
	v_mul_lo_u32 v4, v3, s8
	v_sub_u32_e32 v1, v1, v4
	v_mul_lo_u32 v10, v1, s2
	v_mul_lo_u32 v7, v1, s3
	s_cbranch_scc1 .LBB7_1169
; %bb.1168:
	s_load_dwordx4 s[8:11], s[34:35], 0x10
	s_load_dwordx2 s[2:3], s[34:35], 0xcc
	s_waitcnt lgkmcnt(0)
	v_mul_hi_u32 v1, s9, v3
	v_add_u32_e32 v1, v3, v1
	v_lshrrev_b32_e32 v1, s10, v1
	v_mul_lo_u32 v1, v1, s8
	v_sub_u32_e32 v1, v3, v1
	v_mad_u64_u32 v[10:11], s[6:7], v1, s2, v[10:11]
	v_mad_u64_u32 v[7:8], s[2:3], v1, s3, v[7:8]
.LBB7_1169:
	s_and_b64 vcc, exec, s[0:1]
	s_cbranch_vccnz .LBB7_1175
; %bb.1170:
	s_cmp_lg_u32 s33, 0
	s_mov_b32 s26, 0
	s_cbranch_scc0 .LBB7_1176
; %bb.1171:
	s_min_u32 s27, s72, 15
	s_add_i32 s27, s27, 1
	s_cmp_eq_u32 s72, 2
	s_cbranch_scc1 .LBB7_1177
; %bb.1172:
	s_and_b32 s26, s27, 28
	s_add_u32 s6, s34, 0xc4
	s_addc_u32 s7, s35, 0
	s_waitcnt vmcnt(0)
	v_mov_b32_e32 v3, 0
	s_mov_b32 s36, 0
	s_mov_b64 s[24:25], s[34:35]
	v_mov_b32_e32 v14, 0
	v_mov_b32_e32 v1, v5
.LBB7_1173:                             ; =>This Inner Loop Header: Depth=1
	s_load_dwordx8 s[16:23], s[24:25], 0x4
	s_load_dwordx4 s[0:3], s[24:25], 0x24
	s_load_dwordx8 s[8:15], s[6:7], 0x0
	s_add_u32 s24, s24, 48
	s_addc_u32 s25, s25, 0
	s_waitcnt lgkmcnt(0)
	v_mul_hi_u32 v4, s17, v1
	s_add_i32 s36, s36, 4
	s_add_u32 s6, s6, 32
	s_addc_u32 s7, s7, 0
	v_add_u32_e32 v4, v1, v4
	v_lshrrev_b32_e32 v4, s18, v4
	v_mul_lo_u32 v8, v4, s16
	v_mul_hi_u32 v11, s20, v4
	s_cmp_lg_u32 s26, s36
	v_sub_u32_e32 v1, v1, v8
	v_add_u32_e32 v8, v4, v11
	v_mul_lo_u32 v11, v1, s8
	v_mul_lo_u32 v12, v1, s9
	v_lshrrev_b32_e32 v1, s21, v8
	v_mul_lo_u32 v8, v1, s19
	v_mul_hi_u32 v13, s23, v1
	v_sub_u32_e32 v4, v4, v8
	v_add_u32_e32 v8, v1, v13
	v_lshrrev_b32_e32 v8, s0, v8
	v_mul_hi_u32 v15, s2, v8
	v_mul_lo_u32 v16, v8, s22
	v_mul_lo_u32 v13, v4, s10
	;; [unrolled: 1-line block ×3, first 2 shown]
	v_sub_u32_e32 v16, v1, v16
	v_add_u32_e32 v1, v8, v15
	v_lshrrev_b32_e32 v1, s3, v1
	v_mul_lo_u32 v15, v1, s1
	v_mul_lo_u32 v17, v16, s12
	;; [unrolled: 1-line block ×3, first 2 shown]
	v_add3_u32 v11, v11, v14, v13
	v_sub_u32_e32 v8, v8, v15
	v_mul_lo_u32 v15, v8, s14
	v_mul_lo_u32 v8, v8, s15
	v_add3_u32 v3, v12, v3, v4
	v_add3_u32 v14, v17, v11, v15
	;; [unrolled: 1-line block ×3, first 2 shown]
	s_cbranch_scc1 .LBB7_1173
; %bb.1174:
	s_and_b32 s6, s27, 3
	s_cmp_eq_u32 s6, 0
	s_cbranch_scc0 .LBB7_1178
	s_branch .LBB7_1180
.LBB7_1175:
                                        ; implicit-def: $vgpr14
                                        ; implicit-def: $vgpr3
	s_branch .LBB7_1181
.LBB7_1176:
	v_mov_b32_e32 v14, 0
	s_waitcnt vmcnt(0)
	v_mov_b32_e32 v3, 0
	s_branch .LBB7_1180
.LBB7_1177:
	v_mov_b32_e32 v14, 0
	s_waitcnt vmcnt(0)
	v_mov_b32_e32 v3, 0
	v_mov_b32_e32 v1, v5
	s_and_b32 s6, s27, 3
	s_cmp_eq_u32 s6, 0
	s_cbranch_scc1 .LBB7_1180
.LBB7_1178:
	s_lshl_b32 s0, s26, 3
	s_add_u32 s0, s34, s0
	s_addc_u32 s1, s35, 0
	s_add_u32 s0, s0, 0xc4
	s_addc_u32 s1, s1, 0
	s_mul_i32 s2, s26, 12
	s_add_u32 s2, s34, s2
	s_addc_u32 s3, s35, 0
.LBB7_1179:                             ; =>This Inner Loop Header: Depth=1
	s_load_dwordx2 s[8:9], s[2:3], 0x4
	s_load_dword s7, s[2:3], 0xc
	s_load_dwordx2 s[10:11], s[0:1], 0x0
	s_add_u32 s2, s2, 12
	s_addc_u32 s3, s3, 0
	s_waitcnt lgkmcnt(0)
	v_mul_hi_u32 v4, s9, v1
	s_add_u32 s0, s0, 8
	s_addc_u32 s1, s1, 0
	s_add_i32 s6, s6, -1
	v_add_u32_e32 v4, v1, v4
	v_lshrrev_b32_e32 v8, s7, v4
	v_mul_lo_u32 v4, v8, s8
	s_cmp_lg_u32 s6, 0
	v_sub_u32_e32 v1, v1, v4
	v_mad_u64_u32 v[14:15], s[8:9], v1, s10, v[14:15]
	v_mad_u64_u32 v[3:4], s[8:9], v1, s11, v[3:4]
	v_mov_b32_e32 v1, v8
	s_cbranch_scc1 .LBB7_1179
.LBB7_1180:
	s_cbranch_execnz .LBB7_1183
.LBB7_1181:
	s_load_dwordx4 s[0:3], s[34:35], 0x4
	s_load_dwordx2 s[6:7], s[34:35], 0xc4
	s_cmp_lt_u32 s33, 2
	s_waitcnt lgkmcnt(0)
	v_mul_hi_u32 v1, s1, v5
	v_add_u32_e32 v1, v5, v1
	v_lshrrev_b32_e32 v1, s2, v1
	s_waitcnt vmcnt(0)
	v_mul_lo_u32 v3, v1, s0
	v_sub_u32_e32 v3, v5, v3
	v_mul_lo_u32 v14, v3, s6
	v_mul_lo_u32 v3, v3, s7
	s_cbranch_scc1 .LBB7_1183
; %bb.1182:
	s_load_dwordx4 s[0:3], s[34:35], 0x10
	s_load_dwordx2 s[6:7], s[34:35], 0xcc
	s_waitcnt lgkmcnt(0)
	v_mul_hi_u32 v4, s1, v1
	v_add_u32_e32 v4, v1, v4
	v_lshrrev_b32_e32 v4, s2, v4
	v_mul_lo_u32 v4, v4, s0
	v_sub_u32_e32 v1, v1, v4
	v_mad_u64_u32 v[14:15], s[0:1], v1, s6, v[14:15]
	v_mad_u64_u32 v[3:4], s[0:1], v1, s7, v[3:4]
.LBB7_1183:
	s_load_dwordx4 s[8:11], s[34:35], 0x148
	s_load_dword s16, s[4:5], 0x160
	s_waitcnt lgkmcnt(0)
	v_mov_b32_e32 v1, s11
	s_bfe_u32 s14, s16, 0x80010
	v_add_co_u32_e32 v0, vcc, s10, v0
	s_cmp_lt_i32 s14, 11
	v_addc_co_u32_e32 v1, vcc, 0, v1, vcc
	s_cbranch_scc1 .LBB7_1190
; %bb.1184:
	s_and_b32 s15, 0xffff, s14
	s_cmp_gt_i32 s15, 25
	s_mov_b64 s[4:5], 0
	s_cbranch_scc0 .LBB7_1192
; %bb.1185:
	s_cmp_gt_i32 s15, 28
	s_cbranch_scc0 .LBB7_1193
; %bb.1186:
	s_cmp_gt_i32 s15, 43
	;; [unrolled: 3-line block ×3, first 2 shown]
	s_cbranch_scc0 .LBB7_1195
; %bb.1188:
	s_cmp_eq_u32 s15, 46
	s_mov_b64 s[2:3], 0
	s_cbranch_scc0 .LBB7_1198
; %bb.1189:
	global_load_dword v4, v[0:1], off
	s_mov_b64 s[0:1], 0
	s_mov_b64 s[6:7], -1
	s_waitcnt vmcnt(0)
	v_lshlrev_b32_e32 v4, 16, v4
	v_cvt_f64_f32_e32 v[4:5], v4
	s_branch .LBB7_1199
.LBB7_1190:
	s_mov_b64 s[6:7], 0
                                        ; implicit-def: $vgpr4_vgpr5
	s_mov_b64 s[2:3], s[28:29]
	s_cbranch_execnz .LBB7_1262
.LBB7_1191:
	s_andn2_b64 vcc, exec, s[6:7]
	s_cbranch_vccz .LBB7_1307
	s_branch .LBB7_1813
.LBB7_1192:
	s_mov_b64 s[6:7], 0
	s_mov_b64 s[0:1], 0
                                        ; implicit-def: $vgpr4_vgpr5
	s_cbranch_execnz .LBB7_1229
	s_branch .LBB7_1258
.LBB7_1193:
	s_mov_b64 s[2:3], -1
	s_mov_b64 s[6:7], 0
	s_mov_b64 s[0:1], 0
                                        ; implicit-def: $vgpr4_vgpr5
	s_branch .LBB7_1208
.LBB7_1194:
	s_mov_b64 s[6:7], 0
	s_mov_b64 s[0:1], 0
                                        ; implicit-def: $vgpr4_vgpr5
	s_cbranch_execnz .LBB7_1204
	s_branch .LBB7_1207
.LBB7_1195:
	s_mov_b64 s[2:3], -1
	s_mov_b64 s[6:7], 0
	s_mov_b64 s[0:1], 0
                                        ; implicit-def: $vgpr4_vgpr5
	s_branch .LBB7_1199
.LBB7_1196:
	s_andn2_saveexec_b64 s[14:15], s[14:15]
	s_cbranch_execz .LBB7_1039
.LBB7_1197:
	s_mov_b32 s16, 0x46000000
	v_add_f32_e64 v3, |v2|, s16
	v_and_b32_e32 v3, 0xff, v3
	v_cmp_ne_u32_e32 vcc, 0, v3
	s_andn2_b64 s[12:13], s[12:13], exec
	s_and_b64 s[16:17], vcc, exec
	s_or_b64 s[12:13], s[12:13], s[16:17]
	s_or_b64 exec, exec, s[14:15]
	v_mov_b32_e32 v4, 0
	s_and_saveexec_b64 s[14:15], s[12:13]
	s_cbranch_execnz .LBB7_1040
	s_branch .LBB7_1041
.LBB7_1198:
	s_mov_b64 s[0:1], -1
                                        ; implicit-def: $vgpr4_vgpr5
	s_mov_b64 s[6:7], 0
.LBB7_1199:
	s_and_b64 vcc, exec, s[2:3]
	s_cbranch_vccz .LBB7_1202
; %bb.1200:
	s_cmp_eq_u32 s15, 44
	s_cbranch_scc0 .LBB7_1203
; %bb.1201:
	global_load_ubyte v8, v[0:1], off
	s_movk_i32 s2, 0xff
	v_bfrev_b32_e32 v11, 4
	v_mov_b32_e32 v12, 0x7ff80000
	v_bfrev_b32_e32 v13, 28
	s_mov_b64 s[0:1], 0
	s_mov_b64 s[6:7], -1
	s_waitcnt vmcnt(0)
	v_lshlrev_b32_e32 v4, 23, v8
	v_cvt_f64_f32_e32 v[4:5], v4
	v_cmp_ne_u32_e32 vcc, s2, v8
	v_cndmask_b32_e32 v4, v11, v4, vcc
	v_cndmask_b32_e32 v5, v12, v5, vcc
	v_cmp_ne_u32_e32 vcc, 0, v8
	v_cndmask_b32_e32 v5, v13, v5, vcc
	v_cndmask_b32_e32 v4, 0, v4, vcc
.LBB7_1202:
	s_branch .LBB7_1207
.LBB7_1203:
	s_mov_b64 s[0:1], -1
                                        ; implicit-def: $vgpr4_vgpr5
	s_branch .LBB7_1207
.LBB7_1204:
	s_cmp_eq_u32 s15, 29
	s_cbranch_scc0 .LBB7_1206
; %bb.1205:
	global_load_dwordx2 v[4:5], v[0:1], off
	s_mov_b64 s[0:1], 0
	s_mov_b64 s[6:7], -1
	s_mov_b64 s[2:3], 0
	s_waitcnt vmcnt(0)
	v_cvt_f64_u32_e32 v[11:12], v5
	v_cvt_f64_u32_e32 v[4:5], v4
	v_ldexp_f64 v[11:12], v[11:12], 32
	v_add_f64 v[4:5], v[11:12], v[4:5]
	s_branch .LBB7_1208
.LBB7_1206:
	s_mov_b64 s[0:1], -1
                                        ; implicit-def: $vgpr4_vgpr5
.LBB7_1207:
	s_mov_b64 s[2:3], 0
.LBB7_1208:
	s_and_b64 vcc, exec, s[2:3]
	s_cbranch_vccz .LBB7_1228
; %bb.1209:
	s_cmp_lt_i32 s15, 27
	s_cbranch_scc1 .LBB7_1212
; %bb.1210:
	s_cmp_gt_i32 s15, 27
	s_cbranch_scc0 .LBB7_1213
; %bb.1211:
	global_load_dword v4, v[0:1], off
	s_mov_b64 s[2:3], 0
	s_waitcnt vmcnt(0)
	v_cvt_f64_u32_e32 v[4:5], v4
	s_branch .LBB7_1214
.LBB7_1212:
	s_mov_b64 s[2:3], -1
                                        ; implicit-def: $vgpr4_vgpr5
	s_branch .LBB7_1217
.LBB7_1213:
	s_mov_b64 s[2:3], -1
                                        ; implicit-def: $vgpr4_vgpr5
.LBB7_1214:
	s_andn2_b64 vcc, exec, s[2:3]
	s_cbranch_vccnz .LBB7_1216
; %bb.1215:
	global_load_ushort v4, v[0:1], off
	s_waitcnt vmcnt(0)
	v_cvt_f64_u32_e32 v[4:5], v4
.LBB7_1216:
	s_mov_b64 s[2:3], 0
.LBB7_1217:
	s_andn2_b64 vcc, exec, s[2:3]
	s_cbranch_vccnz .LBB7_1227
; %bb.1218:
	global_load_ubyte v8, v[0:1], off
	s_movk_i32 s2, 0x7f
	s_waitcnt vmcnt(0)
	v_cmp_lt_i16_e32 vcc, s2, v8
	s_mov_b64 s[2:3], 0
	s_and_saveexec_b64 s[6:7], vcc
	s_xor_b64 s[6:7], exec, s[6:7]
	s_cbranch_execz .LBB7_1222
; %bb.1219:
	s_movk_i32 s2, 0x80
	v_cmp_eq_u16_e32 vcc, s2, v8
	s_mov_b64 s[2:3], -1
	s_and_saveexec_b64 s[12:13], vcc
; %bb.1220:
	s_xor_b64 s[2:3], exec, -1
; %bb.1221:
	s_or_b64 exec, exec, s[12:13]
	s_and_b64 s[2:3], s[2:3], exec
.LBB7_1222:
	s_or_saveexec_b64 s[6:7], s[6:7]
	v_bfrev_b32_e32 v4, 4
	v_mov_b32_e32 v5, 0x7ff80000
	s_xor_b64 exec, exec, s[6:7]
; %bb.1223:
	v_cmp_ne_u16_e32 vcc, 0, v8
	v_mov_b32_e32 v4, 0
	s_andn2_b64 s[2:3], s[2:3], exec
	s_and_b64 s[12:13], vcc, exec
	v_mov_b32_e32 v5, 0
	s_or_b64 s[2:3], s[2:3], s[12:13]
; %bb.1224:
	s_or_b64 exec, exec, s[6:7]
	s_and_saveexec_b64 s[6:7], s[2:3]
	s_cbranch_execz .LBB7_1226
; %bb.1225:
	v_and_b32_e32 v5, 0xffff, v8
	v_lshlrev_b32_e32 v4, 24, v8
	v_and_b32_e32 v8, 7, v5
	v_ffbh_u32_e32 v12, v8
	v_min_u32_e32 v12, 32, v12
	v_subrev_u32_e32 v13, 28, v12
	v_bfe_u32 v11, v5, 3, 4
	v_lshlrev_b32_e32 v5, v13, v5
	v_sub_u32_e32 v12, 29, v12
	v_and_b32_e32 v5, 7, v5
	v_cmp_eq_u32_e32 vcc, 0, v11
	v_cndmask_b32_e32 v11, v11, v12, vcc
	v_cndmask_b32_e32 v5, v8, v5, vcc
	v_mov_b32_e32 v8, 0x3b800000
	v_lshlrev_b32_e32 v5, 20, v5
	v_and_b32_e32 v4, 0x80000000, v4
	v_lshl_add_u32 v8, v11, 23, v8
	v_or3_b32 v4, v4, v8, v5
	v_cvt_f64_f32_e32 v[4:5], v4
.LBB7_1226:
	s_or_b64 exec, exec, s[6:7]
.LBB7_1227:
	s_mov_b64 s[6:7], -1
.LBB7_1228:
	s_branch .LBB7_1258
.LBB7_1229:
	s_cmp_gt_i32 s15, 22
	s_cbranch_scc0 .LBB7_1241
; %bb.1230:
	s_cmp_lt_i32 s15, 24
	s_cbranch_scc1 .LBB7_1242
; %bb.1231:
	s_cmp_gt_i32 s15, 24
	s_cbranch_scc0 .LBB7_1243
; %bb.1232:
	global_load_ubyte v8, v[0:1], off
	s_movk_i32 s2, 0x7f
	s_waitcnt vmcnt(0)
	v_cmp_lt_i16_e32 vcc, s2, v8
	s_mov_b64 s[2:3], 0
	s_and_saveexec_b64 s[4:5], vcc
	s_xor_b64 s[4:5], exec, s[4:5]
	s_cbranch_execz .LBB7_1236
; %bb.1233:
	s_movk_i32 s2, 0x80
	v_cmp_eq_u16_e32 vcc, s2, v8
	s_mov_b64 s[2:3], -1
	s_and_saveexec_b64 s[6:7], vcc
; %bb.1234:
	s_xor_b64 s[2:3], exec, -1
; %bb.1235:
	s_or_b64 exec, exec, s[6:7]
	s_and_b64 s[2:3], s[2:3], exec
.LBB7_1236:
	s_or_saveexec_b64 s[4:5], s[4:5]
	v_bfrev_b32_e32 v4, 4
	v_mov_b32_e32 v5, 0x7ff80000
	s_xor_b64 exec, exec, s[4:5]
; %bb.1237:
	v_cmp_ne_u16_e32 vcc, 0, v8
	v_mov_b32_e32 v4, 0
	s_andn2_b64 s[2:3], s[2:3], exec
	s_and_b64 s[6:7], vcc, exec
	v_mov_b32_e32 v5, 0
	s_or_b64 s[2:3], s[2:3], s[6:7]
; %bb.1238:
	s_or_b64 exec, exec, s[4:5]
	s_and_saveexec_b64 s[4:5], s[2:3]
	s_cbranch_execz .LBB7_1240
; %bb.1239:
	v_and_b32_e32 v5, 0xffff, v8
	v_lshlrev_b32_e32 v4, 24, v8
	v_and_b32_e32 v8, 3, v5
	v_ffbh_u32_e32 v12, v8
	v_min_u32_e32 v12, 32, v12
	v_subrev_u32_e32 v13, 29, v12
	v_bfe_u32 v11, v5, 2, 5
	v_lshlrev_b32_e32 v5, v13, v5
	v_sub_u32_e32 v12, 30, v12
	v_and_b32_e32 v5, 3, v5
	v_cmp_eq_u32_e32 vcc, 0, v11
	v_cndmask_b32_e32 v11, v11, v12, vcc
	v_cndmask_b32_e32 v5, v8, v5, vcc
	v_mov_b32_e32 v8, 0x37800000
	v_lshlrev_b32_e32 v5, 21, v5
	v_and_b32_e32 v4, 0x80000000, v4
	v_lshl_add_u32 v8, v11, 23, v8
	v_or3_b32 v4, v4, v8, v5
	v_cvt_f64_f32_e32 v[4:5], v4
.LBB7_1240:
	s_or_b64 exec, exec, s[4:5]
	s_mov_b64 s[2:3], 0
	s_branch .LBB7_1244
.LBB7_1241:
                                        ; implicit-def: $vgpr4_vgpr5
	s_mov_b64 s[4:5], 0
	s_branch .LBB7_1250
.LBB7_1242:
	s_mov_b64 s[2:3], -1
                                        ; implicit-def: $vgpr4_vgpr5
	s_branch .LBB7_1247
.LBB7_1243:
	s_mov_b64 s[2:3], -1
                                        ; implicit-def: $vgpr4_vgpr5
.LBB7_1244:
	s_and_b64 vcc, exec, s[2:3]
	s_cbranch_vccz .LBB7_1246
; %bb.1245:
	global_load_ubyte v4, v[0:1], off
	s_mov_b32 s2, 0x7f800000
	s_waitcnt vmcnt(0)
	v_lshlrev_b32_e32 v4, 24, v4
	v_and_b32_e32 v5, 0x7f000000, v4
	v_ffbh_u32_e32 v8, v5
	v_min_u32_e32 v8, 32, v8
	v_sub_u32_e64 v8, v8, 4 clamp
	v_lshlrev_b32_e32 v12, v8, v5
	v_lshlrev_b32_e32 v8, 23, v8
	v_lshrrev_b32_e32 v12, 4, v12
	v_add_u32_e32 v11, 0x1000000, v5
	v_sub_u32_e32 v8, v12, v8
	v_ashrrev_i32_e32 v11, 8, v11
	v_add_u32_e32 v8, 0x3c000000, v8
	v_and_or_b32 v8, v11, s2, v8
	v_cmp_ne_u32_e32 vcc, 0, v5
	v_cndmask_b32_e32 v5, 0, v8, vcc
	s_brev_b32 s2, 1
	v_and_or_b32 v4, v4, s2, v5
	v_cvt_f64_f32_e32 v[4:5], v4
.LBB7_1246:
	s_mov_b64 s[2:3], 0
.LBB7_1247:
	s_andn2_b64 vcc, exec, s[2:3]
	s_cbranch_vccnz .LBB7_1249
; %bb.1248:
	global_load_ubyte v4, v[0:1], off
	s_movk_i32 s2, 0x7f00
	s_brev_b32 s3, 16
	s_waitcnt vmcnt(0)
	v_lshlrev_b16_e32 v5, 8, v4
	v_lshlrev_b32_e32 v4, 25, v4
	v_lshrrev_b32_e32 v8, 4, v4
	v_and_or_b32 v11, v5, s2, 0.5
	v_or_b32_e32 v8, 0x70000000, v8
	v_add_f32_e32 v11, -0.5, v11
	v_mul_f32_e32 v8, 0x7800000, v8
	v_cmp_gt_u32_e32 vcc, s3, v4
	v_bfe_i32 v5, v5, 0, 16
	v_cndmask_b32_e32 v4, v8, v11, vcc
	s_brev_b32 s2, 1
	v_and_or_b32 v4, v5, s2, v4
	v_cvt_f64_f32_e32 v[4:5], v4
.LBB7_1249:
	s_mov_b64 s[6:7], -1
	s_mov_b64 s[4:5], 0
	s_cbranch_execnz .LBB7_1258
.LBB7_1250:
	s_cmp_gt_i32 s15, 14
	s_cbranch_scc0 .LBB7_1253
; %bb.1251:
	s_cmp_eq_u32 s15, 15
	s_cbranch_scc0 .LBB7_1254
; %bb.1252:
	global_load_ushort v4, v[0:1], off
	s_mov_b64 s[0:1], 0
	s_mov_b64 s[6:7], -1
	s_waitcnt vmcnt(0)
	v_lshlrev_b32_e32 v4, 16, v4
	v_cvt_f64_f32_e32 v[4:5], v4
	s_branch .LBB7_1255
.LBB7_1253:
	s_mov_b64 s[2:3], -1
                                        ; implicit-def: $vgpr4_vgpr5
	s_branch .LBB7_1256
.LBB7_1254:
	s_mov_b64 s[0:1], -1
                                        ; implicit-def: $vgpr4_vgpr5
.LBB7_1255:
	s_mov_b64 s[2:3], 0
.LBB7_1256:
	s_and_b64 vcc, exec, s[2:3]
	s_cbranch_vccz .LBB7_1258
; %bb.1257:
	s_cmp_lg_u32 s15, 11
	s_mov_b64 s[4:5], -1
	s_cselect_b64 s[0:1], -1, 0
.LBB7_1258:
	s_and_b64 vcc, exec, s[0:1]
	s_mov_b64 s[2:3], s[28:29]
	s_cbranch_vccnz .LBB7_1329
; %bb.1259:
	s_andn2_b64 vcc, exec, s[4:5]
	s_cbranch_vccnz .LBB7_1261
.LBB7_1260:
	global_load_ubyte v5, v[0:1], off
	v_mov_b32_e32 v8, 0x3ff00000
	s_waitcnt vmcnt(1)
	v_mov_b32_e32 v4, 0
	s_mov_b64 s[6:7], -1
	s_waitcnt vmcnt(0)
	v_cmp_ne_u16_e32 vcc, 0, v5
	v_cndmask_b32_e32 v5, 0, v8, vcc
.LBB7_1261:
	s_branch .LBB7_1191
.LBB7_1262:
	s_and_b32 s4, 0xffff, s14
	s_cmp_lt_i32 s4, 5
	s_cbranch_scc1 .LBB7_1267
; %bb.1263:
	s_cmp_lt_i32 s4, 8
	s_cbranch_scc1 .LBB7_1268
; %bb.1264:
	;; [unrolled: 3-line block ×3, first 2 shown]
	s_cmp_gt_i32 s4, 9
	s_cbranch_scc0 .LBB7_1270
; %bb.1266:
	global_load_dwordx2 v[4:5], v[0:1], off
	s_mov_b64 s[0:1], 0
	s_branch .LBB7_1271
.LBB7_1267:
                                        ; implicit-def: $vgpr4_vgpr5
	s_branch .LBB7_1288
.LBB7_1268:
                                        ; implicit-def: $vgpr4_vgpr5
	s_branch .LBB7_1277
.LBB7_1269:
	s_mov_b64 s[0:1], -1
                                        ; implicit-def: $vgpr4_vgpr5
	s_branch .LBB7_1274
.LBB7_1270:
	s_mov_b64 s[0:1], -1
                                        ; implicit-def: $vgpr4_vgpr5
.LBB7_1271:
	s_andn2_b64 vcc, exec, s[0:1]
	s_cbranch_vccnz .LBB7_1273
; %bb.1272:
	global_load_dword v4, v[0:1], off
	s_waitcnt vmcnt(0)
	v_cvt_f64_f32_e32 v[4:5], v4
.LBB7_1273:
	s_mov_b64 s[0:1], 0
.LBB7_1274:
	s_andn2_b64 vcc, exec, s[0:1]
	s_cbranch_vccnz .LBB7_1276
; %bb.1275:
	global_load_dword v4, v[0:1], off
	s_waitcnt vmcnt(0)
	v_cvt_f32_f16_e32 v4, v4
	v_cvt_f64_f32_e32 v[4:5], v4
.LBB7_1276:
	s_cbranch_execnz .LBB7_1287
.LBB7_1277:
	s_cmp_lt_i32 s4, 6
	s_cbranch_scc1 .LBB7_1280
; %bb.1278:
	s_cmp_gt_i32 s4, 6
	s_cbranch_scc0 .LBB7_1281
; %bb.1279:
	global_load_dwordx2 v[4:5], v[0:1], off
	s_mov_b64 s[0:1], 0
	s_branch .LBB7_1282
.LBB7_1280:
	s_mov_b64 s[0:1], -1
                                        ; implicit-def: $vgpr4_vgpr5
	s_branch .LBB7_1285
.LBB7_1281:
	s_mov_b64 s[0:1], -1
                                        ; implicit-def: $vgpr4_vgpr5
.LBB7_1282:
	s_andn2_b64 vcc, exec, s[0:1]
	s_cbranch_vccnz .LBB7_1284
; %bb.1283:
	global_load_dword v4, v[0:1], off
	s_waitcnt vmcnt(0)
	v_cvt_f64_f32_e32 v[4:5], v4
.LBB7_1284:
	s_mov_b64 s[0:1], 0
.LBB7_1285:
	s_andn2_b64 vcc, exec, s[0:1]
	s_cbranch_vccnz .LBB7_1287
; %bb.1286:
	global_load_ushort v4, v[0:1], off
	s_waitcnt vmcnt(0)
	v_cvt_f32_f16_e32 v4, v4
	v_cvt_f64_f32_e32 v[4:5], v4
.LBB7_1287:
	s_cbranch_execnz .LBB7_1306
.LBB7_1288:
	s_cmp_lt_i32 s4, 2
	s_cbranch_scc1 .LBB7_1292
; %bb.1289:
	s_cmp_lt_i32 s4, 3
	s_cbranch_scc1 .LBB7_1293
; %bb.1290:
	s_cmp_gt_i32 s4, 3
	s_cbranch_scc0 .LBB7_1294
; %bb.1291:
	global_load_dwordx2 v[4:5], v[0:1], off
	s_mov_b64 s[0:1], 0
	s_waitcnt vmcnt(0)
	v_cvt_f64_i32_e32 v[11:12], v5
	v_cvt_f64_u32_e32 v[4:5], v4
	v_ldexp_f64 v[11:12], v[11:12], 32
	v_add_f64 v[4:5], v[11:12], v[4:5]
	s_branch .LBB7_1295
.LBB7_1292:
                                        ; implicit-def: $vgpr4_vgpr5
	s_branch .LBB7_1301
.LBB7_1293:
	s_mov_b64 s[0:1], -1
                                        ; implicit-def: $vgpr4_vgpr5
	s_branch .LBB7_1298
.LBB7_1294:
	s_mov_b64 s[0:1], -1
                                        ; implicit-def: $vgpr4_vgpr5
.LBB7_1295:
	s_andn2_b64 vcc, exec, s[0:1]
	s_cbranch_vccnz .LBB7_1297
; %bb.1296:
	global_load_dword v4, v[0:1], off
	s_waitcnt vmcnt(0)
	v_cvt_f64_i32_e32 v[4:5], v4
.LBB7_1297:
	s_mov_b64 s[0:1], 0
.LBB7_1298:
	s_andn2_b64 vcc, exec, s[0:1]
	s_cbranch_vccnz .LBB7_1300
; %bb.1299:
	global_load_sshort v4, v[0:1], off
	s_waitcnt vmcnt(0)
	v_cvt_f64_i32_e32 v[4:5], v4
.LBB7_1300:
	s_cbranch_execnz .LBB7_1306
.LBB7_1301:
	s_cmp_gt_i32 s4, 0
	s_cbranch_scc0 .LBB7_1303
; %bb.1302:
	global_load_sbyte v4, v[0:1], off
	s_mov_b64 s[0:1], 0
	s_waitcnt vmcnt(0)
	v_cvt_f64_i32_e32 v[4:5], v4
	s_branch .LBB7_1304
.LBB7_1303:
	s_mov_b64 s[0:1], -1
                                        ; implicit-def: $vgpr4_vgpr5
.LBB7_1304:
	s_andn2_b64 vcc, exec, s[0:1]
	s_cbranch_vccnz .LBB7_1306
; %bb.1305:
	global_load_ubyte v0, v[0:1], off
	s_waitcnt vmcnt(0)
	v_cvt_f64_u32_e32 v[4:5], v0
.LBB7_1306:
.LBB7_1307:
	s_mov_b32 s0, 0
	s_mov_b32 s1, 0x7ff00000
	s_waitcnt vmcnt(0)
	v_cmp_neq_f64_e64 s[0:1], |v[4:5]|, s[0:1]
	v_mov_b32_e32 v0, 0
	v_mov_b32_e32 v1, 0
	s_and_saveexec_b64 s[4:5], s[0:1]
	s_cbranch_execz .LBB7_1317
; %bb.1308:
	v_cmp_nlt_f64_e64 s[0:1], |v[4:5]|, 0.5
                                        ; implicit-def: $vgpr0_vgpr1
	s_and_saveexec_b64 s[6:7], s[0:1]
	s_xor_b64 s[6:7], exec, s[6:7]
	s_cbranch_execz .LBB7_1314
; %bb.1309:
	s_mov_b32 s0, 0
	s_mov_b32 s1, 0x41d00000
	v_cmp_nlt_f64_e64 s[0:1], |v[4:5]|, s[0:1]
                                        ; implicit-def: $vgpr8
                                        ; implicit-def: $vgpr0_vgpr1
                                        ; implicit-def: $vgpr11_vgpr12
	s_and_saveexec_b64 s[12:13], s[0:1]
	s_xor_b64 s[12:13], exec, s[12:13]
	s_cbranch_execz .LBB7_1311
; %bb.1310:
	v_trig_preop_f64 v[0:1], |v[4:5]|, 0
	s_mov_b32 s0, 0
	s_mov_b32 s1, 0x7b000000
	s_movk_i32 s14, 0xff80
	v_ldexp_f64 v[15:16], |v[4:5]|, s14
	v_cmp_ge_f64_e64 vcc, |v[4:5]|, s[0:1]
	v_trig_preop_f64 v[11:12], |v[4:5]|, 1
	v_and_b32_e32 v8, 0x7fffffff, v5
	v_trig_preop_f64 v[23:24], |v[4:5]|, 2
	s_mov_b32 s0, 0
	s_mov_b32 s1, 0x7ff00000
	v_mov_b32_e32 v33, 0
	v_mov_b32_e32 v13, 0x3ff00000
	v_cndmask_b32_e32 v16, v8, v16, vcc
	v_cndmask_b32_e32 v15, v4, v15, vcc
	v_mov_b32_e32 v8, 0x40100000
	v_mul_f64 v[17:18], v[0:1], v[15:16]
	s_mov_b32 s14, 0x33145c07
	s_mov_b32 s15, 0x3c91a626
	v_mul_f64 v[19:20], v[11:12], v[15:16]
	v_mul_f64 v[29:30], v[23:24], v[15:16]
	v_fma_f64 v[0:1], v[0:1], v[15:16], -v[17:18]
	v_fma_f64 v[11:12], v[11:12], v[15:16], -v[19:20]
	;; [unrolled: 1-line block ×3, first 2 shown]
	v_add_f64 v[21:22], v[19:20], v[0:1]
	v_add_f64 v[25:26], v[21:22], -v[19:20]
	v_add_f64 v[31:32], v[17:18], v[21:22]
	v_add_f64 v[27:28], v[21:22], -v[25:26]
	v_add_f64 v[0:1], v[0:1], -v[25:26]
	v_add_f64 v[25:26], v[29:30], v[11:12]
	v_add_f64 v[17:18], v[31:32], -v[17:18]
	v_add_f64 v[19:20], v[19:20], -v[27:28]
	v_ldexp_f64 v[27:28], v[31:32], -2
	v_add_f64 v[35:36], v[25:26], -v[29:30]
	v_add_f64 v[17:18], v[21:22], -v[17:18]
	v_add_f64 v[0:1], v[0:1], v[19:20]
	v_fract_f64_e32 v[19:20], v[27:28]
	v_cmp_neq_f64_e64 vcc, |v[27:28]|, s[0:1]
	v_add_f64 v[11:12], v[11:12], -v[35:36]
	v_add_f64 v[21:22], v[25:26], v[0:1]
	v_ldexp_f64 v[19:20], v[19:20], 2
	v_add_f64 v[27:28], v[17:18], v[21:22]
	v_cndmask_b32_e32 v20, 0, v20, vcc
	v_cndmask_b32_e32 v19, 0, v19, vcc
	v_add_f64 v[37:38], v[21:22], -v[25:26]
	v_add_f64 v[31:32], v[27:28], v[19:20]
	v_add_f64 v[17:18], v[27:28], -v[17:18]
	v_add_f64 v[39:40], v[21:22], -v[37:38]
	;; [unrolled: 1-line block ×3, first 2 shown]
	v_cmp_gt_f64_e32 vcc, 0, v[31:32]
	v_add_f64 v[31:32], v[25:26], -v[35:36]
	v_add_f64 v[17:18], v[21:22], -v[17:18]
	;; [unrolled: 1-line block ×3, first 2 shown]
	v_cndmask_b32_e32 v34, 0, v8, vcc
	v_add_f64 v[19:20], v[19:20], v[33:34]
	v_add_f64 v[31:32], v[29:30], -v[31:32]
	v_add_f64 v[0:1], v[0:1], v[25:26]
	v_add_f64 v[41:42], v[27:28], v[19:20]
	;; [unrolled: 1-line block ×3, first 2 shown]
	v_cvt_i32_f64_e32 v8, v[41:42]
	v_add_f64 v[0:1], v[11:12], v[0:1]
	v_cvt_f64_i32_e32 v[34:35], v8
	v_add_f64 v[19:20], v[19:20], -v[34:35]
	v_add_f64 v[0:1], v[15:16], v[0:1]
	v_add_f64 v[11:12], v[27:28], v[19:20]
	;; [unrolled: 1-line block ×3, first 2 shown]
	v_add_f64 v[15:16], v[11:12], -v[19:20]
	v_cmp_le_f64_e32 vcc, 0.5, v[11:12]
	v_add_f64 v[15:16], v[27:28], -v[15:16]
	v_cndmask_b32_e32 v34, 0, v13, vcc
	v_add_f64 v[11:12], v[11:12], -v[33:34]
	v_addc_co_u32_e64 v8, s[0:1], 0, v8, vcc
	s_mov_b32 s0, 0x54442d18
	s_mov_b32 s1, 0x3ff921fb
	v_add_f64 v[0:1], v[0:1], v[15:16]
	v_add_f64 v[15:16], v[11:12], v[0:1]
	v_mul_f64 v[17:18], v[15:16], s[0:1]
	v_add_f64 v[11:12], v[15:16], -v[11:12]
	v_fma_f64 v[19:20], v[15:16], s[0:1], -v[17:18]
	v_add_f64 v[0:1], v[0:1], -v[11:12]
	v_fma_f64 v[11:12], v[15:16], s[14:15], v[19:20]
	v_fma_f64 v[11:12], v[0:1], s[0:1], v[11:12]
	v_add_f64 v[0:1], v[17:18], v[11:12]
	v_add_f64 v[15:16], v[0:1], -v[17:18]
	v_add_f64 v[11:12], v[11:12], -v[15:16]
.LBB7_1311:
	s_andn2_saveexec_b64 s[0:1], s[12:13]
	s_cbranch_execz .LBB7_1313
; %bb.1312:
	s_mov_b32 s12, 0x6dc9c883
	s_mov_b32 s13, 0x3fe45f30
	v_mul_f64 v[0:1], |v[4:5]|, s[12:13]
	s_mov_b32 s12, 0x54442d18
	s_mov_b32 s13, 0xbff921fb
	;; [unrolled: 1-line block ×4, first 2 shown]
	v_rndne_f64_e32 v[15:16], v[0:1]
	v_fma_f64 v[0:1], v[15:16], s[12:13], |v[4:5]|
	v_mul_f64 v[11:12], v[15:16], s[14:15]
	s_mov_b32 s12, 0x252049c0
	s_mov_b32 s13, 0xb97b839a
	v_cvt_i32_f64_e32 v8, v[15:16]
	v_fma_f64 v[21:22], v[15:16], s[14:15], v[0:1]
	v_add_f64 v[17:18], v[0:1], v[11:12]
	s_mov_b32 s15, 0x3c91a626
	v_add_f64 v[19:20], v[0:1], -v[17:18]
	v_add_f64 v[17:18], v[17:18], -v[21:22]
	v_add_f64 v[0:1], v[19:20], v[11:12]
	v_fma_f64 v[11:12], v[15:16], s[14:15], v[11:12]
	v_add_f64 v[0:1], v[17:18], v[0:1]
	v_add_f64 v[0:1], v[0:1], -v[11:12]
	v_fma_f64 v[11:12], v[15:16], s[12:13], v[0:1]
	v_add_f64 v[0:1], v[21:22], v[11:12]
	v_add_f64 v[17:18], v[0:1], -v[21:22]
	v_add_f64 v[11:12], v[11:12], -v[17:18]
.LBB7_1313:
	s_or_b64 exec, exec, s[0:1]
	v_mul_f64 v[15:16], v[0:1], v[0:1]
	s_mov_b32 s0, 0xf9a43bb8
	v_mov_b32_e32 v18, 0xb42fdfa7
	v_mov_b32_e32 v19, 0xbe5ae600
	s_mov_b32 s1, 0x3de5e0b2
	s_mov_b32 s12, 0x796cde01
	v_mov_b32_e32 v17, 0x9037ab78
	s_mov_b32 s13, 0x3ec71de3
	v_fma_f64 v[19:20], v[15:16], s[0:1], v[18:19]
	s_mov_b32 s0, 0x46cc5e42
	v_mov_b32_e32 v18, 0x3e21eeb6
	s_mov_b32 s1, 0xbda907db
	v_fma_f64 v[17:18], v[15:16], s[0:1], v[17:18]
	v_mul_f64 v[21:22], v[15:16], 0.5
	s_mov_b32 s0, 0xa17f65f6
	s_mov_b32 s14, 0x19e83e5c
	v_fma_f64 v[19:20], v[15:16], v[19:20], s[12:13]
	s_mov_b32 s1, 0xbe927e4f
	s_mov_b32 s15, 0xbf2a01a0
	;; [unrolled: 1-line block ×3, first 2 shown]
	v_fma_f64 v[17:18], v[15:16], v[17:18], s[0:1]
	v_add_f64 v[23:24], -v[21:22], 1.0
	s_mov_b32 s0, 0x11110bb3
	s_mov_b32 s13, 0x3efa01a0
	v_fma_f64 v[19:20], v[15:16], v[19:20], s[14:15]
	s_mov_b32 s1, 0x3f811111
	v_mul_f64 v[25:26], v[11:12], 0.5
	v_mul_f64 v[27:28], v[0:1], -v[15:16]
	v_fma_f64 v[17:18], v[15:16], v[17:18], s[12:13]
	v_add_f64 v[29:30], -v[23:24], 1.0
	v_fma_f64 v[19:20], v[15:16], v[19:20], s[0:1]
	s_mov_b32 s0, 0x16c16967
	s_mov_b32 s1, 0xbf56c16c
	v_fma_f64 v[17:18], v[15:16], v[17:18], s[0:1]
	v_add_f64 v[21:22], v[29:30], -v[21:22]
	s_mov_b32 s1, 0x3fa55555
	s_mov_b32 s0, 0x55555555
	v_fma_f64 v[19:20], v[27:28], v[19:20], v[25:26]
	v_mul_f64 v[25:26], v[15:16], v[15:16]
	v_fma_f64 v[17:18], v[15:16], v[17:18], s[0:1]
	v_fma_f64 v[21:22], v[0:1], -v[11:12], v[21:22]
	s_mov_b32 s1, 0xbfc55555
	v_fma_f64 v[11:12], v[15:16], v[19:20], -v[11:12]
	v_fma_f64 v[15:16], v[25:26], v[17:18], v[21:22]
	v_fma_f64 v[11:12], v[27:28], s[0:1], v[11:12]
	s_movk_i32 s0, 0x1f8
	v_cmp_class_f64_e64 s[0:1], v[4:5], s0
	v_add_f64 v[15:16], v[23:24], v[15:16]
	v_add_f64 v[0:1], v[0:1], -v[11:12]
	v_and_b32_e32 v11, 1, v8
	v_lshlrev_b32_e32 v8, 30, v8
	v_cmp_eq_u32_e32 vcc, 0, v11
	v_xor_b32_e32 v8, v8, v5
	v_and_b32_e32 v8, 0x80000000, v8
	v_mov_b32_e32 v11, 0x7ff80000
	v_cndmask_b32_e32 v1, v16, v1, vcc
	v_cndmask_b32_e32 v0, v15, v0, vcc
	v_xor_b32_e32 v1, v1, v8
	v_cndmask_b32_e64 v0, 0, v0, s[0:1]
	v_cndmask_b32_e64 v1, v11, v1, s[0:1]
	v_div_scale_f64 v[11:12], s[0:1], v[4:5], v[4:5], v[0:1]
	v_div_scale_f64 v[19:20], vcc, v[0:1], v[4:5], v[0:1]
	v_rcp_f64_e32 v[15:16], v[11:12]
	v_fma_f64 v[17:18], -v[11:12], v[15:16], 1.0
	v_fma_f64 v[15:16], v[15:16], v[17:18], v[15:16]
	v_fma_f64 v[17:18], -v[11:12], v[15:16], 1.0
	v_fma_f64 v[15:16], v[15:16], v[17:18], v[15:16]
	v_mul_f64 v[17:18], v[19:20], v[15:16]
	v_fma_f64 v[11:12], -v[11:12], v[17:18], v[19:20]
	v_div_fmas_f64 v[11:12], v[11:12], v[15:16], v[17:18]
	v_div_fixup_f64 v[0:1], v[11:12], v[4:5], v[0:1]
                                        ; implicit-def: $vgpr4_vgpr5
.LBB7_1314:
	s_andn2_saveexec_b64 s[0:1], s[6:7]
	s_cbranch_execz .LBB7_1316
; %bb.1315:
	v_mul_f64 v[0:1], v[4:5], v[4:5]
	s_mov_b32 s6, 0x13a86d09
	v_mov_b32_e32 v4, 0x67f544e4
	v_mov_b32_e32 v5, 0xbe5ae645
	s_mov_b32 s7, 0x3de61246
	v_fma_f64 v[4:5], v[0:1], s[6:7], v[4:5]
	s_mov_b32 s6, 0xa556c734
	s_mov_b32 s7, 0x3ec71de3
	v_fma_f64 v[4:5], v[0:1], v[4:5], s[6:7]
	s_mov_b32 s6, 0x1a01a01a
	;; [unrolled: 3-line block ×4, first 2 shown]
	s_mov_b32 s7, 0xbfc55555
	v_fma_f64 v[4:5], v[0:1], v[4:5], s[6:7]
	v_fma_f64 v[0:1], v[0:1], v[4:5], 1.0
.LBB7_1316:
	s_or_b64 exec, exec, s[0:1]
.LBB7_1317:
	s_or_b64 exec, exec, s[4:5]
	s_lshr_b32 s0, s16, 16
	v_mov_b32_e32 v5, s11
	s_and_b32 s17, s0, 0xff
	v_add_co_u32_e32 v4, vcc, s10, v9
	s_cmp_lt_i32 s17, 11
	v_addc_co_u32_e32 v5, vcc, 0, v5, vcc
	s_cbranch_scc1 .LBB7_1324
; %bb.1318:
	s_and_b32 s18, 0xffff, s17
	s_cmp_gt_i32 s18, 25
	s_mov_b64 s[4:5], 0
	s_cbranch_scc0 .LBB7_1326
; %bb.1319:
	s_cmp_gt_i32 s18, 28
	s_cbranch_scc0 .LBB7_1327
; %bb.1320:
	s_cmp_gt_i32 s18, 43
	;; [unrolled: 3-line block ×3, first 2 shown]
	s_cbranch_scc0 .LBB7_1330
; %bb.1322:
	s_cmp_eq_u32 s18, 46
	s_mov_b64 s[12:13], 0
	s_cbranch_scc0 .LBB7_1333
; %bb.1323:
	global_load_dword v8, v[4:5], off
	s_mov_b64 s[0:1], 0
	s_mov_b64 s[6:7], -1
	s_waitcnt vmcnt(0)
	v_lshlrev_b32_e32 v8, 16, v8
	v_cvt_f64_f32_e32 v[8:9], v8
	s_branch .LBB7_1334
.LBB7_1324:
	s_mov_b64 s[6:7], 0
                                        ; implicit-def: $vgpr8_vgpr9
	s_cbranch_execnz .LBB7_1399
.LBB7_1325:
	s_andn2_b64 vcc, exec, s[6:7]
	s_cbranch_vccnz .LBB7_1813
	s_branch .LBB7_1446
.LBB7_1326:
	s_mov_b64 s[6:7], 0
	s_mov_b64 s[0:1], 0
                                        ; implicit-def: $vgpr8_vgpr9
	s_cbranch_execnz .LBB7_1365
	s_branch .LBB7_1395
.LBB7_1327:
	s_mov_b64 s[12:13], -1
	s_mov_b64 s[6:7], 0
	s_mov_b64 s[0:1], 0
                                        ; implicit-def: $vgpr8_vgpr9
	s_branch .LBB7_1344
.LBB7_1328:
	s_mov_b64 s[12:13], -1
	s_mov_b64 s[6:7], 0
	s_mov_b64 s[0:1], 0
                                        ; implicit-def: $vgpr8_vgpr9
	s_branch .LBB7_1339
.LBB7_1329:
	s_or_b64 s[2:3], s[28:29], exec
	s_trap 2
	s_cbranch_execz .LBB7_1260
	s_branch .LBB7_1261
.LBB7_1330:
	s_mov_b64 s[12:13], -1
	s_mov_b64 s[6:7], 0
	s_mov_b64 s[0:1], 0
                                        ; implicit-def: $vgpr8_vgpr9
	s_branch .LBB7_1334
.LBB7_1331:
	s_andn2_saveexec_b64 s[16:17], s[16:17]
	s_cbranch_execz .LBB7_1051
.LBB7_1332:
	s_mov_b32 s20, 0x42800000
	v_add_f32_e64 v3, |v2|, s20
	v_and_b32_e32 v3, 0xff, v3
	v_cmp_ne_u32_e32 vcc, 0, v3
	s_andn2_b64 s[14:15], s[14:15], exec
	s_and_b64 s[20:21], vcc, exec
	s_or_b64 s[14:15], s[14:15], s[20:21]
	s_or_b64 exec, exec, s[16:17]
	v_mov_b32_e32 v4, 0
	s_and_saveexec_b64 s[16:17], s[14:15]
	s_cbranch_execnz .LBB7_1052
	s_branch .LBB7_1053
.LBB7_1333:
	s_mov_b64 s[0:1], -1
                                        ; implicit-def: $vgpr8_vgpr9
	s_mov_b64 s[6:7], 0
.LBB7_1334:
	s_and_b64 vcc, exec, s[12:13]
	s_cbranch_vccz .LBB7_1338
; %bb.1335:
	s_cmp_eq_u32 s18, 44
	s_cbranch_scc0 .LBB7_1337
; %bb.1336:
	global_load_ubyte v11, v[4:5], off
	s_movk_i32 s6, 0xff
	v_bfrev_b32_e32 v12, 4
	v_mov_b32_e32 v13, 0x7ff80000
	v_bfrev_b32_e32 v15, 28
	s_mov_b64 s[0:1], 0
	s_waitcnt vmcnt(0)
	v_lshlrev_b32_e32 v8, 23, v11
	v_cvt_f64_f32_e32 v[8:9], v8
	v_cmp_ne_u32_e32 vcc, s6, v11
	s_mov_b64 s[6:7], -1
	v_cndmask_b32_e32 v8, v12, v8, vcc
	v_cndmask_b32_e32 v9, v13, v9, vcc
	v_cmp_ne_u32_e32 vcc, 0, v11
	v_cndmask_b32_e32 v9, v15, v9, vcc
	v_cndmask_b32_e32 v8, 0, v8, vcc
	s_branch .LBB7_1338
.LBB7_1337:
	s_mov_b64 s[0:1], -1
                                        ; implicit-def: $vgpr8_vgpr9
.LBB7_1338:
	s_mov_b64 s[12:13], 0
.LBB7_1339:
	s_and_b64 vcc, exec, s[12:13]
	s_cbranch_vccz .LBB7_1343
; %bb.1340:
	s_cmp_eq_u32 s18, 29
	s_cbranch_scc0 .LBB7_1342
; %bb.1341:
	global_load_dwordx2 v[8:9], v[4:5], off
	s_mov_b64 s[0:1], 0
	s_mov_b64 s[6:7], -1
	s_mov_b64 s[12:13], 0
	s_waitcnt vmcnt(0)
	v_cvt_f64_u32_e32 v[11:12], v9
	v_cvt_f64_u32_e32 v[8:9], v8
	v_ldexp_f64 v[11:12], v[11:12], 32
	v_add_f64 v[8:9], v[11:12], v[8:9]
	s_branch .LBB7_1344
.LBB7_1342:
	s_mov_b64 s[0:1], -1
                                        ; implicit-def: $vgpr8_vgpr9
.LBB7_1343:
	s_mov_b64 s[12:13], 0
.LBB7_1344:
	s_and_b64 vcc, exec, s[12:13]
	s_cbranch_vccz .LBB7_1364
; %bb.1345:
	s_cmp_lt_i32 s18, 27
	s_cbranch_scc1 .LBB7_1348
; %bb.1346:
	s_cmp_gt_i32 s18, 27
	s_cbranch_scc0 .LBB7_1349
; %bb.1347:
	global_load_dword v8, v[4:5], off
	s_mov_b64 s[6:7], 0
	s_waitcnt vmcnt(0)
	v_cvt_f64_u32_e32 v[8:9], v8
	s_branch .LBB7_1350
.LBB7_1348:
	s_mov_b64 s[6:7], -1
                                        ; implicit-def: $vgpr8_vgpr9
	s_branch .LBB7_1353
.LBB7_1349:
	s_mov_b64 s[6:7], -1
                                        ; implicit-def: $vgpr8_vgpr9
.LBB7_1350:
	s_andn2_b64 vcc, exec, s[6:7]
	s_cbranch_vccnz .LBB7_1352
; %bb.1351:
	global_load_ushort v8, v[4:5], off
	s_waitcnt vmcnt(0)
	v_cvt_f64_u32_e32 v[8:9], v8
.LBB7_1352:
	s_mov_b64 s[6:7], 0
.LBB7_1353:
	s_andn2_b64 vcc, exec, s[6:7]
	s_cbranch_vccnz .LBB7_1363
; %bb.1354:
	global_load_ubyte v11, v[4:5], off
	s_movk_i32 s6, 0x7f
	s_waitcnt vmcnt(0)
	v_cmp_lt_i16_e32 vcc, s6, v11
	s_mov_b64 s[6:7], 0
	s_and_saveexec_b64 s[12:13], vcc
	s_xor_b64 s[12:13], exec, s[12:13]
	s_cbranch_execz .LBB7_1358
; %bb.1355:
	s_movk_i32 s6, 0x80
	v_cmp_eq_u16_e32 vcc, s6, v11
	s_mov_b64 s[6:7], -1
	s_and_saveexec_b64 s[14:15], vcc
; %bb.1356:
	s_xor_b64 s[6:7], exec, -1
; %bb.1357:
	s_or_b64 exec, exec, s[14:15]
	s_and_b64 s[6:7], s[6:7], exec
.LBB7_1358:
	s_or_saveexec_b64 s[12:13], s[12:13]
	v_bfrev_b32_e32 v8, 4
	v_mov_b32_e32 v9, 0x7ff80000
	s_xor_b64 exec, exec, s[12:13]
; %bb.1359:
	v_cmp_ne_u16_e32 vcc, 0, v11
	v_mov_b32_e32 v8, 0
	s_andn2_b64 s[6:7], s[6:7], exec
	s_and_b64 s[14:15], vcc, exec
	v_mov_b32_e32 v9, 0
	s_or_b64 s[6:7], s[6:7], s[14:15]
; %bb.1360:
	s_or_b64 exec, exec, s[12:13]
	s_and_saveexec_b64 s[12:13], s[6:7]
	s_cbranch_execz .LBB7_1362
; %bb.1361:
	v_and_b32_e32 v9, 0xffff, v11
	v_lshlrev_b32_e32 v8, 24, v11
	v_and_b32_e32 v11, 7, v9
	v_ffbh_u32_e32 v13, v11
	v_min_u32_e32 v13, 32, v13
	v_subrev_u32_e32 v15, 28, v13
	v_bfe_u32 v12, v9, 3, 4
	v_lshlrev_b32_e32 v9, v15, v9
	v_sub_u32_e32 v13, 29, v13
	v_and_b32_e32 v9, 7, v9
	v_cmp_eq_u32_e32 vcc, 0, v12
	v_cndmask_b32_e32 v12, v12, v13, vcc
	v_cndmask_b32_e32 v9, v11, v9, vcc
	v_mov_b32_e32 v11, 0x3b800000
	v_lshlrev_b32_e32 v9, 20, v9
	v_and_b32_e32 v8, 0x80000000, v8
	v_lshl_add_u32 v11, v12, 23, v11
	v_or3_b32 v8, v8, v11, v9
	v_cvt_f64_f32_e32 v[8:9], v8
.LBB7_1362:
	s_or_b64 exec, exec, s[12:13]
.LBB7_1363:
	s_mov_b64 s[6:7], -1
.LBB7_1364:
	s_branch .LBB7_1395
.LBB7_1365:
	s_cmp_gt_i32 s18, 22
	s_cbranch_scc0 .LBB7_1377
; %bb.1366:
	s_cmp_lt_i32 s18, 24
	s_cbranch_scc1 .LBB7_1378
; %bb.1367:
	s_cmp_gt_i32 s18, 24
	s_cbranch_scc0 .LBB7_1379
; %bb.1368:
	global_load_ubyte v11, v[4:5], off
	s_movk_i32 s4, 0x7f
	s_waitcnt vmcnt(0)
	v_cmp_lt_i16_e32 vcc, s4, v11
	s_mov_b64 s[4:5], 0
	s_and_saveexec_b64 s[6:7], vcc
	s_xor_b64 s[6:7], exec, s[6:7]
	s_cbranch_execz .LBB7_1372
; %bb.1369:
	s_movk_i32 s4, 0x80
	v_cmp_eq_u16_e32 vcc, s4, v11
	s_mov_b64 s[4:5], -1
	s_and_saveexec_b64 s[12:13], vcc
; %bb.1370:
	s_xor_b64 s[4:5], exec, -1
; %bb.1371:
	s_or_b64 exec, exec, s[12:13]
	s_and_b64 s[4:5], s[4:5], exec
.LBB7_1372:
	s_or_saveexec_b64 s[6:7], s[6:7]
	v_bfrev_b32_e32 v8, 4
	v_mov_b32_e32 v9, 0x7ff80000
	s_xor_b64 exec, exec, s[6:7]
; %bb.1373:
	v_cmp_ne_u16_e32 vcc, 0, v11
	v_mov_b32_e32 v8, 0
	s_andn2_b64 s[4:5], s[4:5], exec
	s_and_b64 s[12:13], vcc, exec
	v_mov_b32_e32 v9, 0
	s_or_b64 s[4:5], s[4:5], s[12:13]
; %bb.1374:
	s_or_b64 exec, exec, s[6:7]
	s_and_saveexec_b64 s[6:7], s[4:5]
	s_cbranch_execz .LBB7_1376
; %bb.1375:
	v_and_b32_e32 v9, 0xffff, v11
	v_lshlrev_b32_e32 v8, 24, v11
	v_and_b32_e32 v11, 3, v9
	v_ffbh_u32_e32 v13, v11
	v_min_u32_e32 v13, 32, v13
	v_subrev_u32_e32 v15, 29, v13
	v_bfe_u32 v12, v9, 2, 5
	v_lshlrev_b32_e32 v9, v15, v9
	v_sub_u32_e32 v13, 30, v13
	v_and_b32_e32 v9, 3, v9
	v_cmp_eq_u32_e32 vcc, 0, v12
	v_cndmask_b32_e32 v12, v12, v13, vcc
	v_cndmask_b32_e32 v9, v11, v9, vcc
	v_mov_b32_e32 v11, 0x37800000
	v_lshlrev_b32_e32 v9, 21, v9
	v_and_b32_e32 v8, 0x80000000, v8
	v_lshl_add_u32 v11, v12, 23, v11
	v_or3_b32 v8, v8, v11, v9
	v_cvt_f64_f32_e32 v[8:9], v8
.LBB7_1376:
	s_or_b64 exec, exec, s[6:7]
	s_mov_b64 s[4:5], 0
	s_branch .LBB7_1380
.LBB7_1377:
	s_mov_b64 s[4:5], -1
                                        ; implicit-def: $vgpr8_vgpr9
	s_branch .LBB7_1386
.LBB7_1378:
	s_mov_b64 s[4:5], -1
                                        ; implicit-def: $vgpr8_vgpr9
	s_branch .LBB7_1383
.LBB7_1379:
	s_mov_b64 s[4:5], -1
                                        ; implicit-def: $vgpr8_vgpr9
.LBB7_1380:
	s_and_b64 vcc, exec, s[4:5]
	s_cbranch_vccz .LBB7_1382
; %bb.1381:
	global_load_ubyte v8, v[4:5], off
	s_mov_b32 s4, 0x7f800000
	s_waitcnt vmcnt(0)
	v_lshlrev_b32_e32 v8, 24, v8
	v_and_b32_e32 v9, 0x7f000000, v8
	v_ffbh_u32_e32 v11, v9
	v_min_u32_e32 v11, 32, v11
	v_sub_u32_e64 v11, v11, 4 clamp
	v_lshlrev_b32_e32 v13, v11, v9
	v_lshlrev_b32_e32 v11, 23, v11
	v_lshrrev_b32_e32 v13, 4, v13
	v_add_u32_e32 v12, 0x1000000, v9
	v_sub_u32_e32 v11, v13, v11
	v_ashrrev_i32_e32 v12, 8, v12
	v_add_u32_e32 v11, 0x3c000000, v11
	v_and_or_b32 v11, v12, s4, v11
	v_cmp_ne_u32_e32 vcc, 0, v9
	v_cndmask_b32_e32 v9, 0, v11, vcc
	s_brev_b32 s4, 1
	v_and_or_b32 v8, v8, s4, v9
	v_cvt_f64_f32_e32 v[8:9], v8
.LBB7_1382:
	s_mov_b64 s[4:5], 0
.LBB7_1383:
	s_andn2_b64 vcc, exec, s[4:5]
	s_cbranch_vccnz .LBB7_1385
; %bb.1384:
	global_load_ubyte v8, v[4:5], off
	s_movk_i32 s4, 0x7f00
	s_brev_b32 s5, 16
	s_waitcnt vmcnt(0)
	v_lshlrev_b16_e32 v9, 8, v8
	v_lshlrev_b32_e32 v8, 25, v8
	v_lshrrev_b32_e32 v11, 4, v8
	v_and_or_b32 v12, v9, s4, 0.5
	v_or_b32_e32 v11, 0x70000000, v11
	v_add_f32_e32 v12, -0.5, v12
	v_mul_f32_e32 v11, 0x7800000, v11
	v_cmp_gt_u32_e32 vcc, s5, v8
	v_bfe_i32 v9, v9, 0, 16
	v_cndmask_b32_e32 v8, v11, v12, vcc
	s_brev_b32 s4, 1
	v_and_or_b32 v8, v9, s4, v8
	v_cvt_f64_f32_e32 v[8:9], v8
.LBB7_1385:
	s_mov_b64 s[4:5], 0
	s_mov_b64 s[6:7], -1
.LBB7_1386:
	s_andn2_b64 vcc, exec, s[4:5]
	s_mov_b64 s[4:5], 0
	s_cbranch_vccnz .LBB7_1395
; %bb.1387:
	s_cmp_gt_i32 s18, 14
	s_cbranch_scc0 .LBB7_1390
; %bb.1388:
	s_cmp_eq_u32 s18, 15
	s_cbranch_scc0 .LBB7_1391
; %bb.1389:
	global_load_ushort v8, v[4:5], off
	s_mov_b64 s[0:1], 0
	s_mov_b64 s[6:7], -1
	s_waitcnt vmcnt(0)
	v_lshlrev_b32_e32 v8, 16, v8
	v_cvt_f64_f32_e32 v[8:9], v8
	s_branch .LBB7_1392
.LBB7_1390:
	s_mov_b64 s[12:13], -1
                                        ; implicit-def: $vgpr8_vgpr9
	s_branch .LBB7_1393
.LBB7_1391:
	s_mov_b64 s[0:1], -1
                                        ; implicit-def: $vgpr8_vgpr9
.LBB7_1392:
	s_mov_b64 s[12:13], 0
.LBB7_1393:
	s_and_b64 vcc, exec, s[12:13]
	s_cbranch_vccz .LBB7_1395
; %bb.1394:
	s_cmp_lg_u32 s18, 11
	s_mov_b64 s[4:5], -1
	s_cselect_b64 s[0:1], -1, 0
.LBB7_1395:
	s_and_b64 vcc, exec, s[0:1]
	s_cbranch_vccnz .LBB7_1468
; %bb.1396:
	s_andn2_b64 vcc, exec, s[4:5]
	s_cbranch_vccnz .LBB7_1398
.LBB7_1397:
	global_load_ubyte v9, v[4:5], off
	v_mov_b32_e32 v11, 0x3ff00000
	v_mov_b32_e32 v8, 0
	s_mov_b64 s[6:7], -1
	s_waitcnt vmcnt(0)
	v_cmp_ne_u16_e32 vcc, 0, v9
	v_cndmask_b32_e32 v9, 0, v11, vcc
.LBB7_1398:
	s_branch .LBB7_1325
.LBB7_1399:
	s_and_b32 s4, 0xffff, s17
	s_cmp_lt_i32 s4, 5
	s_cbranch_scc1 .LBB7_1404
; %bb.1400:
	s_cmp_lt_i32 s4, 8
	s_cbranch_scc1 .LBB7_1405
; %bb.1401:
	;; [unrolled: 3-line block ×3, first 2 shown]
	s_cmp_gt_i32 s4, 9
	s_cbranch_scc0 .LBB7_1407
; %bb.1403:
	global_load_dwordx2 v[8:9], v[4:5], off
	s_mov_b64 s[0:1], 0
	s_branch .LBB7_1408
.LBB7_1404:
                                        ; implicit-def: $vgpr8_vgpr9
	s_branch .LBB7_1426
.LBB7_1405:
	s_mov_b64 s[0:1], -1
                                        ; implicit-def: $vgpr8_vgpr9
	s_branch .LBB7_1414
.LBB7_1406:
	s_mov_b64 s[0:1], -1
                                        ; implicit-def: $vgpr8_vgpr9
	s_branch .LBB7_1411
.LBB7_1407:
	s_mov_b64 s[0:1], -1
                                        ; implicit-def: $vgpr8_vgpr9
.LBB7_1408:
	s_andn2_b64 vcc, exec, s[0:1]
	s_cbranch_vccnz .LBB7_1410
; %bb.1409:
	global_load_dword v8, v[4:5], off
	s_waitcnt vmcnt(0)
	v_cvt_f64_f32_e32 v[8:9], v8
.LBB7_1410:
	s_mov_b64 s[0:1], 0
.LBB7_1411:
	s_andn2_b64 vcc, exec, s[0:1]
	s_cbranch_vccnz .LBB7_1413
; %bb.1412:
	global_load_dword v8, v[4:5], off
	s_waitcnt vmcnt(0)
	v_cvt_f32_f16_e32 v8, v8
	v_cvt_f64_f32_e32 v[8:9], v8
.LBB7_1413:
	s_mov_b64 s[0:1], 0
.LBB7_1414:
	s_andn2_b64 vcc, exec, s[0:1]
	s_cbranch_vccnz .LBB7_1425
; %bb.1415:
	s_cmp_lt_i32 s4, 6
	s_cbranch_scc1 .LBB7_1418
; %bb.1416:
	s_cmp_gt_i32 s4, 6
	s_cbranch_scc0 .LBB7_1419
; %bb.1417:
	global_load_dwordx2 v[8:9], v[4:5], off
	s_mov_b64 s[0:1], 0
	s_branch .LBB7_1420
.LBB7_1418:
	s_mov_b64 s[0:1], -1
                                        ; implicit-def: $vgpr8_vgpr9
	s_branch .LBB7_1423
.LBB7_1419:
	s_mov_b64 s[0:1], -1
                                        ; implicit-def: $vgpr8_vgpr9
.LBB7_1420:
	s_andn2_b64 vcc, exec, s[0:1]
	s_cbranch_vccnz .LBB7_1422
; %bb.1421:
	global_load_dword v8, v[4:5], off
	s_waitcnt vmcnt(0)
	v_cvt_f64_f32_e32 v[8:9], v8
.LBB7_1422:
	s_mov_b64 s[0:1], 0
.LBB7_1423:
	s_andn2_b64 vcc, exec, s[0:1]
	s_cbranch_vccnz .LBB7_1425
; %bb.1424:
	global_load_ushort v8, v[4:5], off
	s_waitcnt vmcnt(0)
	v_cvt_f32_f16_e32 v8, v8
	v_cvt_f64_f32_e32 v[8:9], v8
.LBB7_1425:
	s_cbranch_execnz .LBB7_1445
.LBB7_1426:
	s_cmp_lt_i32 s4, 2
	s_cbranch_scc1 .LBB7_1430
; %bb.1427:
	s_cmp_lt_i32 s4, 3
	s_cbranch_scc1 .LBB7_1431
; %bb.1428:
	s_cmp_gt_i32 s4, 3
	s_cbranch_scc0 .LBB7_1432
; %bb.1429:
	global_load_dwordx2 v[8:9], v[4:5], off
	s_mov_b64 s[0:1], 0
	s_waitcnt vmcnt(0)
	v_cvt_f64_i32_e32 v[11:12], v9
	v_cvt_f64_u32_e32 v[8:9], v8
	v_ldexp_f64 v[11:12], v[11:12], 32
	v_add_f64 v[8:9], v[11:12], v[8:9]
	s_branch .LBB7_1433
.LBB7_1430:
	s_mov_b64 s[0:1], -1
                                        ; implicit-def: $vgpr8_vgpr9
	s_branch .LBB7_1439
.LBB7_1431:
	s_mov_b64 s[0:1], -1
                                        ; implicit-def: $vgpr8_vgpr9
	s_branch .LBB7_1436
.LBB7_1432:
	s_mov_b64 s[0:1], -1
                                        ; implicit-def: $vgpr8_vgpr9
.LBB7_1433:
	s_andn2_b64 vcc, exec, s[0:1]
	s_cbranch_vccnz .LBB7_1435
; %bb.1434:
	global_load_dword v8, v[4:5], off
	s_waitcnt vmcnt(0)
	v_cvt_f64_i32_e32 v[8:9], v8
.LBB7_1435:
	s_mov_b64 s[0:1], 0
.LBB7_1436:
	s_andn2_b64 vcc, exec, s[0:1]
	s_cbranch_vccnz .LBB7_1438
; %bb.1437:
	global_load_sshort v8, v[4:5], off
	s_waitcnt vmcnt(0)
	v_cvt_f64_i32_e32 v[8:9], v8
.LBB7_1438:
	s_mov_b64 s[0:1], 0
.LBB7_1439:
	s_andn2_b64 vcc, exec, s[0:1]
	s_cbranch_vccnz .LBB7_1445
; %bb.1440:
	s_cmp_gt_i32 s4, 0
	s_cbranch_scc0 .LBB7_1442
; %bb.1441:
	global_load_sbyte v8, v[4:5], off
	s_mov_b64 s[0:1], 0
	s_waitcnt vmcnt(0)
	v_cvt_f64_i32_e32 v[8:9], v8
	s_branch .LBB7_1443
.LBB7_1442:
	s_mov_b64 s[0:1], -1
                                        ; implicit-def: $vgpr8_vgpr9
.LBB7_1443:
	s_andn2_b64 vcc, exec, s[0:1]
	s_cbranch_vccnz .LBB7_1445
; %bb.1444:
	global_load_ubyte v4, v[4:5], off
	s_waitcnt vmcnt(0)
	v_cvt_f64_u32_e32 v[8:9], v4
.LBB7_1445:
.LBB7_1446:
	s_mov_b32 s0, 0
	s_mov_b32 s1, 0x7ff00000
	s_waitcnt vmcnt(0)
	v_cmp_neq_f64_e64 s[0:1], |v[8:9]|, s[0:1]
	v_mov_b32_e32 v4, 0
	v_mov_b32_e32 v5, 0
	s_and_saveexec_b64 s[4:5], s[0:1]
	s_cbranch_execz .LBB7_1456
; %bb.1447:
	v_cmp_nlt_f64_e64 s[0:1], |v[8:9]|, 0.5
                                        ; implicit-def: $vgpr4_vgpr5
	s_and_saveexec_b64 s[6:7], s[0:1]
	s_xor_b64 s[6:7], exec, s[6:7]
	s_cbranch_execz .LBB7_1453
; %bb.1448:
	s_mov_b32 s0, 0
	s_mov_b32 s1, 0x41d00000
	v_cmp_nlt_f64_e64 s[0:1], |v[8:9]|, s[0:1]
                                        ; implicit-def: $vgpr13
                                        ; implicit-def: $vgpr4_vgpr5
                                        ; implicit-def: $vgpr11_vgpr12
	s_and_saveexec_b64 s[12:13], s[0:1]
	s_xor_b64 s[12:13], exec, s[12:13]
	s_cbranch_execz .LBB7_1450
; %bb.1449:
	v_trig_preop_f64 v[4:5], |v[8:9]|, 0
	s_mov_b32 s0, 0
	s_mov_b32 s1, 0x7b000000
	s_movk_i32 s14, 0xff80
	v_ldexp_f64 v[15:16], |v[8:9]|, s14
	v_cmp_ge_f64_e64 vcc, |v[8:9]|, s[0:1]
	v_trig_preop_f64 v[11:12], |v[8:9]|, 1
	v_and_b32_e32 v13, 0x7fffffff, v9
	v_trig_preop_f64 v[23:24], |v[8:9]|, 2
	s_mov_b32 s0, 0
	s_mov_b32 s1, 0x7ff00000
	v_mov_b32_e32 v33, 0
	s_mov_b32 s14, 0x33145c07
	v_cndmask_b32_e32 v16, v13, v16, vcc
	v_cndmask_b32_e32 v15, v8, v15, vcc
	v_mov_b32_e32 v13, 0x40100000
	v_mul_f64 v[17:18], v[4:5], v[15:16]
	s_mov_b32 s15, 0x3c91a626
	v_mul_f64 v[19:20], v[11:12], v[15:16]
	v_mul_f64 v[29:30], v[23:24], v[15:16]
	v_fma_f64 v[4:5], v[4:5], v[15:16], -v[17:18]
	v_fma_f64 v[11:12], v[11:12], v[15:16], -v[19:20]
	;; [unrolled: 1-line block ×3, first 2 shown]
	v_add_f64 v[21:22], v[19:20], v[4:5]
	v_add_f64 v[25:26], v[21:22], -v[19:20]
	v_add_f64 v[31:32], v[17:18], v[21:22]
	v_add_f64 v[27:28], v[21:22], -v[25:26]
	v_add_f64 v[4:5], v[4:5], -v[25:26]
	v_add_f64 v[25:26], v[29:30], v[11:12]
	v_add_f64 v[17:18], v[31:32], -v[17:18]
	v_add_f64 v[19:20], v[19:20], -v[27:28]
	v_ldexp_f64 v[27:28], v[31:32], -2
	v_add_f64 v[35:36], v[25:26], -v[29:30]
	v_add_f64 v[17:18], v[21:22], -v[17:18]
	v_add_f64 v[4:5], v[4:5], v[19:20]
	v_fract_f64_e32 v[19:20], v[27:28]
	v_cmp_neq_f64_e64 vcc, |v[27:28]|, s[0:1]
	v_add_f64 v[11:12], v[11:12], -v[35:36]
	v_add_f64 v[21:22], v[25:26], v[4:5]
	v_ldexp_f64 v[19:20], v[19:20], 2
	v_add_f64 v[27:28], v[17:18], v[21:22]
	v_cndmask_b32_e32 v20, 0, v20, vcc
	v_cndmask_b32_e32 v19, 0, v19, vcc
	v_add_f64 v[37:38], v[21:22], -v[25:26]
	v_add_f64 v[31:32], v[27:28], v[19:20]
	v_add_f64 v[17:18], v[27:28], -v[17:18]
	v_add_f64 v[39:40], v[21:22], -v[37:38]
	v_add_f64 v[4:5], v[4:5], -v[37:38]
	v_cmp_gt_f64_e32 vcc, 0, v[31:32]
	v_add_f64 v[31:32], v[25:26], -v[35:36]
	v_add_f64 v[17:18], v[21:22], -v[17:18]
	;; [unrolled: 1-line block ×3, first 2 shown]
	v_cndmask_b32_e32 v34, 0, v13, vcc
	v_add_f64 v[19:20], v[19:20], v[33:34]
	v_add_f64 v[31:32], v[29:30], -v[31:32]
	v_add_f64 v[4:5], v[4:5], v[25:26]
	v_add_f64 v[41:42], v[27:28], v[19:20]
	;; [unrolled: 1-line block ×3, first 2 shown]
	v_cvt_i32_f64_e32 v13, v[41:42]
	v_add_f64 v[4:5], v[11:12], v[4:5]
	v_cvt_f64_i32_e32 v[34:35], v13
	v_add_f64 v[19:20], v[19:20], -v[34:35]
	v_add_f64 v[4:5], v[15:16], v[4:5]
	v_add_f64 v[11:12], v[27:28], v[19:20]
	;; [unrolled: 1-line block ×3, first 2 shown]
	v_mov_b32_e32 v17, 0x3ff00000
	v_add_f64 v[15:16], v[11:12], -v[19:20]
	v_cmp_le_f64_e32 vcc, 0.5, v[11:12]
	v_add_f64 v[15:16], v[27:28], -v[15:16]
	v_cndmask_b32_e32 v34, 0, v17, vcc
	v_add_f64 v[11:12], v[11:12], -v[33:34]
	v_addc_co_u32_e64 v13, s[0:1], 0, v13, vcc
	s_mov_b32 s0, 0x54442d18
	s_mov_b32 s1, 0x3ff921fb
	v_add_f64 v[4:5], v[4:5], v[15:16]
	v_add_f64 v[15:16], v[11:12], v[4:5]
	v_mul_f64 v[17:18], v[15:16], s[0:1]
	v_add_f64 v[11:12], v[15:16], -v[11:12]
	v_fma_f64 v[19:20], v[15:16], s[0:1], -v[17:18]
	v_add_f64 v[4:5], v[4:5], -v[11:12]
	v_fma_f64 v[11:12], v[15:16], s[14:15], v[19:20]
	v_fma_f64 v[11:12], v[4:5], s[0:1], v[11:12]
	v_add_f64 v[4:5], v[17:18], v[11:12]
	v_add_f64 v[15:16], v[4:5], -v[17:18]
	v_add_f64 v[11:12], v[11:12], -v[15:16]
.LBB7_1450:
	s_andn2_saveexec_b64 s[0:1], s[12:13]
	s_cbranch_execz .LBB7_1452
; %bb.1451:
	s_mov_b32 s12, 0x6dc9c883
	s_mov_b32 s13, 0x3fe45f30
	v_mul_f64 v[4:5], |v[8:9]|, s[12:13]
	s_mov_b32 s12, 0x54442d18
	s_mov_b32 s13, 0xbff921fb
	;; [unrolled: 1-line block ×4, first 2 shown]
	v_rndne_f64_e32 v[15:16], v[4:5]
	v_fma_f64 v[4:5], v[15:16], s[12:13], |v[8:9]|
	v_mul_f64 v[11:12], v[15:16], s[14:15]
	s_mov_b32 s12, 0x252049c0
	s_mov_b32 s13, 0xb97b839a
	v_cvt_i32_f64_e32 v13, v[15:16]
	v_fma_f64 v[21:22], v[15:16], s[14:15], v[4:5]
	v_add_f64 v[17:18], v[4:5], v[11:12]
	s_mov_b32 s15, 0x3c91a626
	v_add_f64 v[19:20], v[4:5], -v[17:18]
	v_add_f64 v[17:18], v[17:18], -v[21:22]
	v_add_f64 v[4:5], v[19:20], v[11:12]
	v_fma_f64 v[11:12], v[15:16], s[14:15], v[11:12]
	v_add_f64 v[4:5], v[17:18], v[4:5]
	v_add_f64 v[4:5], v[4:5], -v[11:12]
	v_fma_f64 v[11:12], v[15:16], s[12:13], v[4:5]
	v_add_f64 v[4:5], v[21:22], v[11:12]
	v_add_f64 v[17:18], v[4:5], -v[21:22]
	v_add_f64 v[11:12], v[11:12], -v[17:18]
.LBB7_1452:
	s_or_b64 exec, exec, s[0:1]
	v_mul_f64 v[15:16], v[4:5], v[4:5]
	s_mov_b32 s0, 0xf9a43bb8
	v_mov_b32_e32 v18, 0xb42fdfa7
	v_mov_b32_e32 v19, 0xbe5ae600
	s_mov_b32 s1, 0x3de5e0b2
	s_mov_b32 s12, 0x796cde01
	v_mov_b32_e32 v17, 0x9037ab78
	s_mov_b32 s13, 0x3ec71de3
	v_fma_f64 v[19:20], v[15:16], s[0:1], v[18:19]
	s_mov_b32 s0, 0x46cc5e42
	v_mov_b32_e32 v18, 0x3e21eeb6
	s_mov_b32 s1, 0xbda907db
	v_fma_f64 v[17:18], v[15:16], s[0:1], v[17:18]
	v_mul_f64 v[21:22], v[15:16], 0.5
	s_mov_b32 s0, 0xa17f65f6
	s_mov_b32 s14, 0x19e83e5c
	v_fma_f64 v[19:20], v[15:16], v[19:20], s[12:13]
	s_mov_b32 s1, 0xbe927e4f
	s_mov_b32 s15, 0xbf2a01a0
	;; [unrolled: 1-line block ×3, first 2 shown]
	v_fma_f64 v[17:18], v[15:16], v[17:18], s[0:1]
	v_add_f64 v[23:24], -v[21:22], 1.0
	s_mov_b32 s0, 0x11110bb3
	s_mov_b32 s13, 0x3efa01a0
	v_fma_f64 v[19:20], v[15:16], v[19:20], s[14:15]
	s_mov_b32 s1, 0x3f811111
	v_mul_f64 v[25:26], v[11:12], 0.5
	v_mul_f64 v[27:28], v[4:5], -v[15:16]
	v_fma_f64 v[17:18], v[15:16], v[17:18], s[12:13]
	v_add_f64 v[29:30], -v[23:24], 1.0
	v_fma_f64 v[19:20], v[15:16], v[19:20], s[0:1]
	s_mov_b32 s0, 0x16c16967
	s_mov_b32 s1, 0xbf56c16c
	v_fma_f64 v[17:18], v[15:16], v[17:18], s[0:1]
	v_add_f64 v[21:22], v[29:30], -v[21:22]
	s_mov_b32 s1, 0x3fa55555
	s_mov_b32 s0, 0x55555555
	v_fma_f64 v[19:20], v[27:28], v[19:20], v[25:26]
	v_mul_f64 v[25:26], v[15:16], v[15:16]
	v_fma_f64 v[17:18], v[15:16], v[17:18], s[0:1]
	v_fma_f64 v[21:22], v[4:5], -v[11:12], v[21:22]
	s_mov_b32 s1, 0xbfc55555
	v_fma_f64 v[11:12], v[15:16], v[19:20], -v[11:12]
	v_fma_f64 v[15:16], v[25:26], v[17:18], v[21:22]
	v_fma_f64 v[11:12], v[27:28], s[0:1], v[11:12]
	s_movk_i32 s0, 0x1f8
	v_cmp_class_f64_e64 s[0:1], v[8:9], s0
	v_add_f64 v[15:16], v[23:24], v[15:16]
	v_add_f64 v[4:5], v[4:5], -v[11:12]
	v_and_b32_e32 v11, 1, v13
	v_cmp_eq_u32_e32 vcc, 0, v11
	v_lshlrev_b32_e32 v11, 30, v13
	v_xor_b32_e32 v11, v11, v9
	v_and_b32_e32 v11, 0x80000000, v11
	v_mov_b32_e32 v12, 0x7ff80000
	v_cndmask_b32_e32 v5, v16, v5, vcc
	v_cndmask_b32_e32 v4, v15, v4, vcc
	v_xor_b32_e32 v5, v5, v11
	v_cndmask_b32_e64 v4, 0, v4, s[0:1]
	v_cndmask_b32_e64 v5, v12, v5, s[0:1]
	v_div_scale_f64 v[11:12], s[0:1], v[8:9], v[8:9], v[4:5]
	v_div_scale_f64 v[19:20], vcc, v[4:5], v[8:9], v[4:5]
	v_rcp_f64_e32 v[15:16], v[11:12]
	v_fma_f64 v[17:18], -v[11:12], v[15:16], 1.0
	v_fma_f64 v[15:16], v[15:16], v[17:18], v[15:16]
	v_fma_f64 v[17:18], -v[11:12], v[15:16], 1.0
	v_fma_f64 v[15:16], v[15:16], v[17:18], v[15:16]
	v_mul_f64 v[17:18], v[19:20], v[15:16]
	v_fma_f64 v[11:12], -v[11:12], v[17:18], v[19:20]
	v_div_fmas_f64 v[11:12], v[11:12], v[15:16], v[17:18]
	v_div_fixup_f64 v[4:5], v[11:12], v[8:9], v[4:5]
                                        ; implicit-def: $vgpr8_vgpr9
.LBB7_1453:
	s_andn2_saveexec_b64 s[0:1], s[6:7]
	s_cbranch_execz .LBB7_1455
; %bb.1454:
	v_mul_f64 v[4:5], v[8:9], v[8:9]
	s_mov_b32 s6, 0x13a86d09
	v_mov_b32_e32 v8, 0x67f544e4
	v_mov_b32_e32 v9, 0xbe5ae645
	s_mov_b32 s7, 0x3de61246
	v_fma_f64 v[8:9], v[4:5], s[6:7], v[8:9]
	s_mov_b32 s6, 0xa556c734
	s_mov_b32 s7, 0x3ec71de3
	v_fma_f64 v[8:9], v[4:5], v[8:9], s[6:7]
	s_mov_b32 s6, 0x1a01a01a
	;; [unrolled: 3-line block ×4, first 2 shown]
	s_mov_b32 s7, 0xbfc55555
	v_fma_f64 v[8:9], v[4:5], v[8:9], s[6:7]
	v_fma_f64 v[4:5], v[4:5], v[8:9], 1.0
.LBB7_1455:
	s_or_b64 exec, exec, s[0:1]
.LBB7_1456:
	s_or_b64 exec, exec, s[4:5]
	v_mov_b32_e32 v8, s11
	v_add_co_u32_e32 v7, vcc, s10, v7
	s_cmp_lt_i32 s17, 11
	v_addc_co_u32_e32 v8, vcc, 0, v8, vcc
	s_cbranch_scc1 .LBB7_1463
; %bb.1457:
	s_and_b32 s18, 0xffff, s17
	s_cmp_gt_i32 s18, 25
	s_mov_b64 s[4:5], 0
	s_cbranch_scc0 .LBB7_1465
; %bb.1458:
	s_cmp_gt_i32 s18, 28
	s_cbranch_scc0 .LBB7_1466
; %bb.1459:
	s_cmp_gt_i32 s18, 43
	;; [unrolled: 3-line block ×3, first 2 shown]
	s_cbranch_scc0 .LBB7_1469
; %bb.1461:
	s_cmp_eq_u32 s18, 46
	s_mov_b64 s[12:13], 0
	s_cbranch_scc0 .LBB7_1470
; %bb.1462:
	global_load_dword v9, v[7:8], off
	s_mov_b64 s[0:1], 0
	s_mov_b64 s[6:7], -1
	s_waitcnt vmcnt(0)
	v_lshlrev_b32_e32 v9, 16, v9
	v_cvt_f64_f32_e32 v[11:12], v9
	s_branch .LBB7_1471
.LBB7_1463:
	s_mov_b64 s[6:7], 0
                                        ; implicit-def: $vgpr11_vgpr12
	s_cbranch_execnz .LBB7_1537
.LBB7_1464:
	s_andn2_b64 vcc, exec, s[6:7]
	s_cbranch_vccnz .LBB7_1813
	s_branch .LBB7_1585
.LBB7_1465:
	s_mov_b64 s[12:13], -1
	s_mov_b64 s[6:7], 0
	s_mov_b64 s[0:1], 0
                                        ; implicit-def: $vgpr11_vgpr12
	s_branch .LBB7_1502
.LBB7_1466:
	s_mov_b64 s[12:13], -1
	s_mov_b64 s[6:7], 0
	s_mov_b64 s[0:1], 0
                                        ; implicit-def: $vgpr11_vgpr12
	s_branch .LBB7_1481
.LBB7_1467:
	s_mov_b64 s[12:13], -1
	s_mov_b64 s[6:7], 0
	s_mov_b64 s[0:1], 0
                                        ; implicit-def: $vgpr11_vgpr12
	s_branch .LBB7_1476
.LBB7_1468:
	s_trap 2
	s_or_b64 s[2:3], s[2:3], exec
	s_cbranch_execz .LBB7_1397
	s_branch .LBB7_1398
.LBB7_1469:
	s_mov_b64 s[12:13], -1
	s_mov_b64 s[6:7], 0
	s_mov_b64 s[0:1], 0
                                        ; implicit-def: $vgpr11_vgpr12
	s_branch .LBB7_1471
.LBB7_1470:
	s_mov_b64 s[0:1], -1
                                        ; implicit-def: $vgpr11_vgpr12
	s_mov_b64 s[6:7], 0
.LBB7_1471:
	s_and_b64 vcc, exec, s[12:13]
	s_cbranch_vccz .LBB7_1475
; %bb.1472:
	s_cmp_eq_u32 s18, 44
	s_cbranch_scc0 .LBB7_1474
; %bb.1473:
	global_load_ubyte v9, v[7:8], off
	s_movk_i32 s6, 0xff
	v_bfrev_b32_e32 v13, 4
	v_mov_b32_e32 v15, 0x7ff80000
	v_bfrev_b32_e32 v16, 28
	s_mov_b64 s[0:1], 0
	s_waitcnt vmcnt(0)
	v_lshlrev_b32_e32 v11, 23, v9
	v_cvt_f64_f32_e32 v[11:12], v11
	v_cmp_ne_u32_e32 vcc, s6, v9
	s_mov_b64 s[6:7], -1
	v_cndmask_b32_e32 v11, v13, v11, vcc
	v_cndmask_b32_e32 v12, v15, v12, vcc
	v_cmp_ne_u32_e32 vcc, 0, v9
	v_cndmask_b32_e32 v12, v16, v12, vcc
	v_cndmask_b32_e32 v11, 0, v11, vcc
	s_branch .LBB7_1475
.LBB7_1474:
	s_mov_b64 s[0:1], -1
                                        ; implicit-def: $vgpr11_vgpr12
.LBB7_1475:
	s_mov_b64 s[12:13], 0
.LBB7_1476:
	s_and_b64 vcc, exec, s[12:13]
	s_cbranch_vccz .LBB7_1480
; %bb.1477:
	s_cmp_eq_u32 s18, 29
	s_cbranch_scc0 .LBB7_1479
; %bb.1478:
	global_load_dwordx2 v[11:12], v[7:8], off
	s_mov_b64 s[0:1], 0
	s_mov_b64 s[6:7], -1
	s_mov_b64 s[12:13], 0
	s_waitcnt vmcnt(0)
	v_cvt_f64_u32_e32 v[12:13], v12
	v_cvt_f64_u32_e32 v[15:16], v11
	v_ldexp_f64 v[12:13], v[12:13], 32
	v_add_f64 v[11:12], v[12:13], v[15:16]
	s_branch .LBB7_1481
.LBB7_1479:
	s_mov_b64 s[0:1], -1
                                        ; implicit-def: $vgpr11_vgpr12
.LBB7_1480:
	s_mov_b64 s[12:13], 0
.LBB7_1481:
	s_and_b64 vcc, exec, s[12:13]
	s_cbranch_vccz .LBB7_1501
; %bb.1482:
	s_cmp_lt_i32 s18, 27
	s_cbranch_scc1 .LBB7_1485
; %bb.1483:
	s_cmp_gt_i32 s18, 27
	s_cbranch_scc0 .LBB7_1486
; %bb.1484:
	global_load_dword v9, v[7:8], off
	s_mov_b64 s[6:7], 0
	s_waitcnt vmcnt(0)
	v_cvt_f64_u32_e32 v[11:12], v9
	s_branch .LBB7_1487
.LBB7_1485:
	s_mov_b64 s[6:7], -1
                                        ; implicit-def: $vgpr11_vgpr12
	s_branch .LBB7_1490
.LBB7_1486:
	s_mov_b64 s[6:7], -1
                                        ; implicit-def: $vgpr11_vgpr12
.LBB7_1487:
	s_andn2_b64 vcc, exec, s[6:7]
	s_cbranch_vccnz .LBB7_1489
; %bb.1488:
	global_load_ushort v9, v[7:8], off
	s_waitcnt vmcnt(0)
	v_cvt_f64_u32_e32 v[11:12], v9
.LBB7_1489:
	s_mov_b64 s[6:7], 0
.LBB7_1490:
	s_andn2_b64 vcc, exec, s[6:7]
	s_cbranch_vccnz .LBB7_1500
; %bb.1491:
	global_load_ubyte v9, v[7:8], off
	s_movk_i32 s6, 0x7f
	s_waitcnt vmcnt(0)
	v_cmp_lt_i16_e32 vcc, s6, v9
	s_mov_b64 s[6:7], 0
	s_and_saveexec_b64 s[12:13], vcc
	s_xor_b64 s[12:13], exec, s[12:13]
	s_cbranch_execz .LBB7_1495
; %bb.1492:
	s_movk_i32 s6, 0x80
	v_cmp_eq_u16_e32 vcc, s6, v9
	s_mov_b64 s[6:7], -1
	s_and_saveexec_b64 s[14:15], vcc
; %bb.1493:
	s_xor_b64 s[6:7], exec, -1
; %bb.1494:
	s_or_b64 exec, exec, s[14:15]
	s_and_b64 s[6:7], s[6:7], exec
.LBB7_1495:
	s_or_saveexec_b64 s[12:13], s[12:13]
	v_bfrev_b32_e32 v11, 4
	v_mov_b32_e32 v12, 0x7ff80000
	s_xor_b64 exec, exec, s[12:13]
; %bb.1496:
	v_cmp_ne_u16_e32 vcc, 0, v9
	v_mov_b32_e32 v11, 0
	s_andn2_b64 s[6:7], s[6:7], exec
	s_and_b64 s[14:15], vcc, exec
	v_mov_b32_e32 v12, 0
	s_or_b64 s[6:7], s[6:7], s[14:15]
; %bb.1497:
	s_or_b64 exec, exec, s[12:13]
	s_and_saveexec_b64 s[12:13], s[6:7]
	s_cbranch_execz .LBB7_1499
; %bb.1498:
	v_lshlrev_b32_e32 v11, 24, v9
	v_and_b32_e32 v9, 0xffff, v9
	v_and_b32_e32 v12, 7, v9
	v_ffbh_u32_e32 v15, v12
	v_min_u32_e32 v15, 32, v15
	v_subrev_u32_e32 v16, 28, v15
	v_bfe_u32 v13, v9, 3, 4
	v_lshlrev_b32_e32 v9, v16, v9
	v_sub_u32_e32 v15, 29, v15
	v_and_b32_e32 v9, 7, v9
	v_cmp_eq_u32_e32 vcc, 0, v13
	v_cndmask_b32_e32 v13, v13, v15, vcc
	v_cndmask_b32_e32 v9, v12, v9, vcc
	v_mov_b32_e32 v12, 0x3b800000
	v_lshlrev_b32_e32 v9, 20, v9
	v_and_b32_e32 v11, 0x80000000, v11
	v_lshl_add_u32 v12, v13, 23, v12
	v_or3_b32 v9, v11, v12, v9
	v_cvt_f64_f32_e32 v[11:12], v9
.LBB7_1499:
	s_or_b64 exec, exec, s[12:13]
.LBB7_1500:
	s_mov_b64 s[6:7], -1
.LBB7_1501:
	s_mov_b64 s[12:13], 0
.LBB7_1502:
	s_and_b64 vcc, exec, s[12:13]
	s_cbranch_vccz .LBB7_1533
; %bb.1503:
	s_cmp_gt_i32 s18, 22
	s_cbranch_scc0 .LBB7_1515
; %bb.1504:
	s_cmp_lt_i32 s18, 24
	s_cbranch_scc1 .LBB7_1516
; %bb.1505:
	s_cmp_gt_i32 s18, 24
	s_cbranch_scc0 .LBB7_1517
; %bb.1506:
	global_load_ubyte v9, v[7:8], off
	s_movk_i32 s4, 0x7f
	s_waitcnt vmcnt(0)
	v_cmp_lt_i16_e32 vcc, s4, v9
	s_mov_b64 s[4:5], 0
	s_and_saveexec_b64 s[6:7], vcc
	s_xor_b64 s[6:7], exec, s[6:7]
	s_cbranch_execz .LBB7_1510
; %bb.1507:
	s_movk_i32 s4, 0x80
	v_cmp_eq_u16_e32 vcc, s4, v9
	s_mov_b64 s[4:5], -1
	s_and_saveexec_b64 s[12:13], vcc
; %bb.1508:
	s_xor_b64 s[4:5], exec, -1
; %bb.1509:
	s_or_b64 exec, exec, s[12:13]
	s_and_b64 s[4:5], s[4:5], exec
.LBB7_1510:
	s_or_saveexec_b64 s[6:7], s[6:7]
	v_bfrev_b32_e32 v11, 4
	v_mov_b32_e32 v12, 0x7ff80000
	s_xor_b64 exec, exec, s[6:7]
; %bb.1511:
	v_cmp_ne_u16_e32 vcc, 0, v9
	v_mov_b32_e32 v11, 0
	s_andn2_b64 s[4:5], s[4:5], exec
	s_and_b64 s[12:13], vcc, exec
	v_mov_b32_e32 v12, 0
	s_or_b64 s[4:5], s[4:5], s[12:13]
; %bb.1512:
	s_or_b64 exec, exec, s[6:7]
	s_and_saveexec_b64 s[6:7], s[4:5]
	s_cbranch_execz .LBB7_1514
; %bb.1513:
	v_lshlrev_b32_e32 v11, 24, v9
	v_and_b32_e32 v9, 0xffff, v9
	v_and_b32_e32 v12, 3, v9
	v_ffbh_u32_e32 v15, v12
	v_min_u32_e32 v15, 32, v15
	v_subrev_u32_e32 v16, 29, v15
	v_bfe_u32 v13, v9, 2, 5
	v_lshlrev_b32_e32 v9, v16, v9
	v_sub_u32_e32 v15, 30, v15
	v_and_b32_e32 v9, 3, v9
	v_cmp_eq_u32_e32 vcc, 0, v13
	v_cndmask_b32_e32 v13, v13, v15, vcc
	v_cndmask_b32_e32 v9, v12, v9, vcc
	v_mov_b32_e32 v12, 0x37800000
	v_lshlrev_b32_e32 v9, 21, v9
	v_and_b32_e32 v11, 0x80000000, v11
	v_lshl_add_u32 v12, v13, 23, v12
	v_or3_b32 v9, v11, v12, v9
	v_cvt_f64_f32_e32 v[11:12], v9
.LBB7_1514:
	s_or_b64 exec, exec, s[6:7]
	s_mov_b64 s[4:5], 0
	s_branch .LBB7_1518
.LBB7_1515:
	s_mov_b64 s[4:5], -1
                                        ; implicit-def: $vgpr11_vgpr12
	s_branch .LBB7_1524
.LBB7_1516:
	s_mov_b64 s[4:5], -1
                                        ; implicit-def: $vgpr11_vgpr12
	s_branch .LBB7_1521
.LBB7_1517:
	s_mov_b64 s[4:5], -1
                                        ; implicit-def: $vgpr11_vgpr12
.LBB7_1518:
	s_and_b64 vcc, exec, s[4:5]
	s_cbranch_vccz .LBB7_1520
; %bb.1519:
	global_load_ubyte v9, v[7:8], off
	s_mov_b32 s4, 0x7f800000
	s_waitcnt vmcnt(0)
	v_lshlrev_b32_e32 v9, 24, v9
	v_and_b32_e32 v11, 0x7f000000, v9
	v_ffbh_u32_e32 v12, v11
	v_min_u32_e32 v12, 32, v12
	v_sub_u32_e64 v12, v12, 4 clamp
	v_lshlrev_b32_e32 v15, v12, v11
	v_lshlrev_b32_e32 v12, 23, v12
	v_lshrrev_b32_e32 v15, 4, v15
	v_add_u32_e32 v13, 0x1000000, v11
	v_sub_u32_e32 v12, v15, v12
	v_ashrrev_i32_e32 v13, 8, v13
	v_add_u32_e32 v12, 0x3c000000, v12
	v_and_or_b32 v12, v13, s4, v12
	v_cmp_ne_u32_e32 vcc, 0, v11
	v_cndmask_b32_e32 v11, 0, v12, vcc
	s_brev_b32 s4, 1
	v_and_or_b32 v9, v9, s4, v11
	v_cvt_f64_f32_e32 v[11:12], v9
.LBB7_1520:
	s_mov_b64 s[4:5], 0
.LBB7_1521:
	s_andn2_b64 vcc, exec, s[4:5]
	s_cbranch_vccnz .LBB7_1523
; %bb.1522:
	global_load_ubyte v9, v[7:8], off
	s_movk_i32 s4, 0x7f00
	s_brev_b32 s5, 16
	s_waitcnt vmcnt(0)
	v_lshlrev_b16_e32 v11, 8, v9
	v_lshlrev_b32_e32 v9, 25, v9
	v_lshrrev_b32_e32 v12, 4, v9
	v_and_or_b32 v13, v11, s4, 0.5
	v_or_b32_e32 v12, 0x70000000, v12
	v_add_f32_e32 v13, -0.5, v13
	v_mul_f32_e32 v12, 0x7800000, v12
	v_cmp_gt_u32_e32 vcc, s5, v9
	v_bfe_i32 v11, v11, 0, 16
	v_cndmask_b32_e32 v9, v12, v13, vcc
	s_brev_b32 s4, 1
	v_and_or_b32 v9, v11, s4, v9
	v_cvt_f64_f32_e32 v[11:12], v9
.LBB7_1523:
	s_mov_b64 s[4:5], 0
	s_mov_b64 s[6:7], -1
.LBB7_1524:
	s_andn2_b64 vcc, exec, s[4:5]
	s_mov_b64 s[4:5], 0
	s_cbranch_vccnz .LBB7_1533
; %bb.1525:
	s_cmp_gt_i32 s18, 14
	s_cbranch_scc0 .LBB7_1528
; %bb.1526:
	s_cmp_eq_u32 s18, 15
	s_cbranch_scc0 .LBB7_1529
; %bb.1527:
	global_load_ushort v9, v[7:8], off
	s_mov_b64 s[0:1], 0
	s_mov_b64 s[6:7], -1
	s_waitcnt vmcnt(0)
	v_lshlrev_b32_e32 v9, 16, v9
	v_cvt_f64_f32_e32 v[11:12], v9
	s_branch .LBB7_1530
.LBB7_1528:
	s_mov_b64 s[12:13], -1
                                        ; implicit-def: $vgpr11_vgpr12
	s_branch .LBB7_1531
.LBB7_1529:
	s_mov_b64 s[0:1], -1
                                        ; implicit-def: $vgpr11_vgpr12
.LBB7_1530:
	s_mov_b64 s[12:13], 0
.LBB7_1531:
	s_and_b64 vcc, exec, s[12:13]
	s_cbranch_vccz .LBB7_1533
; %bb.1532:
	s_cmp_lg_u32 s18, 11
	s_mov_b64 s[4:5], -1
	s_cselect_b64 s[0:1], -1, 0
.LBB7_1533:
	s_and_b64 vcc, exec, s[0:1]
	s_cbranch_vccnz .LBB7_1606
; %bb.1534:
	s_andn2_b64 vcc, exec, s[4:5]
	s_cbranch_vccnz .LBB7_1536
.LBB7_1535:
	global_load_ubyte v9, v[7:8], off
	v_mov_b32_e32 v12, 0x3ff00000
	v_mov_b32_e32 v11, 0
	s_mov_b64 s[6:7], -1
	s_waitcnt vmcnt(0)
	v_cmp_ne_u16_e32 vcc, 0, v9
	v_cndmask_b32_e32 v12, 0, v12, vcc
.LBB7_1536:
	s_branch .LBB7_1464
.LBB7_1537:
	s_and_b32 s4, 0xffff, s17
	s_cmp_lt_i32 s4, 5
	s_cbranch_scc1 .LBB7_1542
; %bb.1538:
	s_cmp_lt_i32 s4, 8
	s_cbranch_scc1 .LBB7_1543
; %bb.1539:
	;; [unrolled: 3-line block ×3, first 2 shown]
	s_cmp_gt_i32 s4, 9
	s_cbranch_scc0 .LBB7_1545
; %bb.1541:
	global_load_dwordx2 v[11:12], v[7:8], off
	s_mov_b64 s[0:1], 0
	s_branch .LBB7_1546
.LBB7_1542:
	s_mov_b64 s[0:1], -1
                                        ; implicit-def: $vgpr11_vgpr12
	s_branch .LBB7_1564
.LBB7_1543:
	s_mov_b64 s[0:1], -1
                                        ; implicit-def: $vgpr11_vgpr12
	s_branch .LBB7_1552
.LBB7_1544:
	s_mov_b64 s[0:1], -1
                                        ; implicit-def: $vgpr11_vgpr12
	s_branch .LBB7_1549
.LBB7_1545:
	s_mov_b64 s[0:1], -1
                                        ; implicit-def: $vgpr11_vgpr12
.LBB7_1546:
	s_andn2_b64 vcc, exec, s[0:1]
	s_cbranch_vccnz .LBB7_1548
; %bb.1547:
	global_load_dword v9, v[7:8], off
	s_waitcnt vmcnt(0)
	v_cvt_f64_f32_e32 v[11:12], v9
.LBB7_1548:
	s_mov_b64 s[0:1], 0
.LBB7_1549:
	s_andn2_b64 vcc, exec, s[0:1]
	s_cbranch_vccnz .LBB7_1551
; %bb.1550:
	global_load_dword v9, v[7:8], off
	s_waitcnt vmcnt(0)
	v_cvt_f32_f16_e32 v9, v9
	v_cvt_f64_f32_e32 v[11:12], v9
.LBB7_1551:
	s_mov_b64 s[0:1], 0
.LBB7_1552:
	s_andn2_b64 vcc, exec, s[0:1]
	s_cbranch_vccnz .LBB7_1563
; %bb.1553:
	s_cmp_lt_i32 s4, 6
	s_cbranch_scc1 .LBB7_1556
; %bb.1554:
	s_cmp_gt_i32 s4, 6
	s_cbranch_scc0 .LBB7_1557
; %bb.1555:
	global_load_dwordx2 v[11:12], v[7:8], off
	s_mov_b64 s[0:1], 0
	s_branch .LBB7_1558
.LBB7_1556:
	s_mov_b64 s[0:1], -1
                                        ; implicit-def: $vgpr11_vgpr12
	s_branch .LBB7_1561
.LBB7_1557:
	s_mov_b64 s[0:1], -1
                                        ; implicit-def: $vgpr11_vgpr12
.LBB7_1558:
	s_andn2_b64 vcc, exec, s[0:1]
	s_cbranch_vccnz .LBB7_1560
; %bb.1559:
	global_load_dword v9, v[7:8], off
	s_waitcnt vmcnt(0)
	v_cvt_f64_f32_e32 v[11:12], v9
.LBB7_1560:
	s_mov_b64 s[0:1], 0
.LBB7_1561:
	s_andn2_b64 vcc, exec, s[0:1]
	s_cbranch_vccnz .LBB7_1563
; %bb.1562:
	global_load_ushort v9, v[7:8], off
	s_waitcnt vmcnt(0)
	v_cvt_f32_f16_e32 v9, v9
	v_cvt_f64_f32_e32 v[11:12], v9
.LBB7_1563:
	s_mov_b64 s[0:1], 0
.LBB7_1564:
	s_andn2_b64 vcc, exec, s[0:1]
	s_cbranch_vccnz .LBB7_1584
; %bb.1565:
	s_cmp_lt_i32 s4, 2
	s_cbranch_scc1 .LBB7_1569
; %bb.1566:
	s_cmp_lt_i32 s4, 3
	s_cbranch_scc1 .LBB7_1570
; %bb.1567:
	s_cmp_gt_i32 s4, 3
	s_cbranch_scc0 .LBB7_1571
; %bb.1568:
	global_load_dwordx2 v[11:12], v[7:8], off
	s_mov_b64 s[0:1], 0
	s_waitcnt vmcnt(0)
	v_cvt_f64_i32_e32 v[12:13], v12
	v_cvt_f64_u32_e32 v[15:16], v11
	v_ldexp_f64 v[12:13], v[12:13], 32
	v_add_f64 v[11:12], v[12:13], v[15:16]
	s_branch .LBB7_1572
.LBB7_1569:
	s_mov_b64 s[0:1], -1
                                        ; implicit-def: $vgpr11_vgpr12
	s_branch .LBB7_1578
.LBB7_1570:
	s_mov_b64 s[0:1], -1
                                        ; implicit-def: $vgpr11_vgpr12
	s_branch .LBB7_1575
.LBB7_1571:
	s_mov_b64 s[0:1], -1
                                        ; implicit-def: $vgpr11_vgpr12
.LBB7_1572:
	s_andn2_b64 vcc, exec, s[0:1]
	s_cbranch_vccnz .LBB7_1574
; %bb.1573:
	global_load_dword v9, v[7:8], off
	s_waitcnt vmcnt(0)
	v_cvt_f64_i32_e32 v[11:12], v9
.LBB7_1574:
	s_mov_b64 s[0:1], 0
.LBB7_1575:
	s_andn2_b64 vcc, exec, s[0:1]
	s_cbranch_vccnz .LBB7_1577
; %bb.1576:
	global_load_sshort v9, v[7:8], off
	s_waitcnt vmcnt(0)
	v_cvt_f64_i32_e32 v[11:12], v9
.LBB7_1577:
	s_mov_b64 s[0:1], 0
.LBB7_1578:
	s_andn2_b64 vcc, exec, s[0:1]
	s_cbranch_vccnz .LBB7_1584
; %bb.1579:
	s_cmp_gt_i32 s4, 0
	s_cbranch_scc0 .LBB7_1581
; %bb.1580:
	global_load_sbyte v9, v[7:8], off
	s_mov_b64 s[0:1], 0
	s_waitcnt vmcnt(0)
	v_cvt_f64_i32_e32 v[11:12], v9
	s_branch .LBB7_1582
.LBB7_1581:
	s_mov_b64 s[0:1], -1
                                        ; implicit-def: $vgpr11_vgpr12
.LBB7_1582:
	s_andn2_b64 vcc, exec, s[0:1]
	s_cbranch_vccnz .LBB7_1584
; %bb.1583:
	global_load_ubyte v7, v[7:8], off
	s_waitcnt vmcnt(0)
	v_cvt_f64_u32_e32 v[11:12], v7
.LBB7_1584:
.LBB7_1585:
	s_mov_b32 s0, 0
	s_mov_b32 s1, 0x7ff00000
	s_waitcnt vmcnt(0)
	v_cmp_neq_f64_e64 s[0:1], |v[11:12]|, s[0:1]
	v_mov_b32_e32 v8, 0
	v_mov_b32_e32 v9, 0
	s_and_saveexec_b64 s[4:5], s[0:1]
	s_cbranch_execz .LBB7_1595
; %bb.1586:
	v_cmp_nlt_f64_e64 s[0:1], |v[11:12]|, 0.5
                                        ; implicit-def: $vgpr8_vgpr9
	s_and_saveexec_b64 s[6:7], s[0:1]
	s_xor_b64 s[6:7], exec, s[6:7]
	s_cbranch_execz .LBB7_1592
; %bb.1587:
	s_mov_b32 s0, 0
	s_mov_b32 s1, 0x41d00000
	v_cmp_nlt_f64_e64 s[0:1], |v[11:12]|, s[0:1]
                                        ; implicit-def: $vgpr9
                                        ; implicit-def: $vgpr7_vgpr8
                                        ; implicit-def: $vgpr15_vgpr16
	s_and_saveexec_b64 s[12:13], s[0:1]
	s_xor_b64 s[0:1], exec, s[12:13]
	s_cbranch_execz .LBB7_1589
; %bb.1588:
	v_trig_preop_f64 v[7:8], |v[11:12]|, 0
	s_mov_b32 s12, 0
	s_mov_b32 s13, 0x7b000000
	s_movk_i32 s14, 0xff80
	v_ldexp_f64 v[17:18], |v[11:12]|, s14
	v_cmp_ge_f64_e64 vcc, |v[11:12]|, s[12:13]
	v_trig_preop_f64 v[15:16], |v[11:12]|, 1
	v_and_b32_e32 v9, 0x7fffffff, v12
	v_trig_preop_f64 v[25:26], |v[11:12]|, 2
	s_mov_b32 s12, 0
	s_mov_b32 s13, 0x7ff00000
	v_mov_b32_e32 v35, 0
	v_mov_b32_e32 v13, 0x3ff00000
	v_cndmask_b32_e32 v18, v9, v18, vcc
	v_cndmask_b32_e32 v17, v11, v17, vcc
	v_mov_b32_e32 v9, 0x40100000
	v_mul_f64 v[19:20], v[7:8], v[17:18]
	s_mov_b32 s14, 0x33145c07
	s_mov_b32 s15, 0x3c91a626
	v_mul_f64 v[21:22], v[15:16], v[17:18]
	v_mul_f64 v[31:32], v[25:26], v[17:18]
	v_fma_f64 v[7:8], v[7:8], v[17:18], -v[19:20]
	v_fma_f64 v[15:16], v[15:16], v[17:18], -v[21:22]
	;; [unrolled: 1-line block ×3, first 2 shown]
	v_add_f64 v[23:24], v[21:22], v[7:8]
	v_add_f64 v[27:28], v[23:24], -v[21:22]
	v_add_f64 v[33:34], v[19:20], v[23:24]
	v_add_f64 v[29:30], v[23:24], -v[27:28]
	v_add_f64 v[7:8], v[7:8], -v[27:28]
	v_add_f64 v[27:28], v[31:32], v[15:16]
	v_add_f64 v[19:20], v[33:34], -v[19:20]
	v_add_f64 v[21:22], v[21:22], -v[29:30]
	v_ldexp_f64 v[29:30], v[33:34], -2
	v_add_f64 v[37:38], v[27:28], -v[31:32]
	v_add_f64 v[19:20], v[23:24], -v[19:20]
	v_add_f64 v[7:8], v[7:8], v[21:22]
	v_fract_f64_e32 v[21:22], v[29:30]
	v_cmp_neq_f64_e64 vcc, |v[29:30]|, s[12:13]
	v_add_f64 v[15:16], v[15:16], -v[37:38]
	s_mov_b32 s12, 0x54442d18
	s_mov_b32 s13, 0x3ff921fb
	v_add_f64 v[23:24], v[27:28], v[7:8]
	v_ldexp_f64 v[21:22], v[21:22], 2
	v_add_f64 v[29:30], v[19:20], v[23:24]
	v_cndmask_b32_e32 v22, 0, v22, vcc
	v_cndmask_b32_e32 v21, 0, v21, vcc
	v_add_f64 v[39:40], v[23:24], -v[27:28]
	v_add_f64 v[33:34], v[29:30], v[21:22]
	v_add_f64 v[19:20], v[29:30], -v[19:20]
	v_add_f64 v[41:42], v[23:24], -v[39:40]
	;; [unrolled: 1-line block ×3, first 2 shown]
	v_cmp_gt_f64_e32 vcc, 0, v[33:34]
	v_add_f64 v[33:34], v[27:28], -v[37:38]
	v_add_f64 v[19:20], v[23:24], -v[19:20]
	;; [unrolled: 1-line block ×3, first 2 shown]
	v_cndmask_b32_e32 v36, 0, v9, vcc
	v_add_f64 v[21:22], v[21:22], v[35:36]
	v_add_f64 v[33:34], v[31:32], -v[33:34]
	v_add_f64 v[7:8], v[7:8], v[27:28]
	v_add_f64 v[43:44], v[29:30], v[21:22]
	;; [unrolled: 1-line block ×3, first 2 shown]
	v_cvt_i32_f64_e32 v9, v[43:44]
	v_add_f64 v[7:8], v[15:16], v[7:8]
	v_cvt_f64_i32_e32 v[36:37], v9
	v_add_f64 v[21:22], v[21:22], -v[36:37]
	v_add_f64 v[7:8], v[17:18], v[7:8]
	v_add_f64 v[15:16], v[29:30], v[21:22]
	;; [unrolled: 1-line block ×3, first 2 shown]
	v_add_f64 v[17:18], v[15:16], -v[21:22]
	v_cmp_le_f64_e32 vcc, 0.5, v[15:16]
	v_add_f64 v[17:18], v[29:30], -v[17:18]
	v_cndmask_b32_e32 v36, 0, v13, vcc
	v_add_f64 v[15:16], v[15:16], -v[35:36]
	v_addc_co_u32_e32 v9, vcc, 0, v9, vcc
	v_add_f64 v[7:8], v[7:8], v[17:18]
	v_add_f64 v[17:18], v[15:16], v[7:8]
	v_mul_f64 v[19:20], v[17:18], s[12:13]
	v_add_f64 v[15:16], v[17:18], -v[15:16]
	v_fma_f64 v[21:22], v[17:18], s[12:13], -v[19:20]
	v_add_f64 v[7:8], v[7:8], -v[15:16]
	v_fma_f64 v[15:16], v[17:18], s[14:15], v[21:22]
	v_fma_f64 v[15:16], v[7:8], s[12:13], v[15:16]
	v_add_f64 v[7:8], v[19:20], v[15:16]
	v_add_f64 v[17:18], v[7:8], -v[19:20]
	v_add_f64 v[15:16], v[15:16], -v[17:18]
.LBB7_1589:
	s_andn2_saveexec_b64 s[0:1], s[0:1]
	s_cbranch_execz .LBB7_1591
; %bb.1590:
	s_mov_b32 s12, 0x6dc9c883
	s_mov_b32 s13, 0x3fe45f30
	v_mul_f64 v[7:8], |v[11:12]|, s[12:13]
	s_mov_b32 s12, 0x54442d18
	s_mov_b32 s13, 0xbff921fb
	;; [unrolled: 1-line block ×4, first 2 shown]
	v_rndne_f64_e32 v[17:18], v[7:8]
	v_fma_f64 v[7:8], v[17:18], s[12:13], |v[11:12]|
	v_mul_f64 v[15:16], v[17:18], s[14:15]
	s_mov_b32 s12, 0x252049c0
	s_mov_b32 s13, 0xb97b839a
	v_cvt_i32_f64_e32 v9, v[17:18]
	v_fma_f64 v[23:24], v[17:18], s[14:15], v[7:8]
	v_add_f64 v[19:20], v[7:8], v[15:16]
	s_mov_b32 s15, 0x3c91a626
	v_add_f64 v[21:22], v[7:8], -v[19:20]
	v_add_f64 v[19:20], v[19:20], -v[23:24]
	v_add_f64 v[7:8], v[21:22], v[15:16]
	v_fma_f64 v[15:16], v[17:18], s[14:15], v[15:16]
	v_add_f64 v[7:8], v[19:20], v[7:8]
	v_add_f64 v[7:8], v[7:8], -v[15:16]
	v_fma_f64 v[15:16], v[17:18], s[12:13], v[7:8]
	v_add_f64 v[7:8], v[23:24], v[15:16]
	v_add_f64 v[19:20], v[7:8], -v[23:24]
	v_add_f64 v[15:16], v[15:16], -v[19:20]
.LBB7_1591:
	s_or_b64 exec, exec, s[0:1]
	v_mul_f64 v[17:18], v[7:8], v[7:8]
	s_mov_b32 s0, 0xf9a43bb8
	v_mov_b32_e32 v20, 0xb42fdfa7
	v_mov_b32_e32 v21, 0xbe5ae600
	s_mov_b32 s1, 0x3de5e0b2
	s_mov_b32 s12, 0x796cde01
	v_mov_b32_e32 v19, 0x9037ab78
	s_mov_b32 s13, 0x3ec71de3
	v_fma_f64 v[21:22], v[17:18], s[0:1], v[20:21]
	s_mov_b32 s0, 0x46cc5e42
	v_mov_b32_e32 v20, 0x3e21eeb6
	s_mov_b32 s1, 0xbda907db
	v_fma_f64 v[19:20], v[17:18], s[0:1], v[19:20]
	v_mul_f64 v[23:24], v[17:18], 0.5
	s_mov_b32 s0, 0xa17f65f6
	s_mov_b32 s14, 0x19e83e5c
	v_fma_f64 v[21:22], v[17:18], v[21:22], s[12:13]
	s_mov_b32 s1, 0xbe927e4f
	s_mov_b32 s15, 0xbf2a01a0
	;; [unrolled: 1-line block ×3, first 2 shown]
	v_fma_f64 v[19:20], v[17:18], v[19:20], s[0:1]
	v_add_f64 v[25:26], -v[23:24], 1.0
	s_mov_b32 s0, 0x11110bb3
	s_mov_b32 s13, 0x3efa01a0
	v_fma_f64 v[21:22], v[17:18], v[21:22], s[14:15]
	s_mov_b32 s1, 0x3f811111
	v_mul_f64 v[27:28], v[15:16], 0.5
	v_mul_f64 v[29:30], v[7:8], -v[17:18]
	v_fma_f64 v[19:20], v[17:18], v[19:20], s[12:13]
	v_add_f64 v[31:32], -v[25:26], 1.0
	v_and_b32_e32 v13, 1, v9
	v_lshlrev_b32_e32 v9, 30, v9
	v_fma_f64 v[21:22], v[17:18], v[21:22], s[0:1]
	s_mov_b32 s0, 0x16c16967
	s_mov_b32 s1, 0xbf56c16c
	v_cmp_eq_u32_e32 vcc, 0, v13
	v_fma_f64 v[19:20], v[17:18], v[19:20], s[0:1]
	v_add_f64 v[23:24], v[31:32], -v[23:24]
	s_mov_b32 s1, 0x3fa55555
	s_mov_b32 s0, 0x55555555
	v_fma_f64 v[21:22], v[29:30], v[21:22], v[27:28]
	v_mul_f64 v[27:28], v[17:18], v[17:18]
	v_xor_b32_e32 v9, v9, v12
	v_and_b32_e32 v9, 0x80000000, v9
	v_fma_f64 v[19:20], v[17:18], v[19:20], s[0:1]
	v_fma_f64 v[23:24], v[7:8], -v[15:16], v[23:24]
	s_mov_b32 s1, 0xbfc55555
	v_mov_b32_e32 v13, 0x7ff80000
	v_fma_f64 v[15:16], v[17:18], v[21:22], -v[15:16]
	v_fma_f64 v[17:18], v[27:28], v[19:20], v[23:24]
	v_fma_f64 v[15:16], v[29:30], s[0:1], v[15:16]
	s_movk_i32 s0, 0x1f8
	v_cmp_class_f64_e64 s[0:1], v[11:12], s0
	v_add_f64 v[17:18], v[25:26], v[17:18]
	v_add_f64 v[7:8], v[7:8], -v[15:16]
	v_cndmask_b32_e32 v8, v18, v8, vcc
	v_cndmask_b32_e32 v7, v17, v7, vcc
	v_xor_b32_e32 v8, v8, v9
	v_cndmask_b32_e64 v7, 0, v7, s[0:1]
	v_cndmask_b32_e64 v8, v13, v8, s[0:1]
	v_div_scale_f64 v[15:16], s[0:1], v[11:12], v[11:12], v[7:8]
	v_div_scale_f64 v[21:22], vcc, v[7:8], v[11:12], v[7:8]
	v_rcp_f64_e32 v[17:18], v[15:16]
	v_fma_f64 v[19:20], -v[15:16], v[17:18], 1.0
	v_fma_f64 v[17:18], v[17:18], v[19:20], v[17:18]
	v_fma_f64 v[19:20], -v[15:16], v[17:18], 1.0
	v_fma_f64 v[17:18], v[17:18], v[19:20], v[17:18]
	v_mul_f64 v[19:20], v[21:22], v[17:18]
	v_fma_f64 v[15:16], -v[15:16], v[19:20], v[21:22]
	v_div_fmas_f64 v[15:16], v[15:16], v[17:18], v[19:20]
	v_div_fixup_f64 v[8:9], v[15:16], v[11:12], v[7:8]
                                        ; implicit-def: $vgpr11_vgpr12
.LBB7_1592:
	s_andn2_saveexec_b64 s[0:1], s[6:7]
	s_cbranch_execz .LBB7_1594
; %bb.1593:
	v_mul_f64 v[7:8], v[11:12], v[11:12]
	s_mov_b32 s6, 0x13a86d09
	v_mov_b32_e32 v11, 0x67f544e4
	v_mov_b32_e32 v12, 0xbe5ae645
	s_mov_b32 s7, 0x3de61246
	v_fma_f64 v[11:12], v[7:8], s[6:7], v[11:12]
	s_mov_b32 s6, 0xa556c734
	s_mov_b32 s7, 0x3ec71de3
	v_fma_f64 v[11:12], v[7:8], v[11:12], s[6:7]
	s_mov_b32 s6, 0x1a01a01a
	;; [unrolled: 3-line block ×4, first 2 shown]
	s_mov_b32 s7, 0xbfc55555
	v_fma_f64 v[11:12], v[7:8], v[11:12], s[6:7]
	v_fma_f64 v[8:9], v[7:8], v[11:12], 1.0
.LBB7_1594:
	s_or_b64 exec, exec, s[0:1]
.LBB7_1595:
	s_or_b64 exec, exec, s[4:5]
	v_mov_b32_e32 v7, s11
	v_add_co_u32_e32 v11, vcc, s10, v3
	s_cmp_lt_i32 s17, 11
	v_addc_co_u32_e32 v12, vcc, 0, v7, vcc
	s_cbranch_scc1 .LBB7_1602
; %bb.1596:
	s_and_b32 s14, 0xffff, s17
	s_cmp_gt_i32 s14, 25
	s_mov_b64 s[4:5], 0
	s_cbranch_scc0 .LBB7_1603
; %bb.1597:
	s_cmp_gt_i32 s14, 28
	s_cbranch_scc0 .LBB7_1604
; %bb.1598:
	s_cmp_gt_i32 s14, 43
	;; [unrolled: 3-line block ×3, first 2 shown]
	s_cbranch_scc0 .LBB7_1607
; %bb.1600:
	s_cmp_eq_u32 s14, 46
	s_mov_b64 s[10:11], 0
	s_cbranch_scc0 .LBB7_1608
; %bb.1601:
	global_load_dword v3, v[11:12], off
	s_mov_b64 s[0:1], 0
	s_mov_b64 s[6:7], -1
	s_waitcnt vmcnt(0)
	v_lshlrev_b32_e32 v3, 16, v3
	v_cvt_f64_f32_e32 v[15:16], v3
	s_branch .LBB7_1609
.LBB7_1602:
	s_mov_b64 s[0:1], -1
	s_mov_b64 s[6:7], 0
                                        ; implicit-def: $vgpr15_vgpr16
	s_branch .LBB7_1675
.LBB7_1603:
	s_mov_b64 s[10:11], -1
	s_mov_b64 s[6:7], 0
	s_mov_b64 s[0:1], 0
                                        ; implicit-def: $vgpr15_vgpr16
	s_branch .LBB7_1640
.LBB7_1604:
	s_mov_b64 s[10:11], -1
	s_mov_b64 s[6:7], 0
	s_mov_b64 s[0:1], 0
                                        ; implicit-def: $vgpr15_vgpr16
	s_branch .LBB7_1619
.LBB7_1605:
	s_mov_b64 s[10:11], -1
	s_mov_b64 s[6:7], 0
	s_mov_b64 s[0:1], 0
                                        ; implicit-def: $vgpr15_vgpr16
	s_branch .LBB7_1614
.LBB7_1606:
	s_trap 2
	s_or_b64 s[2:3], s[2:3], exec
	s_cbranch_execz .LBB7_1535
	s_branch .LBB7_1536
.LBB7_1607:
	s_mov_b64 s[10:11], -1
	s_mov_b64 s[6:7], 0
	s_mov_b64 s[0:1], 0
                                        ; implicit-def: $vgpr15_vgpr16
	s_branch .LBB7_1609
.LBB7_1608:
	s_mov_b64 s[0:1], -1
                                        ; implicit-def: $vgpr15_vgpr16
	s_mov_b64 s[6:7], 0
.LBB7_1609:
	s_and_b64 vcc, exec, s[10:11]
	s_cbranch_vccz .LBB7_1613
; %bb.1610:
	s_cmp_eq_u32 s14, 44
	s_cbranch_scc0 .LBB7_1612
; %bb.1611:
	global_load_ubyte v3, v[11:12], off
	s_movk_i32 s6, 0xff
	v_bfrev_b32_e32 v7, 4
	v_mov_b32_e32 v13, 0x7ff80000
	v_bfrev_b32_e32 v17, 28
	s_mov_b64 s[0:1], 0
	s_waitcnt vmcnt(0)
	v_lshlrev_b32_e32 v15, 23, v3
	v_cvt_f64_f32_e32 v[15:16], v15
	v_cmp_ne_u32_e32 vcc, s6, v3
	s_mov_b64 s[6:7], -1
	v_cndmask_b32_e32 v7, v7, v15, vcc
	v_cndmask_b32_e32 v13, v13, v16, vcc
	v_cmp_ne_u32_e32 vcc, 0, v3
	v_cndmask_b32_e32 v16, v17, v13, vcc
	v_cndmask_b32_e32 v15, 0, v7, vcc
	s_branch .LBB7_1613
.LBB7_1612:
	s_mov_b64 s[0:1], -1
                                        ; implicit-def: $vgpr15_vgpr16
.LBB7_1613:
	s_mov_b64 s[10:11], 0
.LBB7_1614:
	s_and_b64 vcc, exec, s[10:11]
	s_cbranch_vccz .LBB7_1618
; %bb.1615:
	s_cmp_eq_u32 s14, 29
	s_cbranch_scc0 .LBB7_1617
; %bb.1616:
	global_load_dwordx2 v[15:16], v[11:12], off
	s_mov_b64 s[0:1], 0
	s_mov_b64 s[6:7], -1
	s_mov_b64 s[10:11], 0
	s_waitcnt vmcnt(0)
	v_cvt_f64_u32_e32 v[16:17], v16
	v_cvt_f64_u32_e32 v[18:19], v15
	v_ldexp_f64 v[16:17], v[16:17], 32
	v_add_f64 v[15:16], v[16:17], v[18:19]
	s_branch .LBB7_1619
.LBB7_1617:
	s_mov_b64 s[0:1], -1
                                        ; implicit-def: $vgpr15_vgpr16
.LBB7_1618:
	s_mov_b64 s[10:11], 0
.LBB7_1619:
	s_and_b64 vcc, exec, s[10:11]
	s_cbranch_vccz .LBB7_1639
; %bb.1620:
	s_cmp_lt_i32 s14, 27
	s_cbranch_scc1 .LBB7_1623
; %bb.1621:
	s_cmp_gt_i32 s14, 27
	s_cbranch_scc0 .LBB7_1624
; %bb.1622:
	global_load_dword v3, v[11:12], off
	s_mov_b64 s[6:7], 0
	s_waitcnt vmcnt(0)
	v_cvt_f64_u32_e32 v[15:16], v3
	s_branch .LBB7_1625
.LBB7_1623:
	s_mov_b64 s[6:7], -1
                                        ; implicit-def: $vgpr15_vgpr16
	s_branch .LBB7_1628
.LBB7_1624:
	s_mov_b64 s[6:7], -1
                                        ; implicit-def: $vgpr15_vgpr16
.LBB7_1625:
	s_andn2_b64 vcc, exec, s[6:7]
	s_cbranch_vccnz .LBB7_1627
; %bb.1626:
	global_load_ushort v3, v[11:12], off
	s_waitcnt vmcnt(0)
	v_cvt_f64_u32_e32 v[15:16], v3
.LBB7_1627:
	s_mov_b64 s[6:7], 0
.LBB7_1628:
	s_andn2_b64 vcc, exec, s[6:7]
	s_cbranch_vccnz .LBB7_1638
; %bb.1629:
	global_load_ubyte v3, v[11:12], off
	s_movk_i32 s6, 0x7f
	s_waitcnt vmcnt(0)
	v_cmp_lt_i16_e32 vcc, s6, v3
	s_mov_b64 s[6:7], 0
	s_and_saveexec_b64 s[10:11], vcc
	s_xor_b64 s[10:11], exec, s[10:11]
	s_cbranch_execz .LBB7_1633
; %bb.1630:
	s_movk_i32 s6, 0x80
	v_cmp_eq_u16_e32 vcc, s6, v3
	s_mov_b64 s[6:7], -1
	s_and_saveexec_b64 s[12:13], vcc
; %bb.1631:
	s_xor_b64 s[6:7], exec, -1
; %bb.1632:
	s_or_b64 exec, exec, s[12:13]
	s_and_b64 s[6:7], s[6:7], exec
.LBB7_1633:
	s_or_saveexec_b64 s[10:11], s[10:11]
	v_bfrev_b32_e32 v15, 4
	v_mov_b32_e32 v16, 0x7ff80000
	s_xor_b64 exec, exec, s[10:11]
; %bb.1634:
	v_cmp_ne_u16_e32 vcc, 0, v3
	v_mov_b32_e32 v15, 0
	s_andn2_b64 s[6:7], s[6:7], exec
	s_and_b64 s[12:13], vcc, exec
	v_mov_b32_e32 v16, 0
	s_or_b64 s[6:7], s[6:7], s[12:13]
; %bb.1635:
	s_or_b64 exec, exec, s[10:11]
	s_and_saveexec_b64 s[10:11], s[6:7]
	s_cbranch_execz .LBB7_1637
; %bb.1636:
	v_lshlrev_b32_e32 v7, 24, v3
	v_and_b32_e32 v3, 0xffff, v3
	v_and_b32_e32 v13, 7, v3
	v_ffbh_u32_e32 v16, v13
	v_min_u32_e32 v16, 32, v16
	v_subrev_u32_e32 v17, 28, v16
	v_bfe_u32 v15, v3, 3, 4
	v_lshlrev_b32_e32 v3, v17, v3
	v_sub_u32_e32 v16, 29, v16
	v_and_b32_e32 v3, 7, v3
	v_cmp_eq_u32_e32 vcc, 0, v15
	v_cndmask_b32_e32 v15, v15, v16, vcc
	v_cndmask_b32_e32 v3, v13, v3, vcc
	v_mov_b32_e32 v13, 0x3b800000
	v_lshlrev_b32_e32 v3, 20, v3
	v_and_b32_e32 v7, 0x80000000, v7
	v_lshl_add_u32 v13, v15, 23, v13
	v_or3_b32 v3, v7, v13, v3
	v_cvt_f64_f32_e32 v[15:16], v3
.LBB7_1637:
	s_or_b64 exec, exec, s[10:11]
.LBB7_1638:
	s_mov_b64 s[6:7], -1
.LBB7_1639:
	s_mov_b64 s[10:11], 0
.LBB7_1640:
	s_and_b64 vcc, exec, s[10:11]
	s_cbranch_vccz .LBB7_1671
; %bb.1641:
	s_cmp_gt_i32 s14, 22
	s_cbranch_scc0 .LBB7_1653
; %bb.1642:
	s_cmp_lt_i32 s14, 24
	s_cbranch_scc1 .LBB7_1654
; %bb.1643:
	s_cmp_gt_i32 s14, 24
	s_cbranch_scc0 .LBB7_1655
; %bb.1644:
	global_load_ubyte v3, v[11:12], off
	s_movk_i32 s4, 0x7f
	s_waitcnt vmcnt(0)
	v_cmp_lt_i16_e32 vcc, s4, v3
	s_mov_b64 s[4:5], 0
	s_and_saveexec_b64 s[6:7], vcc
	s_xor_b64 s[6:7], exec, s[6:7]
	s_cbranch_execz .LBB7_1648
; %bb.1645:
	s_movk_i32 s4, 0x80
	v_cmp_eq_u16_e32 vcc, s4, v3
	s_mov_b64 s[4:5], -1
	s_and_saveexec_b64 s[10:11], vcc
; %bb.1646:
	s_xor_b64 s[4:5], exec, -1
; %bb.1647:
	s_or_b64 exec, exec, s[10:11]
	s_and_b64 s[4:5], s[4:5], exec
.LBB7_1648:
	s_or_saveexec_b64 s[6:7], s[6:7]
	v_bfrev_b32_e32 v15, 4
	v_mov_b32_e32 v16, 0x7ff80000
	s_xor_b64 exec, exec, s[6:7]
; %bb.1649:
	v_cmp_ne_u16_e32 vcc, 0, v3
	v_mov_b32_e32 v15, 0
	s_andn2_b64 s[4:5], s[4:5], exec
	s_and_b64 s[10:11], vcc, exec
	v_mov_b32_e32 v16, 0
	s_or_b64 s[4:5], s[4:5], s[10:11]
; %bb.1650:
	s_or_b64 exec, exec, s[6:7]
	s_and_saveexec_b64 s[6:7], s[4:5]
	s_cbranch_execz .LBB7_1652
; %bb.1651:
	v_lshlrev_b32_e32 v7, 24, v3
	v_and_b32_e32 v3, 0xffff, v3
	v_and_b32_e32 v13, 3, v3
	v_ffbh_u32_e32 v16, v13
	v_min_u32_e32 v16, 32, v16
	v_subrev_u32_e32 v17, 29, v16
	v_bfe_u32 v15, v3, 2, 5
	v_lshlrev_b32_e32 v3, v17, v3
	v_sub_u32_e32 v16, 30, v16
	v_and_b32_e32 v3, 3, v3
	v_cmp_eq_u32_e32 vcc, 0, v15
	v_cndmask_b32_e32 v15, v15, v16, vcc
	v_cndmask_b32_e32 v3, v13, v3, vcc
	v_mov_b32_e32 v13, 0x37800000
	v_lshlrev_b32_e32 v3, 21, v3
	v_and_b32_e32 v7, 0x80000000, v7
	v_lshl_add_u32 v13, v15, 23, v13
	v_or3_b32 v3, v7, v13, v3
	v_cvt_f64_f32_e32 v[15:16], v3
.LBB7_1652:
	s_or_b64 exec, exec, s[6:7]
	s_mov_b64 s[4:5], 0
	s_branch .LBB7_1656
.LBB7_1653:
	s_mov_b64 s[4:5], -1
                                        ; implicit-def: $vgpr15_vgpr16
	s_branch .LBB7_1662
.LBB7_1654:
	s_mov_b64 s[4:5], -1
                                        ; implicit-def: $vgpr15_vgpr16
	s_branch .LBB7_1659
.LBB7_1655:
	s_mov_b64 s[4:5], -1
                                        ; implicit-def: $vgpr15_vgpr16
.LBB7_1656:
	s_and_b64 vcc, exec, s[4:5]
	s_cbranch_vccz .LBB7_1658
; %bb.1657:
	global_load_ubyte v3, v[11:12], off
	s_mov_b32 s4, 0x7f800000
	s_waitcnt vmcnt(0)
	v_lshlrev_b32_e32 v3, 24, v3
	v_and_b32_e32 v7, 0x7f000000, v3
	v_ffbh_u32_e32 v13, v7
	v_min_u32_e32 v13, 32, v13
	v_sub_u32_e64 v13, v13, 4 clamp
	v_lshlrev_b32_e32 v16, v13, v7
	v_lshlrev_b32_e32 v13, 23, v13
	v_lshrrev_b32_e32 v16, 4, v16
	v_add_u32_e32 v15, 0x1000000, v7
	v_sub_u32_e32 v13, v16, v13
	v_ashrrev_i32_e32 v15, 8, v15
	v_add_u32_e32 v13, 0x3c000000, v13
	v_and_or_b32 v13, v15, s4, v13
	v_cmp_ne_u32_e32 vcc, 0, v7
	v_cndmask_b32_e32 v7, 0, v13, vcc
	s_brev_b32 s4, 1
	v_and_or_b32 v3, v3, s4, v7
	v_cvt_f64_f32_e32 v[15:16], v3
.LBB7_1658:
	s_mov_b64 s[4:5], 0
.LBB7_1659:
	s_andn2_b64 vcc, exec, s[4:5]
	s_cbranch_vccnz .LBB7_1661
; %bb.1660:
	global_load_ubyte v3, v[11:12], off
	s_movk_i32 s4, 0x7f00
	s_brev_b32 s5, 16
	s_waitcnt vmcnt(0)
	v_lshlrev_b16_e32 v7, 8, v3
	v_lshlrev_b32_e32 v3, 25, v3
	v_lshrrev_b32_e32 v13, 4, v3
	v_and_or_b32 v15, v7, s4, 0.5
	v_or_b32_e32 v13, 0x70000000, v13
	v_add_f32_e32 v15, -0.5, v15
	v_mul_f32_e32 v13, 0x7800000, v13
	v_cmp_gt_u32_e32 vcc, s5, v3
	v_bfe_i32 v7, v7, 0, 16
	v_cndmask_b32_e32 v3, v13, v15, vcc
	s_brev_b32 s4, 1
	v_and_or_b32 v3, v7, s4, v3
	v_cvt_f64_f32_e32 v[15:16], v3
.LBB7_1661:
	s_mov_b64 s[4:5], 0
	s_mov_b64 s[6:7], -1
.LBB7_1662:
	s_andn2_b64 vcc, exec, s[4:5]
	s_mov_b64 s[4:5], 0
	s_cbranch_vccnz .LBB7_1671
; %bb.1663:
	s_cmp_gt_i32 s14, 14
	s_cbranch_scc0 .LBB7_1666
; %bb.1664:
	s_cmp_eq_u32 s14, 15
	s_cbranch_scc0 .LBB7_1667
; %bb.1665:
	global_load_ushort v3, v[11:12], off
	s_mov_b64 s[0:1], 0
	s_mov_b64 s[6:7], -1
	s_waitcnt vmcnt(0)
	v_lshlrev_b32_e32 v3, 16, v3
	v_cvt_f64_f32_e32 v[15:16], v3
	s_branch .LBB7_1668
.LBB7_1666:
	s_mov_b64 s[10:11], -1
                                        ; implicit-def: $vgpr15_vgpr16
	s_branch .LBB7_1669
.LBB7_1667:
	s_mov_b64 s[0:1], -1
                                        ; implicit-def: $vgpr15_vgpr16
.LBB7_1668:
	s_mov_b64 s[10:11], 0
.LBB7_1669:
	s_and_b64 vcc, exec, s[10:11]
	s_cbranch_vccz .LBB7_1671
; %bb.1670:
	s_cmp_lg_u32 s14, 11
	s_mov_b64 s[4:5], -1
	s_cselect_b64 s[0:1], -1, 0
.LBB7_1671:
	s_and_b64 vcc, exec, s[0:1]
	s_cbranch_vccnz .LBB7_2216
; %bb.1672:
	s_andn2_b64 vcc, exec, s[4:5]
	s_cbranch_vccnz .LBB7_1674
.LBB7_1673:
	global_load_ubyte v3, v[11:12], off
	v_mov_b32_e32 v7, 0x3ff00000
	v_mov_b32_e32 v15, 0
	s_mov_b64 s[6:7], -1
	s_waitcnt vmcnt(0)
	v_cmp_ne_u16_e32 vcc, 0, v3
	v_cndmask_b32_e32 v16, 0, v7, vcc
.LBB7_1674:
	s_mov_b64 s[0:1], 0
.LBB7_1675:
	s_and_b64 vcc, exec, s[0:1]
	s_cbranch_vccz .LBB7_1724
; %bb.1676:
	s_and_b32 s4, 0xffff, s17
	s_cmp_lt_i32 s4, 5
	s_cbranch_scc1 .LBB7_1681
; %bb.1677:
	s_cmp_lt_i32 s4, 8
	s_cbranch_scc1 .LBB7_1682
; %bb.1678:
	;; [unrolled: 3-line block ×3, first 2 shown]
	s_cmp_gt_i32 s4, 9
	s_cbranch_scc0 .LBB7_1684
; %bb.1680:
	global_load_dwordx2 v[15:16], v[11:12], off
	s_mov_b64 s[0:1], 0
	s_branch .LBB7_1685
.LBB7_1681:
	s_mov_b64 s[0:1], -1
                                        ; implicit-def: $vgpr15_vgpr16
	s_branch .LBB7_1703
.LBB7_1682:
	s_mov_b64 s[0:1], -1
                                        ; implicit-def: $vgpr15_vgpr16
	s_branch .LBB7_1691
.LBB7_1683:
	s_mov_b64 s[0:1], -1
                                        ; implicit-def: $vgpr15_vgpr16
	s_branch .LBB7_1688
.LBB7_1684:
	s_mov_b64 s[0:1], -1
                                        ; implicit-def: $vgpr15_vgpr16
.LBB7_1685:
	s_andn2_b64 vcc, exec, s[0:1]
	s_cbranch_vccnz .LBB7_1687
; %bb.1686:
	global_load_dword v3, v[11:12], off
	s_waitcnt vmcnt(0)
	v_cvt_f64_f32_e32 v[15:16], v3
.LBB7_1687:
	s_mov_b64 s[0:1], 0
.LBB7_1688:
	s_andn2_b64 vcc, exec, s[0:1]
	s_cbranch_vccnz .LBB7_1690
; %bb.1689:
	global_load_dword v3, v[11:12], off
	s_waitcnt vmcnt(0)
	v_cvt_f32_f16_e32 v3, v3
	v_cvt_f64_f32_e32 v[15:16], v3
.LBB7_1690:
	s_mov_b64 s[0:1], 0
.LBB7_1691:
	s_andn2_b64 vcc, exec, s[0:1]
	s_cbranch_vccnz .LBB7_1702
; %bb.1692:
	s_cmp_lt_i32 s4, 6
	s_cbranch_scc1 .LBB7_1695
; %bb.1693:
	s_cmp_gt_i32 s4, 6
	s_cbranch_scc0 .LBB7_1696
; %bb.1694:
	global_load_dwordx2 v[15:16], v[11:12], off
	s_mov_b64 s[0:1], 0
	s_branch .LBB7_1697
.LBB7_1695:
	s_mov_b64 s[0:1], -1
                                        ; implicit-def: $vgpr15_vgpr16
	s_branch .LBB7_1700
.LBB7_1696:
	s_mov_b64 s[0:1], -1
                                        ; implicit-def: $vgpr15_vgpr16
.LBB7_1697:
	s_andn2_b64 vcc, exec, s[0:1]
	s_cbranch_vccnz .LBB7_1699
; %bb.1698:
	global_load_dword v3, v[11:12], off
	s_waitcnt vmcnt(0)
	v_cvt_f64_f32_e32 v[15:16], v3
.LBB7_1699:
	s_mov_b64 s[0:1], 0
.LBB7_1700:
	s_andn2_b64 vcc, exec, s[0:1]
	s_cbranch_vccnz .LBB7_1702
; %bb.1701:
	global_load_ushort v3, v[11:12], off
	s_waitcnt vmcnt(0)
	v_cvt_f32_f16_e32 v3, v3
	v_cvt_f64_f32_e32 v[15:16], v3
.LBB7_1702:
	s_mov_b64 s[0:1], 0
.LBB7_1703:
	s_andn2_b64 vcc, exec, s[0:1]
	s_cbranch_vccnz .LBB7_1723
; %bb.1704:
	s_cmp_lt_i32 s4, 2
	s_cbranch_scc1 .LBB7_1708
; %bb.1705:
	s_cmp_lt_i32 s4, 3
	s_cbranch_scc1 .LBB7_1709
; %bb.1706:
	s_cmp_gt_i32 s4, 3
	s_cbranch_scc0 .LBB7_1710
; %bb.1707:
	global_load_dwordx2 v[15:16], v[11:12], off
	s_mov_b64 s[0:1], 0
	s_waitcnt vmcnt(0)
	v_cvt_f64_i32_e32 v[16:17], v16
	v_cvt_f64_u32_e32 v[18:19], v15
	v_ldexp_f64 v[16:17], v[16:17], 32
	v_add_f64 v[15:16], v[16:17], v[18:19]
	s_branch .LBB7_1711
.LBB7_1708:
	s_mov_b64 s[0:1], -1
                                        ; implicit-def: $vgpr15_vgpr16
	s_branch .LBB7_1717
.LBB7_1709:
	s_mov_b64 s[0:1], -1
                                        ; implicit-def: $vgpr15_vgpr16
	s_branch .LBB7_1714
.LBB7_1710:
	s_mov_b64 s[0:1], -1
                                        ; implicit-def: $vgpr15_vgpr16
.LBB7_1711:
	s_andn2_b64 vcc, exec, s[0:1]
	s_cbranch_vccnz .LBB7_1713
; %bb.1712:
	global_load_dword v3, v[11:12], off
	s_waitcnt vmcnt(0)
	v_cvt_f64_i32_e32 v[15:16], v3
.LBB7_1713:
	s_mov_b64 s[0:1], 0
.LBB7_1714:
	s_andn2_b64 vcc, exec, s[0:1]
	s_cbranch_vccnz .LBB7_1716
; %bb.1715:
	global_load_sshort v3, v[11:12], off
	s_waitcnt vmcnt(0)
	v_cvt_f64_i32_e32 v[15:16], v3
.LBB7_1716:
	s_mov_b64 s[0:1], 0
.LBB7_1717:
	s_andn2_b64 vcc, exec, s[0:1]
	s_cbranch_vccnz .LBB7_1723
; %bb.1718:
	s_cmp_gt_i32 s4, 0
	s_cbranch_scc0 .LBB7_1720
; %bb.1719:
	global_load_sbyte v3, v[11:12], off
	s_mov_b64 s[0:1], 0
	s_waitcnt vmcnt(0)
	v_cvt_f64_i32_e32 v[15:16], v3
	s_branch .LBB7_1721
.LBB7_1720:
	s_mov_b64 s[0:1], -1
                                        ; implicit-def: $vgpr15_vgpr16
.LBB7_1721:
	s_andn2_b64 vcc, exec, s[0:1]
	s_cbranch_vccnz .LBB7_1723
; %bb.1722:
	global_load_ubyte v3, v[11:12], off
	s_waitcnt vmcnt(0)
	v_cvt_f64_u32_e32 v[15:16], v3
.LBB7_1723:
	s_mov_b64 s[6:7], -1
.LBB7_1724:
	s_andn2_b64 vcc, exec, s[6:7]
	s_cbranch_vccnz .LBB7_1813
; %bb.1725:
	s_mov_b32 s0, 0
	s_mov_b32 s1, 0x7ff00000
	s_waitcnt vmcnt(0)
	v_cmp_neq_f64_e64 s[0:1], |v[15:16]|, s[0:1]
	v_mov_b32_e32 v12, 0
	v_mov_b32_e32 v13, 0
	s_and_saveexec_b64 s[4:5], s[0:1]
	s_cbranch_execz .LBB7_1735
; %bb.1726:
	v_cmp_nlt_f64_e64 s[0:1], |v[15:16]|, 0.5
                                        ; implicit-def: $vgpr12_vgpr13
	s_and_saveexec_b64 s[6:7], s[0:1]
	s_xor_b64 s[6:7], exec, s[6:7]
	s_cbranch_execz .LBB7_1732
; %bb.1727:
	s_mov_b32 s0, 0
	s_mov_b32 s1, 0x41d00000
	v_cmp_nlt_f64_e64 s[0:1], |v[15:16]|, s[0:1]
                                        ; implicit-def: $vgpr3
                                        ; implicit-def: $vgpr11_vgpr12
                                        ; implicit-def: $vgpr17_vgpr18
	s_and_saveexec_b64 s[10:11], s[0:1]
	s_xor_b64 s[0:1], exec, s[10:11]
	s_cbranch_execz .LBB7_1729
; %bb.1728:
	v_trig_preop_f64 v[11:12], |v[15:16]|, 0
	s_mov_b32 s10, 0
	s_mov_b32 s11, 0x7b000000
	s_movk_i32 s12, 0xff80
	v_ldexp_f64 v[19:20], |v[15:16]|, s12
	v_cmp_ge_f64_e64 vcc, |v[15:16]|, s[10:11]
	v_trig_preop_f64 v[17:18], |v[15:16]|, 1
	v_and_b32_e32 v3, 0x7fffffff, v16
	v_trig_preop_f64 v[27:28], |v[15:16]|, 2
	s_mov_b32 s10, 0
	s_mov_b32 s11, 0x7ff00000
	v_mov_b32_e32 v37, 0
	v_mov_b32_e32 v7, 0x3ff00000
	v_cndmask_b32_e32 v20, v3, v20, vcc
	v_cndmask_b32_e32 v19, v15, v19, vcc
	v_mov_b32_e32 v3, 0x40100000
	v_mul_f64 v[21:22], v[11:12], v[19:20]
	s_mov_b32 s12, 0x33145c07
	s_mov_b32 s13, 0x3c91a626
	v_mul_f64 v[23:24], v[17:18], v[19:20]
	v_mul_f64 v[33:34], v[27:28], v[19:20]
	v_fma_f64 v[11:12], v[11:12], v[19:20], -v[21:22]
	v_fma_f64 v[17:18], v[17:18], v[19:20], -v[23:24]
	;; [unrolled: 1-line block ×3, first 2 shown]
	v_add_f64 v[25:26], v[23:24], v[11:12]
	v_add_f64 v[29:30], v[25:26], -v[23:24]
	v_add_f64 v[35:36], v[21:22], v[25:26]
	v_add_f64 v[31:32], v[25:26], -v[29:30]
	v_add_f64 v[11:12], v[11:12], -v[29:30]
	v_add_f64 v[29:30], v[33:34], v[17:18]
	v_add_f64 v[21:22], v[35:36], -v[21:22]
	v_add_f64 v[23:24], v[23:24], -v[31:32]
	v_ldexp_f64 v[31:32], v[35:36], -2
	v_add_f64 v[39:40], v[29:30], -v[33:34]
	v_add_f64 v[21:22], v[25:26], -v[21:22]
	v_add_f64 v[11:12], v[11:12], v[23:24]
	v_fract_f64_e32 v[23:24], v[31:32]
	v_cmp_neq_f64_e64 vcc, |v[31:32]|, s[10:11]
	v_add_f64 v[17:18], v[17:18], -v[39:40]
	s_mov_b32 s10, 0x54442d18
	s_mov_b32 s11, 0x3ff921fb
	v_add_f64 v[25:26], v[29:30], v[11:12]
	v_ldexp_f64 v[23:24], v[23:24], 2
	v_add_f64 v[31:32], v[21:22], v[25:26]
	v_cndmask_b32_e32 v24, 0, v24, vcc
	v_cndmask_b32_e32 v23, 0, v23, vcc
	v_add_f64 v[41:42], v[25:26], -v[29:30]
	v_add_f64 v[35:36], v[31:32], v[23:24]
	v_add_f64 v[21:22], v[31:32], -v[21:22]
	v_add_f64 v[43:44], v[25:26], -v[41:42]
	;; [unrolled: 1-line block ×3, first 2 shown]
	v_cmp_gt_f64_e32 vcc, 0, v[35:36]
	v_add_f64 v[35:36], v[29:30], -v[39:40]
	v_add_f64 v[21:22], v[25:26], -v[21:22]
	;; [unrolled: 1-line block ×3, first 2 shown]
	v_cndmask_b32_e32 v38, 0, v3, vcc
	v_add_f64 v[23:24], v[23:24], v[37:38]
	v_add_f64 v[35:36], v[33:34], -v[35:36]
	v_add_f64 v[11:12], v[11:12], v[29:30]
	v_add_f64 v[45:46], v[31:32], v[23:24]
	v_add_f64 v[17:18], v[17:18], v[35:36]
	v_cvt_i32_f64_e32 v3, v[45:46]
	v_add_f64 v[11:12], v[17:18], v[11:12]
	v_cvt_f64_i32_e32 v[38:39], v3
	v_add_f64 v[23:24], v[23:24], -v[38:39]
	v_add_f64 v[11:12], v[19:20], v[11:12]
	v_add_f64 v[17:18], v[31:32], v[23:24]
	;; [unrolled: 1-line block ×3, first 2 shown]
	v_add_f64 v[19:20], v[17:18], -v[23:24]
	v_cmp_le_f64_e32 vcc, 0.5, v[17:18]
	v_add_f64 v[19:20], v[31:32], -v[19:20]
	v_cndmask_b32_e32 v38, 0, v7, vcc
	v_add_f64 v[17:18], v[17:18], -v[37:38]
	v_addc_co_u32_e32 v3, vcc, 0, v3, vcc
	v_add_f64 v[11:12], v[11:12], v[19:20]
	v_add_f64 v[19:20], v[17:18], v[11:12]
	v_mul_f64 v[21:22], v[19:20], s[10:11]
	v_add_f64 v[17:18], v[19:20], -v[17:18]
	v_fma_f64 v[23:24], v[19:20], s[10:11], -v[21:22]
	v_add_f64 v[11:12], v[11:12], -v[17:18]
	v_fma_f64 v[17:18], v[19:20], s[12:13], v[23:24]
	v_fma_f64 v[17:18], v[11:12], s[10:11], v[17:18]
	v_add_f64 v[11:12], v[21:22], v[17:18]
	v_add_f64 v[19:20], v[11:12], -v[21:22]
	v_add_f64 v[17:18], v[17:18], -v[19:20]
.LBB7_1729:
	s_andn2_saveexec_b64 s[0:1], s[0:1]
	s_cbranch_execz .LBB7_1731
; %bb.1730:
	s_mov_b32 s10, 0x6dc9c883
	s_mov_b32 s11, 0x3fe45f30
	v_mul_f64 v[11:12], |v[15:16]|, s[10:11]
	s_mov_b32 s10, 0x54442d18
	s_mov_b32 s11, 0xbff921fb
	;; [unrolled: 1-line block ×4, first 2 shown]
	v_rndne_f64_e32 v[19:20], v[11:12]
	v_fma_f64 v[11:12], v[19:20], s[10:11], |v[15:16]|
	v_mul_f64 v[17:18], v[19:20], s[12:13]
	s_mov_b32 s10, 0x252049c0
	s_mov_b32 s11, 0xb97b839a
	v_cvt_i32_f64_e32 v3, v[19:20]
	v_fma_f64 v[25:26], v[19:20], s[12:13], v[11:12]
	v_add_f64 v[21:22], v[11:12], v[17:18]
	s_mov_b32 s13, 0x3c91a626
	v_add_f64 v[23:24], v[11:12], -v[21:22]
	v_add_f64 v[21:22], v[21:22], -v[25:26]
	v_add_f64 v[11:12], v[23:24], v[17:18]
	v_fma_f64 v[17:18], v[19:20], s[12:13], v[17:18]
	v_add_f64 v[11:12], v[21:22], v[11:12]
	v_add_f64 v[11:12], v[11:12], -v[17:18]
	v_fma_f64 v[17:18], v[19:20], s[10:11], v[11:12]
	v_add_f64 v[11:12], v[25:26], v[17:18]
	v_add_f64 v[21:22], v[11:12], -v[25:26]
	v_add_f64 v[17:18], v[17:18], -v[21:22]
.LBB7_1731:
	s_or_b64 exec, exec, s[0:1]
	v_mul_f64 v[19:20], v[11:12], v[11:12]
	s_mov_b32 s0, 0xf9a43bb8
	v_mov_b32_e32 v22, 0xb42fdfa7
	v_mov_b32_e32 v23, 0xbe5ae600
	s_mov_b32 s1, 0x3de5e0b2
	s_mov_b32 s10, 0x796cde01
	v_mov_b32_e32 v21, 0x9037ab78
	s_mov_b32 s11, 0x3ec71de3
	v_fma_f64 v[23:24], v[19:20], s[0:1], v[22:23]
	s_mov_b32 s0, 0x46cc5e42
	v_mov_b32_e32 v22, 0x3e21eeb6
	s_mov_b32 s1, 0xbda907db
	v_fma_f64 v[21:22], v[19:20], s[0:1], v[21:22]
	v_mul_f64 v[25:26], v[19:20], 0.5
	s_mov_b32 s0, 0xa17f65f6
	s_mov_b32 s12, 0x19e83e5c
	v_fma_f64 v[23:24], v[19:20], v[23:24], s[10:11]
	s_mov_b32 s1, 0xbe927e4f
	s_mov_b32 s13, 0xbf2a01a0
	;; [unrolled: 1-line block ×3, first 2 shown]
	v_fma_f64 v[21:22], v[19:20], v[21:22], s[0:1]
	v_add_f64 v[27:28], -v[25:26], 1.0
	s_mov_b32 s0, 0x11110bb3
	s_mov_b32 s11, 0x3efa01a0
	v_fma_f64 v[23:24], v[19:20], v[23:24], s[12:13]
	s_mov_b32 s1, 0x3f811111
	v_mul_f64 v[29:30], v[17:18], 0.5
	v_mul_f64 v[31:32], v[11:12], -v[19:20]
	v_fma_f64 v[21:22], v[19:20], v[21:22], s[10:11]
	v_add_f64 v[33:34], -v[27:28], 1.0
	v_and_b32_e32 v7, 1, v3
	v_lshlrev_b32_e32 v3, 30, v3
	v_fma_f64 v[23:24], v[19:20], v[23:24], s[0:1]
	s_mov_b32 s0, 0x16c16967
	s_mov_b32 s1, 0xbf56c16c
	v_cmp_eq_u32_e32 vcc, 0, v7
	v_fma_f64 v[21:22], v[19:20], v[21:22], s[0:1]
	v_add_f64 v[25:26], v[33:34], -v[25:26]
	s_mov_b32 s1, 0x3fa55555
	s_mov_b32 s0, 0x55555555
	v_fma_f64 v[23:24], v[31:32], v[23:24], v[29:30]
	v_mul_f64 v[29:30], v[19:20], v[19:20]
	v_xor_b32_e32 v3, v3, v16
	v_and_b32_e32 v3, 0x80000000, v3
	v_fma_f64 v[21:22], v[19:20], v[21:22], s[0:1]
	v_fma_f64 v[25:26], v[11:12], -v[17:18], v[25:26]
	s_mov_b32 s1, 0xbfc55555
	v_mov_b32_e32 v13, 0x7ff80000
	v_fma_f64 v[17:18], v[19:20], v[23:24], -v[17:18]
	v_fma_f64 v[19:20], v[29:30], v[21:22], v[25:26]
	v_fma_f64 v[17:18], v[31:32], s[0:1], v[17:18]
	s_movk_i32 s0, 0x1f8
	v_cmp_class_f64_e64 s[0:1], v[15:16], s0
	v_add_f64 v[19:20], v[27:28], v[19:20]
	v_add_f64 v[11:12], v[11:12], -v[17:18]
	v_cndmask_b32_e32 v7, v19, v11, vcc
	v_cndmask_b32_e32 v11, v20, v12, vcc
	v_xor_b32_e32 v3, v11, v3
	v_cndmask_b32_e64 v11, 0, v7, s[0:1]
	v_cndmask_b32_e64 v12, v13, v3, s[0:1]
	v_div_scale_f64 v[17:18], s[0:1], v[15:16], v[15:16], v[11:12]
	v_div_scale_f64 v[23:24], vcc, v[11:12], v[15:16], v[11:12]
	v_rcp_f64_e32 v[19:20], v[17:18]
	v_fma_f64 v[21:22], -v[17:18], v[19:20], 1.0
	v_fma_f64 v[19:20], v[19:20], v[21:22], v[19:20]
	v_fma_f64 v[21:22], -v[17:18], v[19:20], 1.0
	v_fma_f64 v[19:20], v[19:20], v[21:22], v[19:20]
	v_mul_f64 v[21:22], v[23:24], v[19:20]
	v_fma_f64 v[17:18], -v[17:18], v[21:22], v[23:24]
	v_div_fmas_f64 v[17:18], v[17:18], v[19:20], v[21:22]
	v_div_fixup_f64 v[12:13], v[17:18], v[15:16], v[11:12]
                                        ; implicit-def: $vgpr15_vgpr16
.LBB7_1732:
	s_andn2_saveexec_b64 s[0:1], s[6:7]
	s_cbranch_execz .LBB7_1734
; %bb.1733:
	v_mul_f64 v[11:12], v[15:16], v[15:16]
	s_mov_b32 s6, 0x13a86d09
	v_mov_b32_e32 v15, 0x67f544e4
	v_mov_b32_e32 v16, 0xbe5ae645
	s_mov_b32 s7, 0x3de61246
	v_fma_f64 v[15:16], v[11:12], s[6:7], v[15:16]
	s_mov_b32 s6, 0xa556c734
	s_mov_b32 s7, 0x3ec71de3
	v_fma_f64 v[15:16], v[11:12], v[15:16], s[6:7]
	s_mov_b32 s6, 0x1a01a01a
	s_mov_b32 s7, 0xbf2a01a0
	v_fma_f64 v[15:16], v[11:12], v[15:16], s[6:7]
	s_mov_b32 s6, 0x11111111
	s_mov_b32 s7, 0x3f811111
	v_fma_f64 v[15:16], v[11:12], v[15:16], s[6:7]
	s_mov_b32 s6, 0x55555555
	s_mov_b32 s7, 0xbfc55555
	v_fma_f64 v[15:16], v[11:12], v[15:16], s[6:7]
	v_fma_f64 v[12:13], v[11:12], v[15:16], 1.0
.LBB7_1734:
	s_or_b64 exec, exec, s[0:1]
.LBB7_1735:
	s_or_b64 exec, exec, s[4:5]
	s_bfe_u32 s14, s16, 0x80008
	v_mov_b32_e32 v3, s9
	v_add_co_u32_e32 v15, vcc, s8, v2
	s_cmp_lt_i32 s14, 11
	v_addc_co_u32_e32 v16, vcc, 0, v3, vcc
	s_cbranch_scc1 .LBB7_1859
; %bb.1736:
	s_and_b32 s15, 0xffff, s14
	s_mov_b64 s[10:11], -1
	s_mov_b64 s[4:5], 0
	s_cmp_gt_i32 s15, 25
	s_mov_b64 s[6:7], 0
	s_mov_b64 s[0:1], 0
	s_cbranch_scc0 .LBB7_1769
; %bb.1737:
	s_cmp_gt_i32 s15, 28
	s_cbranch_scc0 .LBB7_1752
; %bb.1738:
	s_cmp_gt_i32 s15, 43
	;; [unrolled: 3-line block ×3, first 2 shown]
	s_cbranch_scc0 .LBB7_1742
; %bb.1740:
	s_mov_b64 s[0:1], -1
	s_mov_b64 s[10:11], 0
	s_cmp_eq_u32 s15, 46
	s_cbranch_scc0 .LBB7_1742
; %bb.1741:
	v_cvt_f32_f64_e32 v2, v[0:1]
	s_movk_i32 s0, 0x7fff
	v_mov_b32_e32 v3, 0x7fc0
	s_mov_b64 s[6:7], -1
	v_bfe_u32 v7, v2, 16, 1
	v_cmp_o_f32_e32 vcc, v2, v2
	v_add3_u32 v2, v2, v7, s0
	v_cndmask_b32_sdwa v2, v3, v2, vcc dst_sel:DWORD dst_unused:UNUSED_PAD src0_sel:DWORD src1_sel:WORD_1
	global_store_dword v[15:16], v2, off
	s_mov_b64 s[0:1], 0
.LBB7_1742:
	s_and_b64 vcc, exec, s[10:11]
	s_cbranch_vccz .LBB7_1747
; %bb.1743:
	s_cmp_eq_u32 s15, 44
	s_mov_b64 s[0:1], -1
	s_cbranch_scc0 .LBB7_1747
; %bb.1744:
	v_cvt_f32_f64_e32 v2, v[0:1]
	s_movk_i32 s0, 0xff
	v_mov_b32_e32 v7, 0xff
	v_bfe_u32 v3, v2, 23, 8
	v_cmp_ne_u32_e32 vcc, s0, v3
	s_and_saveexec_b64 s[6:7], vcc
; %bb.1745:
	s_mov_b32 s0, 0x3fffff
	v_lshrrev_b32_e32 v7, 23, v2
	v_and_b32_e32 v11, 0x400000, v2
	v_and_or_b32 v2, v2, s0, v3
	v_cmp_ne_u32_e32 vcc, 0, v11
	v_cmp_ne_u32_e64 s[0:1], 0, v2
	s_and_b64 s[0:1], vcc, s[0:1]
	v_cndmask_b32_e64 v2, 0, 1, s[0:1]
	v_add_u32_e32 v7, v7, v2
; %bb.1746:
	s_or_b64 exec, exec, s[6:7]
	s_mov_b64 s[0:1], 0
	s_mov_b64 s[6:7], -1
	global_store_byte v[15:16], v7, off
.LBB7_1747:
	s_mov_b64 s[10:11], 0
.LBB7_1748:
	s_and_b64 vcc, exec, s[10:11]
	s_cbranch_vccz .LBB7_1751
; %bb.1749:
	s_cmp_eq_u32 s15, 29
	s_mov_b64 s[0:1], -1
	s_cbranch_scc0 .LBB7_1751
; %bb.1750:
	v_trunc_f64_e32 v[2:3], v[0:1]
	s_movk_i32 s0, 0xffe0
	s_mov_b64 s[6:7], -1
	v_ldexp_f64 v[17:18], v[2:3], s0
	s_mov_b32 s0, 0
	s_mov_b32 s1, 0xc1f00000
	v_floor_f64_e32 v[17:18], v[17:18]
	v_fma_f64 v[2:3], v[17:18], s[0:1], v[2:3]
	v_cvt_u32_f64_e32 v18, v[17:18]
	s_mov_b64 s[0:1], 0
	v_cvt_u32_f64_e32 v17, v[2:3]
	global_store_dwordx2 v[15:16], v[17:18], off
.LBB7_1751:
	s_mov_b64 s[10:11], 0
.LBB7_1752:
	s_and_b64 vcc, exec, s[10:11]
	s_cbranch_vccz .LBB7_1768
; %bb.1753:
	s_cmp_lt_i32 s15, 27
	s_mov_b64 s[6:7], -1
	s_cbranch_scc1 .LBB7_1759
; %bb.1754:
	v_cvt_u32_f64_e32 v2, v[0:1]
	s_cmp_gt_i32 s15, 27
	s_cbranch_scc0 .LBB7_1756
; %bb.1755:
	s_mov_b64 s[6:7], 0
	global_store_dword v[15:16], v2, off
.LBB7_1756:
	s_andn2_b64 vcc, exec, s[6:7]
	s_cbranch_vccnz .LBB7_1758
; %bb.1757:
	global_store_short v[15:16], v2, off
.LBB7_1758:
	s_mov_b64 s[6:7], 0
.LBB7_1759:
	s_andn2_b64 vcc, exec, s[6:7]
	s_cbranch_vccnz .LBB7_1767
; %bb.1760:
	v_cvt_f32_f64_e32 v2, v[0:1]
	s_mov_b32 s6, 0x43800000
	v_mov_b32_e32 v7, 0x80
	v_and_b32_e32 v3, 0x7fffffff, v2
	v_cmp_gt_u32_e32 vcc, s6, v3
	s_and_saveexec_b64 s[6:7], vcc
	s_cbranch_execz .LBB7_1766
; %bb.1761:
	s_mov_b32 s10, 0x3bffffff
	v_cmp_lt_u32_e32 vcc, s10, v3
	s_mov_b64 s[10:11], 0
                                        ; implicit-def: $vgpr3
	s_and_saveexec_b64 s[12:13], vcc
	s_xor_b64 s[12:13], exec, s[12:13]
	s_cbranch_execz .LBB7_2217
; %bb.1762:
	v_bfe_u32 v3, v2, 20, 1
	s_mov_b32 s17, 0x487ffff
	v_add3_u32 v3, v2, v3, s17
	s_mov_b64 s[10:11], exec
	v_lshrrev_b32_e32 v3, 20, v3
	s_andn2_saveexec_b64 s[12:13], s[12:13]
	s_cbranch_execnz .LBB7_2218
.LBB7_1763:
	s_or_b64 exec, exec, s[12:13]
	v_mov_b32_e32 v7, 0
	s_and_saveexec_b64 s[12:13], s[10:11]
.LBB7_1764:
	v_lshrrev_b32_e32 v2, 24, v2
	s_movk_i32 s10, 0x80
	v_and_or_b32 v7, v2, s10, v3
.LBB7_1765:
	s_or_b64 exec, exec, s[12:13]
.LBB7_1766:
	s_or_b64 exec, exec, s[6:7]
	global_store_byte v[15:16], v7, off
.LBB7_1767:
	s_mov_b64 s[6:7], -1
.LBB7_1768:
	s_mov_b64 s[10:11], 0
.LBB7_1769:
	s_and_b64 vcc, exec, s[10:11]
	s_cbranch_vccz .LBB7_1809
; %bb.1770:
	s_cmp_gt_i32 s15, 22
	s_mov_b64 s[4:5], -1
	s_cbranch_scc0 .LBB7_1802
; %bb.1771:
	s_cmp_lt_i32 s15, 24
	s_cbranch_scc1 .LBB7_1791
; %bb.1772:
	s_cmp_gt_i32 s15, 24
	s_cbranch_scc0 .LBB7_1780
; %bb.1773:
	v_cvt_f32_f64_e32 v2, v[0:1]
	s_mov_b32 s4, 0x47800000
	v_mov_b32_e32 v7, 0x80
	v_and_b32_e32 v3, 0x7fffffff, v2
	v_cmp_gt_u32_e32 vcc, s4, v3
	s_and_saveexec_b64 s[4:5], vcc
	s_cbranch_execz .LBB7_1779
; %bb.1774:
	s_mov_b32 s6, 0x37ffffff
	v_cmp_lt_u32_e32 vcc, s6, v3
	s_mov_b64 s[6:7], 0
                                        ; implicit-def: $vgpr3
	s_and_saveexec_b64 s[10:11], vcc
	s_xor_b64 s[10:11], exec, s[10:11]
	s_cbranch_execz .LBB7_2220
; %bb.1775:
	v_bfe_u32 v3, v2, 21, 1
	s_mov_b32 s12, 0x88fffff
	v_add3_u32 v3, v2, v3, s12
	s_mov_b64 s[6:7], exec
	v_lshrrev_b32_e32 v3, 21, v3
	s_andn2_saveexec_b64 s[10:11], s[10:11]
	s_cbranch_execnz .LBB7_2221
.LBB7_1776:
	s_or_b64 exec, exec, s[10:11]
	v_mov_b32_e32 v7, 0
	s_and_saveexec_b64 s[10:11], s[6:7]
.LBB7_1777:
	v_lshrrev_b32_e32 v2, 24, v2
	s_movk_i32 s6, 0x80
	v_and_or_b32 v7, v2, s6, v3
.LBB7_1778:
	s_or_b64 exec, exec, s[10:11]
.LBB7_1779:
	s_or_b64 exec, exec, s[4:5]
	s_mov_b64 s[4:5], 0
	global_store_byte v[15:16], v7, off
.LBB7_1780:
	s_and_b64 vcc, exec, s[4:5]
	s_cbranch_vccz .LBB7_1790
; %bb.1781:
	v_cvt_f32_f64_e32 v2, v[0:1]
	s_mov_b32 s4, 0x43f00000
                                        ; implicit-def: $vgpr3
	v_and_b32_e32 v7, 0x7fffffff, v2
	v_cmp_gt_u32_e32 vcc, s4, v7
	s_and_saveexec_b64 s[4:5], vcc
	s_xor_b64 s[4:5], exec, s[4:5]
	s_cbranch_execz .LBB7_1787
; %bb.1782:
	s_mov_b32 s6, 0x3c7fffff
	v_cmp_lt_u32_e32 vcc, s6, v7
                                        ; implicit-def: $vgpr3
	s_and_saveexec_b64 s[6:7], vcc
	s_xor_b64 s[6:7], exec, s[6:7]
; %bb.1783:
	v_bfe_u32 v3, v2, 20, 1
	s_mov_b32 s10, 0x407ffff
	v_add3_u32 v3, v2, v3, s10
	v_lshrrev_b32_e32 v7, 20, v3
	v_and_b32_e32 v3, 0xff00000, v3
	s_mov_b32 s10, 0x7f00000
	v_mov_b32_e32 v11, 0x7e
	v_cmp_ne_u32_e32 vcc, s10, v3
	v_cndmask_b32_e32 v3, v11, v7, vcc
; %bb.1784:
	s_andn2_saveexec_b64 s[6:7], s[6:7]
; %bb.1785:
	s_mov_b32 s10, 0x46800000
	v_add_f32_e64 v3, |v2|, s10
; %bb.1786:
	s_or_b64 exec, exec, s[6:7]
                                        ; implicit-def: $vgpr7
.LBB7_1787:
	s_andn2_saveexec_b64 s[4:5], s[4:5]
; %bb.1788:
	s_mov_b32 s6, 0x7f800000
	v_mov_b32_e32 v3, 0x7e
	v_mov_b32_e32 v11, 0x7f
	v_cmp_lt_u32_e32 vcc, s6, v7
	v_cndmask_b32_e32 v3, v3, v11, vcc
; %bb.1789:
	s_or_b64 exec, exec, s[4:5]
	v_lshrrev_b32_e32 v2, 24, v2
	s_movk_i32 s4, 0x80
	v_and_or_b32 v2, v2, s4, v3
	global_store_byte v[15:16], v2, off
.LBB7_1790:
	s_mov_b64 s[4:5], 0
.LBB7_1791:
	s_andn2_b64 vcc, exec, s[4:5]
	s_cbranch_vccnz .LBB7_1801
; %bb.1792:
	v_cvt_f32_f64_e32 v2, v[0:1]
	s_mov_b32 s4, 0x47800000
                                        ; implicit-def: $vgpr3
	v_and_b32_e32 v7, 0x7fffffff, v2
	v_cmp_gt_u32_e32 vcc, s4, v7
	s_and_saveexec_b64 s[4:5], vcc
	s_xor_b64 s[4:5], exec, s[4:5]
	s_cbranch_execz .LBB7_1798
; %bb.1793:
	s_mov_b32 s6, 0x387fffff
	v_cmp_lt_u32_e32 vcc, s6, v7
                                        ; implicit-def: $vgpr3
	s_and_saveexec_b64 s[6:7], vcc
	s_xor_b64 s[6:7], exec, s[6:7]
; %bb.1794:
	v_bfe_u32 v3, v2, 21, 1
	s_mov_b32 s10, 0x80fffff
	v_add3_u32 v3, v2, v3, s10
	v_lshrrev_b32_e32 v3, 21, v3
; %bb.1795:
	s_andn2_saveexec_b64 s[6:7], s[6:7]
; %bb.1796:
	s_mov_b32 s10, 0x43000000
	v_add_f32_e64 v3, |v2|, s10
; %bb.1797:
	s_or_b64 exec, exec, s[6:7]
                                        ; implicit-def: $vgpr7
.LBB7_1798:
	s_andn2_saveexec_b64 s[4:5], s[4:5]
; %bb.1799:
	s_mov_b32 s6, 0x7f800000
	v_mov_b32_e32 v3, 0x7c
	v_mov_b32_e32 v11, 0x7f
	v_cmp_lt_u32_e32 vcc, s6, v7
	v_cndmask_b32_e32 v3, v3, v11, vcc
; %bb.1800:
	s_or_b64 exec, exec, s[4:5]
	v_lshrrev_b32_e32 v2, 24, v2
	s_movk_i32 s4, 0x80
	v_and_or_b32 v2, v2, s4, v3
	global_store_byte v[15:16], v2, off
.LBB7_1801:
	s_mov_b64 s[4:5], 0
	s_mov_b64 s[6:7], -1
.LBB7_1802:
	s_andn2_b64 vcc, exec, s[4:5]
	s_mov_b64 s[4:5], 0
	s_cbranch_vccnz .LBB7_1809
; %bb.1803:
	s_cmp_gt_i32 s15, 14
	s_mov_b64 s[10:11], -1
	s_cbranch_scc0 .LBB7_1807
; %bb.1804:
	s_cmp_eq_u32 s15, 15
	s_mov_b64 s[0:1], -1
	s_cbranch_scc0 .LBB7_1806
; %bb.1805:
	v_cvt_f32_f64_e32 v2, v[0:1]
	s_movk_i32 s0, 0x7fff
	v_mov_b32_e32 v3, 0x7fc0
	s_mov_b64 s[6:7], -1
	v_bfe_u32 v7, v2, 16, 1
	v_cmp_o_f32_e32 vcc, v2, v2
	v_add3_u32 v2, v2, v7, s0
	v_cndmask_b32_sdwa v2, v3, v2, vcc dst_sel:DWORD dst_unused:UNUSED_PAD src0_sel:DWORD src1_sel:WORD_1
	global_store_short v[15:16], v2, off
	s_mov_b64 s[0:1], 0
.LBB7_1806:
	s_mov_b64 s[10:11], 0
.LBB7_1807:
	s_and_b64 vcc, exec, s[10:11]
	s_cbranch_vccz .LBB7_1809
; %bb.1808:
	s_cmp_lg_u32 s15, 11
	s_mov_b64 s[4:5], -1
	s_cselect_b64 s[0:1], -1, 0
.LBB7_1809:
	s_and_b64 vcc, exec, s[0:1]
	s_cbranch_vccnz .LBB7_2219
; %bb.1810:
	s_andn2_b64 vcc, exec, s[4:5]
	s_cbranch_vccnz .LBB7_1812
.LBB7_1811:
	v_cmp_neq_f64_e32 vcc, 0, v[0:1]
	s_mov_b64 s[6:7], -1
	v_cndmask_b32_e64 v2, 0, 1, vcc
	global_store_byte v[15:16], v2, off
.LBB7_1812:
	s_mov_b64 s[0:1], 0
	s_branch .LBB7_1860
.LBB7_1813:
	s_mov_b64 s[0:1], 0
                                        ; implicit-def: $vgpr0_vgpr1
                                        ; implicit-def: $sgpr14
                                        ; implicit-def: $vgpr12_vgpr13
.LBB7_1814:
	s_mov_b64 s[4:5], 0
.LBB7_1815:
	s_and_b64 s[6:7], s[4:5], exec
	s_andn2_b64 s[4:5], s[28:29], exec
	s_and_b64 s[2:3], s[2:3], exec
	s_and_b64 s[0:1], s[0:1], exec
	s_or_b64 s[28:29], s[4:5], s[2:3]
.LBB7_1816:
	s_or_b64 exec, exec, s[30:31]
	s_and_saveexec_b64 s[2:3], s[28:29]
	s_cbranch_execz .LBB7_1819
; %bb.1817:
	; divergent unreachable
	s_or_b64 exec, exec, s[2:3]
	s_and_saveexec_b64 s[2:3], s[6:7]
	s_xor_b64 s[2:3], exec, s[2:3]
	s_cbranch_execnz .LBB7_1820
.LBB7_1818:
	s_or_b64 exec, exec, s[2:3]
	s_and_saveexec_b64 s[2:3], s[0:1]
	s_cbranch_execnz .LBB7_1821
	s_branch .LBB7_1858
.LBB7_1819:
	s_or_b64 exec, exec, s[2:3]
	s_and_saveexec_b64 s[2:3], s[6:7]
	s_xor_b64 s[2:3], exec, s[2:3]
	s_cbranch_execz .LBB7_1818
.LBB7_1820:
	s_waitcnt vmcnt(0)
	v_cmp_neq_f64_e32 vcc, 0, v[12:13]
	v_cndmask_b32_e64 v2, 0, 1, vcc
	global_store_byte v[0:1], v2, off
	s_or_b64 exec, exec, s[2:3]
	s_and_saveexec_b64 s[2:3], s[0:1]
	s_cbranch_execz .LBB7_1858
.LBB7_1821:
	s_sext_i32_i16 s2, s14
	s_cmp_lt_i32 s2, 5
	s_mov_b64 s[0:1], -1
	s_cbranch_scc1 .LBB7_1842
; %bb.1822:
	s_cmp_lt_i32 s2, 8
	s_cbranch_scc1 .LBB7_1832
; %bb.1823:
	s_cmp_lt_i32 s2, 9
	s_cbranch_scc1 .LBB7_1829
; %bb.1824:
	s_cmp_gt_i32 s2, 9
	s_cbranch_scc0 .LBB7_1826
; %bb.1825:
	v_mov_b32_e32 v14, 0
	s_waitcnt vmcnt(0)
	v_mov_b32_e32 v15, v14
	global_store_dwordx4 v[0:1], v[12:15], off
	s_mov_b64 s[0:1], 0
.LBB7_1826:
	s_andn2_b64 vcc, exec, s[0:1]
	s_cbranch_vccnz .LBB7_1828
; %bb.1827:
	s_waitcnt vmcnt(0)
	v_cvt_f32_f64_e32 v2, v[12:13]
	v_mov_b32_e32 v3, 0
	global_store_dwordx2 v[0:1], v[2:3], off
.LBB7_1828:
	s_mov_b64 s[0:1], 0
.LBB7_1829:
	s_andn2_b64 vcc, exec, s[0:1]
	s_cbranch_vccnz .LBB7_1831
; %bb.1830:
	s_movk_i32 s0, 0x1ff
	s_waitcnt vmcnt(0)
	v_and_or_b32 v2, v13, s0, v12
	v_cmp_ne_u32_e32 vcc, 0, v2
	v_cndmask_b32_e64 v2, 0, 1, vcc
	v_lshrrev_b32_e32 v3, 8, v13
	s_movk_i32 s0, 0xffe
	v_bfe_u32 v4, v13, 20, 11
	v_and_or_b32 v2, v3, s0, v2
	v_sub_u32_e32 v5, 0x3f1, v4
	v_or_b32_e32 v3, 0x1000, v2
	v_med3_i32 v5, v5, 0, 13
	v_lshrrev_b32_e32 v6, v5, v3
	v_lshlrev_b32_e32 v5, v5, v6
	v_cmp_ne_u32_e32 vcc, v5, v3
	v_cndmask_b32_e64 v3, 0, 1, vcc
	v_add_u32_e32 v4, 0xfffffc10, v4
	v_or_b32_e32 v3, v6, v3
	v_lshl_or_b32 v5, v4, 12, v2
	v_cmp_gt_i32_e32 vcc, 1, v4
	v_cndmask_b32_e32 v3, v5, v3, vcc
	v_and_b32_e32 v5, 7, v3
	v_cmp_lt_i32_e32 vcc, 5, v5
	v_cndmask_b32_e64 v6, 0, 1, vcc
	v_cmp_eq_u32_e32 vcc, 3, v5
	v_cndmask_b32_e64 v5, 0, 1, vcc
	v_or_b32_e32 v5, v5, v6
	v_lshrrev_b32_e32 v3, 2, v3
	v_add_u32_e32 v3, v3, v5
	v_mov_b32_e32 v5, 0x7c00
	v_cmp_gt_i32_e32 vcc, 31, v4
	v_cndmask_b32_e32 v3, v5, v3, vcc
	v_mov_b32_e32 v6, 0x7e00
	v_cmp_ne_u32_e32 vcc, 0, v2
	s_movk_i32 s0, 0x40f
	v_cndmask_b32_e32 v2, v5, v6, vcc
	v_cmp_eq_u32_e32 vcc, s0, v4
	v_cndmask_b32_e32 v2, v3, v2, vcc
	v_lshrrev_b32_e32 v3, 16, v13
	s_mov_b32 s0, 0x8000
	v_and_or_b32 v2, v3, s0, v2
	v_and_b32_e32 v2, 0xffff, v2
	global_store_dword v[0:1], v2, off
.LBB7_1831:
	s_mov_b64 s[0:1], 0
.LBB7_1832:
	s_andn2_b64 vcc, exec, s[0:1]
	s_cbranch_vccnz .LBB7_1841
; %bb.1833:
	s_sext_i32_i16 s2, s14
	s_cmp_lt_i32 s2, 6
	s_mov_b64 s[0:1], -1
	s_cbranch_scc1 .LBB7_1839
; %bb.1834:
	s_cmp_gt_i32 s2, 6
	s_cbranch_scc0 .LBB7_1836
; %bb.1835:
	s_waitcnt vmcnt(0)
	global_store_dwordx2 v[0:1], v[12:13], off
	s_mov_b64 s[0:1], 0
.LBB7_1836:
	s_andn2_b64 vcc, exec, s[0:1]
	s_cbranch_vccnz .LBB7_1838
; %bb.1837:
	s_waitcnt vmcnt(0)
	v_cvt_f32_f64_e32 v2, v[12:13]
	global_store_dword v[0:1], v2, off
.LBB7_1838:
	s_mov_b64 s[0:1], 0
.LBB7_1839:
	s_andn2_b64 vcc, exec, s[0:1]
	s_cbranch_vccnz .LBB7_1841
; %bb.1840:
	s_movk_i32 s0, 0x1ff
	s_waitcnt vmcnt(0)
	v_and_or_b32 v2, v13, s0, v12
	v_cmp_ne_u32_e32 vcc, 0, v2
	v_cndmask_b32_e64 v2, 0, 1, vcc
	v_lshrrev_b32_e32 v3, 8, v13
	s_movk_i32 s0, 0xffe
	v_bfe_u32 v4, v13, 20, 11
	v_and_or_b32 v2, v3, s0, v2
	v_sub_u32_e32 v5, 0x3f1, v4
	v_or_b32_e32 v3, 0x1000, v2
	v_med3_i32 v5, v5, 0, 13
	v_lshrrev_b32_e32 v6, v5, v3
	v_lshlrev_b32_e32 v5, v5, v6
	v_cmp_ne_u32_e32 vcc, v5, v3
	v_cndmask_b32_e64 v3, 0, 1, vcc
	v_add_u32_e32 v4, 0xfffffc10, v4
	v_or_b32_e32 v3, v6, v3
	v_lshl_or_b32 v5, v4, 12, v2
	v_cmp_gt_i32_e32 vcc, 1, v4
	v_cndmask_b32_e32 v3, v5, v3, vcc
	v_and_b32_e32 v5, 7, v3
	v_cmp_lt_i32_e32 vcc, 5, v5
	v_cndmask_b32_e64 v6, 0, 1, vcc
	v_cmp_eq_u32_e32 vcc, 3, v5
	v_cndmask_b32_e64 v5, 0, 1, vcc
	v_or_b32_e32 v5, v5, v6
	v_lshrrev_b32_e32 v3, 2, v3
	v_add_u32_e32 v3, v3, v5
	v_mov_b32_e32 v5, 0x7c00
	v_cmp_gt_i32_e32 vcc, 31, v4
	v_cndmask_b32_e32 v3, v5, v3, vcc
	v_mov_b32_e32 v6, 0x7e00
	v_cmp_ne_u32_e32 vcc, 0, v2
	s_movk_i32 s0, 0x40f
	v_cndmask_b32_e32 v2, v5, v6, vcc
	v_cmp_eq_u32_e32 vcc, s0, v4
	v_cndmask_b32_e32 v2, v3, v2, vcc
	v_lshrrev_b32_e32 v3, 16, v13
	s_mov_b32 s0, 0x8000
	v_and_or_b32 v2, v3, s0, v2
	global_store_short v[0:1], v2, off
.LBB7_1841:
	s_mov_b64 s[0:1], 0
.LBB7_1842:
	s_andn2_b64 vcc, exec, s[0:1]
	s_cbranch_vccnz .LBB7_1858
; %bb.1843:
	s_sext_i32_i16 s2, s14
	s_cmp_lt_i32 s2, 2
	s_mov_b64 s[0:1], -1
	s_cbranch_scc1 .LBB7_1853
; %bb.1844:
	s_cmp_lt_i32 s2, 3
	s_cbranch_scc1 .LBB7_1850
; %bb.1845:
	s_cmp_gt_i32 s2, 3
	s_cbranch_scc0 .LBB7_1847
; %bb.1846:
	s_waitcnt vmcnt(0)
	v_trunc_f64_e32 v[2:3], v[12:13]
	s_movk_i32 s0, 0xffe0
	v_ldexp_f64 v[4:5], v[2:3], s0
	s_mov_b32 s0, 0
	s_mov_b32 s1, 0xc1f00000
	v_floor_f64_e32 v[4:5], v[4:5]
	v_fma_f64 v[2:3], v[4:5], s[0:1], v[2:3]
	v_cvt_i32_f64_e32 v4, v[4:5]
	s_mov_b64 s[0:1], 0
	v_cvt_u32_f64_e32 v3, v[2:3]
	global_store_dwordx2 v[0:1], v[3:4], off
.LBB7_1847:
	s_andn2_b64 vcc, exec, s[0:1]
	s_cbranch_vccnz .LBB7_1849
; %bb.1848:
	s_waitcnt vmcnt(0)
	v_cvt_i32_f64_e32 v2, v[12:13]
	global_store_dword v[0:1], v2, off
.LBB7_1849:
	s_mov_b64 s[0:1], 0
.LBB7_1850:
	s_andn2_b64 vcc, exec, s[0:1]
	s_cbranch_vccnz .LBB7_1852
; %bb.1851:
	s_waitcnt vmcnt(0)
	v_cvt_i32_f64_e32 v2, v[12:13]
	global_store_short v[0:1], v2, off
.LBB7_1852:
	s_mov_b64 s[0:1], 0
.LBB7_1853:
	s_andn2_b64 vcc, exec, s[0:1]
	s_cbranch_vccnz .LBB7_1858
; %bb.1854:
	s_sext_i32_i16 s0, s14
	s_cmp_gt_i32 s0, 0
	s_mov_b64 s[0:1], -1
	s_cbranch_scc0 .LBB7_1856
; %bb.1855:
	s_waitcnt vmcnt(0)
	v_cvt_i32_f64_e32 v2, v[12:13]
	s_mov_b64 s[0:1], 0
	global_store_byte v[0:1], v2, off
.LBB7_1856:
	s_andn2_b64 vcc, exec, s[0:1]
	s_cbranch_vccnz .LBB7_1858
; %bb.1857:
	s_waitcnt vmcnt(0)
	v_trunc_f64_e32 v[2:3], v[12:13]
	s_movk_i32 s0, 0xffe0
	v_ldexp_f64 v[4:5], v[2:3], s0
	s_mov_b32 s0, 0
	s_mov_b32 s1, 0xc1f00000
	v_floor_f64_e32 v[4:5], v[4:5]
	v_fma_f64 v[2:3], v[4:5], s[0:1], v[2:3]
	v_cvt_u32_f64_e32 v2, v[2:3]
	global_store_byte v[0:1], v2, off
	s_endpgm
.LBB7_1858:
	s_endpgm
.LBB7_1859:
	s_mov_b64 s[0:1], -1
	s_mov_b64 s[6:7], 0
.LBB7_1860:
	s_and_b64 vcc, exec, s[0:1]
	s_cbranch_vccz .LBB7_1899
; %bb.1861:
	s_and_b32 s4, 0xffff, s14
	s_cmp_lt_i32 s4, 5
	s_mov_b64 s[0:1], -1
	s_cbranch_scc1 .LBB7_1882
; %bb.1862:
	s_cmp_lt_i32 s4, 8
	s_cbranch_scc1 .LBB7_1872
; %bb.1863:
	s_cmp_lt_i32 s4, 9
	s_cbranch_scc1 .LBB7_1869
; %bb.1864:
	s_cmp_gt_i32 s4, 9
	s_cbranch_scc0 .LBB7_1866
; %bb.1865:
	v_mov_b32_e32 v2, 0
	v_mov_b32_e32 v3, v2
	global_store_dwordx4 v[15:16], v[0:3], off
	s_mov_b64 s[0:1], 0
.LBB7_1866:
	s_andn2_b64 vcc, exec, s[0:1]
	s_cbranch_vccnz .LBB7_1868
; %bb.1867:
	v_cvt_f32_f64_e32 v2, v[0:1]
	v_mov_b32_e32 v3, 0
	global_store_dwordx2 v[15:16], v[2:3], off
.LBB7_1868:
	s_mov_b64 s[0:1], 0
.LBB7_1869:
	s_andn2_b64 vcc, exec, s[0:1]
	s_cbranch_vccnz .LBB7_1871
; %bb.1870:
	s_movk_i32 s0, 0x1ff
	v_and_or_b32 v2, v1, s0, v0
	v_cmp_ne_u32_e32 vcc, 0, v2
	v_cndmask_b32_e64 v2, 0, 1, vcc
	v_lshrrev_b32_e32 v3, 8, v1
	s_movk_i32 s0, 0xffe
	v_bfe_u32 v7, v1, 20, 11
	v_and_or_b32 v2, v3, s0, v2
	v_sub_u32_e32 v11, 0x3f1, v7
	v_or_b32_e32 v3, 0x1000, v2
	v_med3_i32 v11, v11, 0, 13
	v_lshrrev_b32_e32 v17, v11, v3
	v_lshlrev_b32_e32 v11, v11, v17
	v_cmp_ne_u32_e32 vcc, v11, v3
	v_cndmask_b32_e64 v3, 0, 1, vcc
	v_add_u32_e32 v7, 0xfffffc10, v7
	v_or_b32_e32 v3, v17, v3
	v_lshl_or_b32 v11, v7, 12, v2
	v_cmp_gt_i32_e32 vcc, 1, v7
	v_cndmask_b32_e32 v3, v11, v3, vcc
	v_and_b32_e32 v11, 7, v3
	v_cmp_lt_i32_e32 vcc, 5, v11
	v_cndmask_b32_e64 v17, 0, 1, vcc
	v_cmp_eq_u32_e32 vcc, 3, v11
	v_cndmask_b32_e64 v11, 0, 1, vcc
	v_or_b32_e32 v11, v11, v17
	v_lshrrev_b32_e32 v3, 2, v3
	v_add_u32_e32 v3, v3, v11
	v_mov_b32_e32 v11, 0x7c00
	v_cmp_gt_i32_e32 vcc, 31, v7
	v_cndmask_b32_e32 v3, v11, v3, vcc
	v_mov_b32_e32 v17, 0x7e00
	v_cmp_ne_u32_e32 vcc, 0, v2
	s_movk_i32 s0, 0x40f
	v_cndmask_b32_e32 v2, v11, v17, vcc
	v_cmp_eq_u32_e32 vcc, s0, v7
	v_cndmask_b32_e32 v2, v3, v2, vcc
	v_lshrrev_b32_e32 v3, 16, v1
	s_mov_b32 s0, 0x8000
	v_and_or_b32 v2, v3, s0, v2
	v_and_b32_e32 v2, 0xffff, v2
	global_store_dword v[15:16], v2, off
.LBB7_1871:
	s_mov_b64 s[0:1], 0
.LBB7_1872:
	s_andn2_b64 vcc, exec, s[0:1]
	s_cbranch_vccnz .LBB7_1881
; %bb.1873:
	s_cmp_lt_i32 s4, 6
	s_mov_b64 s[0:1], -1
	s_cbranch_scc1 .LBB7_1879
; %bb.1874:
	s_cmp_gt_i32 s4, 6
	s_cbranch_scc0 .LBB7_1876
; %bb.1875:
	global_store_dwordx2 v[15:16], v[0:1], off
	s_mov_b64 s[0:1], 0
.LBB7_1876:
	s_andn2_b64 vcc, exec, s[0:1]
	s_cbranch_vccnz .LBB7_1878
; %bb.1877:
	v_cvt_f32_f64_e32 v2, v[0:1]
	global_store_dword v[15:16], v2, off
.LBB7_1878:
	s_mov_b64 s[0:1], 0
.LBB7_1879:
	s_andn2_b64 vcc, exec, s[0:1]
	s_cbranch_vccnz .LBB7_1881
; %bb.1880:
	s_movk_i32 s0, 0x1ff
	v_and_or_b32 v2, v1, s0, v0
	v_cmp_ne_u32_e32 vcc, 0, v2
	v_cndmask_b32_e64 v2, 0, 1, vcc
	v_lshrrev_b32_e32 v3, 8, v1
	s_movk_i32 s0, 0xffe
	v_bfe_u32 v7, v1, 20, 11
	v_and_or_b32 v2, v3, s0, v2
	v_sub_u32_e32 v11, 0x3f1, v7
	v_or_b32_e32 v3, 0x1000, v2
	v_med3_i32 v11, v11, 0, 13
	v_lshrrev_b32_e32 v17, v11, v3
	v_lshlrev_b32_e32 v11, v11, v17
	v_cmp_ne_u32_e32 vcc, v11, v3
	v_cndmask_b32_e64 v3, 0, 1, vcc
	v_add_u32_e32 v7, 0xfffffc10, v7
	v_or_b32_e32 v3, v17, v3
	v_lshl_or_b32 v11, v7, 12, v2
	v_cmp_gt_i32_e32 vcc, 1, v7
	v_cndmask_b32_e32 v3, v11, v3, vcc
	v_and_b32_e32 v11, 7, v3
	v_cmp_lt_i32_e32 vcc, 5, v11
	v_cndmask_b32_e64 v17, 0, 1, vcc
	v_cmp_eq_u32_e32 vcc, 3, v11
	v_cndmask_b32_e64 v11, 0, 1, vcc
	v_or_b32_e32 v11, v11, v17
	v_lshrrev_b32_e32 v3, 2, v3
	v_add_u32_e32 v3, v3, v11
	v_mov_b32_e32 v11, 0x7c00
	v_cmp_gt_i32_e32 vcc, 31, v7
	v_cndmask_b32_e32 v3, v11, v3, vcc
	v_mov_b32_e32 v17, 0x7e00
	v_cmp_ne_u32_e32 vcc, 0, v2
	s_movk_i32 s0, 0x40f
	v_cndmask_b32_e32 v2, v11, v17, vcc
	v_cmp_eq_u32_e32 vcc, s0, v7
	v_cndmask_b32_e32 v2, v3, v2, vcc
	v_lshrrev_b32_e32 v3, 16, v1
	s_mov_b32 s0, 0x8000
	v_and_or_b32 v2, v3, s0, v2
	global_store_short v[15:16], v2, off
.LBB7_1881:
	s_mov_b64 s[0:1], 0
.LBB7_1882:
	s_andn2_b64 vcc, exec, s[0:1]
	s_cbranch_vccnz .LBB7_1898
; %bb.1883:
	s_cmp_lt_i32 s4, 2
	s_mov_b64 s[0:1], -1
	s_cbranch_scc1 .LBB7_1893
; %bb.1884:
	s_cmp_lt_i32 s4, 3
	s_cbranch_scc1 .LBB7_1890
; %bb.1885:
	s_cmp_gt_i32 s4, 3
	s_cbranch_scc0 .LBB7_1887
; %bb.1886:
	v_trunc_f64_e32 v[2:3], v[0:1]
	s_movk_i32 s0, 0xffe0
	v_ldexp_f64 v[17:18], v[2:3], s0
	s_mov_b32 s0, 0
	s_mov_b32 s1, 0xc1f00000
	v_floor_f64_e32 v[17:18], v[17:18]
	v_fma_f64 v[2:3], v[17:18], s[0:1], v[2:3]
	v_cvt_i32_f64_e32 v18, v[17:18]
	s_mov_b64 s[0:1], 0
	v_cvt_u32_f64_e32 v17, v[2:3]
	global_store_dwordx2 v[15:16], v[17:18], off
.LBB7_1887:
	s_andn2_b64 vcc, exec, s[0:1]
	s_cbranch_vccnz .LBB7_1889
; %bb.1888:
	v_cvt_i32_f64_e32 v2, v[0:1]
	global_store_dword v[15:16], v2, off
.LBB7_1889:
	s_mov_b64 s[0:1], 0
.LBB7_1890:
	s_andn2_b64 vcc, exec, s[0:1]
	s_cbranch_vccnz .LBB7_1892
; %bb.1891:
	v_cvt_i32_f64_e32 v2, v[0:1]
	global_store_short v[15:16], v2, off
.LBB7_1892:
	s_mov_b64 s[0:1], 0
.LBB7_1893:
	s_andn2_b64 vcc, exec, s[0:1]
	s_cbranch_vccnz .LBB7_1898
; %bb.1894:
	s_cmp_gt_i32 s4, 0
	s_mov_b64 s[0:1], -1
	s_cbranch_scc0 .LBB7_1896
; %bb.1895:
	v_cvt_i32_f64_e32 v2, v[0:1]
	s_mov_b64 s[0:1], 0
	global_store_byte v[15:16], v2, off
.LBB7_1896:
	s_andn2_b64 vcc, exec, s[0:1]
	s_cbranch_vccnz .LBB7_1898
; %bb.1897:
	v_trunc_f64_e32 v[0:1], v[0:1]
	s_movk_i32 s0, 0xffe0
	v_ldexp_f64 v[2:3], v[0:1], s0
	s_mov_b32 s0, 0
	s_mov_b32 s1, 0xc1f00000
	v_floor_f64_e32 v[2:3], v[2:3]
	v_fma_f64 v[0:1], v[2:3], s[0:1], v[0:1]
	v_cvt_u32_f64_e32 v0, v[0:1]
	global_store_byte v[15:16], v0, off
.LBB7_1898:
	s_mov_b64 s[6:7], -1
.LBB7_1899:
	s_andn2_b64 vcc, exec, s[6:7]
	s_cbranch_vccnz .LBB7_2214
; %bb.1900:
	s_lshr_b32 s0, s16, 8
	s_and_b32 s14, s0, 0xff
	v_mov_b32_e32 v1, s9
	v_add_co_u32_e32 v0, vcc, s8, v6
	s_cmp_lt_i32 s14, 11
	v_addc_co_u32_e32 v1, vcc, 0, v1, vcc
	s_cbranch_scc1 .LBB7_1978
; %bb.1901:
	s_and_b32 s15, 0xffff, s14
	s_mov_b64 s[10:11], -1
	s_mov_b64 s[4:5], 0
	s_cmp_gt_i32 s15, 25
	s_mov_b64 s[6:7], 0
	s_mov_b64 s[0:1], 0
	s_cbranch_scc0 .LBB7_1934
; %bb.1902:
	s_cmp_gt_i32 s15, 28
	s_cbranch_scc0 .LBB7_1917
; %bb.1903:
	s_cmp_gt_i32 s15, 43
	;; [unrolled: 3-line block ×3, first 2 shown]
	s_cbranch_scc0 .LBB7_1907
; %bb.1905:
	s_mov_b64 s[0:1], -1
	s_mov_b64 s[10:11], 0
	s_cmp_eq_u32 s15, 46
	s_cbranch_scc0 .LBB7_1907
; %bb.1906:
	v_cvt_f32_f64_e32 v2, v[4:5]
	s_movk_i32 s0, 0x7fff
	v_mov_b32_e32 v3, 0x7fc0
	s_mov_b64 s[6:7], -1
	v_bfe_u32 v6, v2, 16, 1
	v_cmp_o_f32_e32 vcc, v2, v2
	v_add3_u32 v2, v2, v6, s0
	v_cndmask_b32_sdwa v2, v3, v2, vcc dst_sel:DWORD dst_unused:UNUSED_PAD src0_sel:DWORD src1_sel:WORD_1
	global_store_dword v[0:1], v2, off
	s_mov_b64 s[0:1], 0
.LBB7_1907:
	s_and_b64 vcc, exec, s[10:11]
	s_cbranch_vccz .LBB7_1912
; %bb.1908:
	s_cmp_eq_u32 s15, 44
	s_mov_b64 s[0:1], -1
	s_cbranch_scc0 .LBB7_1912
; %bb.1909:
	v_cvt_f32_f64_e32 v2, v[4:5]
	s_movk_i32 s0, 0xff
	v_mov_b32_e32 v6, 0xff
	v_bfe_u32 v3, v2, 23, 8
	v_cmp_ne_u32_e32 vcc, s0, v3
	s_and_saveexec_b64 s[6:7], vcc
; %bb.1910:
	s_mov_b32 s0, 0x3fffff
	v_lshrrev_b32_e32 v6, 23, v2
	v_and_b32_e32 v7, 0x400000, v2
	v_and_or_b32 v2, v2, s0, v3
	v_cmp_ne_u32_e32 vcc, 0, v7
	v_cmp_ne_u32_e64 s[0:1], 0, v2
	s_and_b64 s[0:1], vcc, s[0:1]
	v_cndmask_b32_e64 v2, 0, 1, s[0:1]
	v_add_u32_e32 v6, v6, v2
; %bb.1911:
	s_or_b64 exec, exec, s[6:7]
	s_mov_b64 s[0:1], 0
	s_mov_b64 s[6:7], -1
	global_store_byte v[0:1], v6, off
.LBB7_1912:
	s_mov_b64 s[10:11], 0
.LBB7_1913:
	s_and_b64 vcc, exec, s[10:11]
	s_cbranch_vccz .LBB7_1916
; %bb.1914:
	s_cmp_eq_u32 s15, 29
	s_mov_b64 s[0:1], -1
	s_cbranch_scc0 .LBB7_1916
; %bb.1915:
	v_trunc_f64_e32 v[2:3], v[4:5]
	s_movk_i32 s0, 0xffe0
	s_mov_b64 s[6:7], -1
	v_ldexp_f64 v[6:7], v[2:3], s0
	s_mov_b32 s0, 0
	s_mov_b32 s1, 0xc1f00000
	v_floor_f64_e32 v[6:7], v[6:7]
	v_fma_f64 v[2:3], v[6:7], s[0:1], v[2:3]
	v_cvt_u32_f64_e32 v7, v[6:7]
	s_mov_b64 s[0:1], 0
	v_cvt_u32_f64_e32 v6, v[2:3]
	global_store_dwordx2 v[0:1], v[6:7], off
.LBB7_1916:
	s_mov_b64 s[10:11], 0
.LBB7_1917:
	s_and_b64 vcc, exec, s[10:11]
	s_cbranch_vccz .LBB7_1933
; %bb.1918:
	s_cmp_lt_i32 s15, 27
	s_mov_b64 s[6:7], -1
	s_cbranch_scc1 .LBB7_1924
; %bb.1919:
	s_cmp_gt_i32 s15, 27
	s_cbranch_scc0 .LBB7_1921
; %bb.1920:
	v_cvt_u32_f64_e32 v2, v[4:5]
	s_mov_b64 s[6:7], 0
	global_store_dword v[0:1], v2, off
.LBB7_1921:
	s_andn2_b64 vcc, exec, s[6:7]
	s_cbranch_vccnz .LBB7_1923
; %bb.1922:
	v_cvt_u32_f64_e32 v2, v[4:5]
	global_store_short v[0:1], v2, off
.LBB7_1923:
	s_mov_b64 s[6:7], 0
.LBB7_1924:
	s_andn2_b64 vcc, exec, s[6:7]
	s_cbranch_vccnz .LBB7_1932
; %bb.1925:
	v_cvt_f32_f64_e32 v2, v[4:5]
	s_mov_b32 s6, 0x43800000
	v_mov_b32_e32 v6, 0x80
	v_and_b32_e32 v3, 0x7fffffff, v2
	v_cmp_gt_u32_e32 vcc, s6, v3
	s_and_saveexec_b64 s[6:7], vcc
	s_cbranch_execz .LBB7_1931
; %bb.1926:
	s_mov_b32 s10, 0x3bffffff
	v_cmp_lt_u32_e32 vcc, s10, v3
	s_mov_b64 s[10:11], 0
                                        ; implicit-def: $vgpr3
	s_and_saveexec_b64 s[12:13], vcc
	s_xor_b64 s[12:13], exec, s[12:13]
	s_cbranch_execz .LBB7_2222
; %bb.1927:
	v_bfe_u32 v3, v2, 20, 1
	s_mov_b32 s16, 0x487ffff
	v_add3_u32 v3, v2, v3, s16
	s_mov_b64 s[10:11], exec
	v_lshrrev_b32_e32 v3, 20, v3
	s_andn2_saveexec_b64 s[12:13], s[12:13]
	s_cbranch_execnz .LBB7_2223
.LBB7_1928:
	s_or_b64 exec, exec, s[12:13]
	v_mov_b32_e32 v6, 0
	s_and_saveexec_b64 s[12:13], s[10:11]
.LBB7_1929:
	v_lshrrev_b32_e32 v2, 24, v2
	s_movk_i32 s10, 0x80
	v_and_or_b32 v6, v2, s10, v3
.LBB7_1930:
	s_or_b64 exec, exec, s[12:13]
.LBB7_1931:
	s_or_b64 exec, exec, s[6:7]
	global_store_byte v[0:1], v6, off
.LBB7_1932:
	s_mov_b64 s[6:7], -1
.LBB7_1933:
	s_mov_b64 s[10:11], 0
.LBB7_1934:
	s_and_b64 vcc, exec, s[10:11]
	s_cbranch_vccz .LBB7_1974
; %bb.1935:
	s_cmp_gt_i32 s15, 22
	s_mov_b64 s[4:5], -1
	s_cbranch_scc0 .LBB7_1967
; %bb.1936:
	s_cmp_lt_i32 s15, 24
	s_cbranch_scc1 .LBB7_1956
; %bb.1937:
	s_cmp_gt_i32 s15, 24
	s_cbranch_scc0 .LBB7_1945
; %bb.1938:
	v_cvt_f32_f64_e32 v2, v[4:5]
	s_mov_b32 s4, 0x47800000
	v_mov_b32_e32 v6, 0x80
	v_and_b32_e32 v3, 0x7fffffff, v2
	v_cmp_gt_u32_e32 vcc, s4, v3
	s_and_saveexec_b64 s[4:5], vcc
	s_cbranch_execz .LBB7_1944
; %bb.1939:
	s_mov_b32 s6, 0x37ffffff
	v_cmp_lt_u32_e32 vcc, s6, v3
	s_mov_b64 s[6:7], 0
                                        ; implicit-def: $vgpr3
	s_and_saveexec_b64 s[10:11], vcc
	s_xor_b64 s[10:11], exec, s[10:11]
	s_cbranch_execz .LBB7_2225
; %bb.1940:
	v_bfe_u32 v3, v2, 21, 1
	s_mov_b32 s12, 0x88fffff
	v_add3_u32 v3, v2, v3, s12
	s_mov_b64 s[6:7], exec
	v_lshrrev_b32_e32 v3, 21, v3
	s_andn2_saveexec_b64 s[10:11], s[10:11]
	s_cbranch_execnz .LBB7_2226
.LBB7_1941:
	s_or_b64 exec, exec, s[10:11]
	v_mov_b32_e32 v6, 0
	s_and_saveexec_b64 s[10:11], s[6:7]
.LBB7_1942:
	v_lshrrev_b32_e32 v2, 24, v2
	s_movk_i32 s6, 0x80
	v_and_or_b32 v6, v2, s6, v3
.LBB7_1943:
	s_or_b64 exec, exec, s[10:11]
.LBB7_1944:
	s_or_b64 exec, exec, s[4:5]
	s_mov_b64 s[4:5], 0
	global_store_byte v[0:1], v6, off
.LBB7_1945:
	s_and_b64 vcc, exec, s[4:5]
	s_cbranch_vccz .LBB7_1955
; %bb.1946:
	v_cvt_f32_f64_e32 v2, v[4:5]
	s_mov_b32 s4, 0x43f00000
                                        ; implicit-def: $vgpr3
	v_and_b32_e32 v6, 0x7fffffff, v2
	v_cmp_gt_u32_e32 vcc, s4, v6
	s_and_saveexec_b64 s[4:5], vcc
	s_xor_b64 s[4:5], exec, s[4:5]
	s_cbranch_execz .LBB7_1952
; %bb.1947:
	s_mov_b32 s6, 0x3c7fffff
	v_cmp_lt_u32_e32 vcc, s6, v6
                                        ; implicit-def: $vgpr3
	s_and_saveexec_b64 s[6:7], vcc
	s_xor_b64 s[6:7], exec, s[6:7]
; %bb.1948:
	v_bfe_u32 v3, v2, 20, 1
	s_mov_b32 s10, 0x407ffff
	v_add3_u32 v3, v2, v3, s10
	v_lshrrev_b32_e32 v6, 20, v3
	v_and_b32_e32 v3, 0xff00000, v3
	s_mov_b32 s10, 0x7f00000
	v_mov_b32_e32 v7, 0x7e
	v_cmp_ne_u32_e32 vcc, s10, v3
	v_cndmask_b32_e32 v3, v7, v6, vcc
; %bb.1949:
	s_andn2_saveexec_b64 s[6:7], s[6:7]
; %bb.1950:
	s_mov_b32 s10, 0x46800000
	v_add_f32_e64 v3, |v2|, s10
; %bb.1951:
	s_or_b64 exec, exec, s[6:7]
                                        ; implicit-def: $vgpr6
.LBB7_1952:
	s_andn2_saveexec_b64 s[4:5], s[4:5]
; %bb.1953:
	s_mov_b32 s6, 0x7f800000
	v_mov_b32_e32 v3, 0x7e
	v_mov_b32_e32 v7, 0x7f
	v_cmp_lt_u32_e32 vcc, s6, v6
	v_cndmask_b32_e32 v3, v3, v7, vcc
; %bb.1954:
	s_or_b64 exec, exec, s[4:5]
	v_lshrrev_b32_e32 v2, 24, v2
	s_movk_i32 s4, 0x80
	v_and_or_b32 v2, v2, s4, v3
	global_store_byte v[0:1], v2, off
.LBB7_1955:
	s_mov_b64 s[4:5], 0
.LBB7_1956:
	s_andn2_b64 vcc, exec, s[4:5]
	s_cbranch_vccnz .LBB7_1966
; %bb.1957:
	v_cvt_f32_f64_e32 v2, v[4:5]
	s_mov_b32 s4, 0x47800000
                                        ; implicit-def: $vgpr3
	v_and_b32_e32 v6, 0x7fffffff, v2
	v_cmp_gt_u32_e32 vcc, s4, v6
	s_and_saveexec_b64 s[4:5], vcc
	s_xor_b64 s[4:5], exec, s[4:5]
	s_cbranch_execz .LBB7_1963
; %bb.1958:
	s_mov_b32 s6, 0x387fffff
	v_cmp_lt_u32_e32 vcc, s6, v6
                                        ; implicit-def: $vgpr3
	s_and_saveexec_b64 s[6:7], vcc
	s_xor_b64 s[6:7], exec, s[6:7]
; %bb.1959:
	v_bfe_u32 v3, v2, 21, 1
	s_mov_b32 s10, 0x80fffff
	v_add3_u32 v3, v2, v3, s10
	v_lshrrev_b32_e32 v3, 21, v3
; %bb.1960:
	s_andn2_saveexec_b64 s[6:7], s[6:7]
; %bb.1961:
	s_mov_b32 s10, 0x43000000
	v_add_f32_e64 v3, |v2|, s10
; %bb.1962:
	s_or_b64 exec, exec, s[6:7]
                                        ; implicit-def: $vgpr6
.LBB7_1963:
	s_andn2_saveexec_b64 s[4:5], s[4:5]
; %bb.1964:
	s_mov_b32 s6, 0x7f800000
	v_mov_b32_e32 v3, 0x7c
	v_mov_b32_e32 v7, 0x7f
	v_cmp_lt_u32_e32 vcc, s6, v6
	v_cndmask_b32_e32 v3, v3, v7, vcc
; %bb.1965:
	s_or_b64 exec, exec, s[4:5]
	v_lshrrev_b32_e32 v2, 24, v2
	s_movk_i32 s4, 0x80
	v_and_or_b32 v2, v2, s4, v3
	global_store_byte v[0:1], v2, off
.LBB7_1966:
	s_mov_b64 s[4:5], 0
	s_mov_b64 s[6:7], -1
.LBB7_1967:
	s_andn2_b64 vcc, exec, s[4:5]
	s_mov_b64 s[4:5], 0
	s_cbranch_vccnz .LBB7_1974
; %bb.1968:
	s_cmp_gt_i32 s15, 14
	s_mov_b64 s[10:11], -1
	s_cbranch_scc0 .LBB7_1972
; %bb.1969:
	s_cmp_eq_u32 s15, 15
	s_mov_b64 s[0:1], -1
	s_cbranch_scc0 .LBB7_1971
; %bb.1970:
	v_cvt_f32_f64_e32 v2, v[4:5]
	s_movk_i32 s0, 0x7fff
	v_mov_b32_e32 v3, 0x7fc0
	s_mov_b64 s[6:7], -1
	v_bfe_u32 v6, v2, 16, 1
	v_cmp_o_f32_e32 vcc, v2, v2
	v_add3_u32 v2, v2, v6, s0
	v_cndmask_b32_sdwa v2, v3, v2, vcc dst_sel:DWORD dst_unused:UNUSED_PAD src0_sel:DWORD src1_sel:WORD_1
	global_store_short v[0:1], v2, off
	s_mov_b64 s[0:1], 0
.LBB7_1971:
	s_mov_b64 s[10:11], 0
.LBB7_1972:
	s_and_b64 vcc, exec, s[10:11]
	s_cbranch_vccz .LBB7_1974
; %bb.1973:
	s_cmp_lg_u32 s15, 11
	s_mov_b64 s[4:5], -1
	s_cselect_b64 s[0:1], -1, 0
.LBB7_1974:
	s_and_b64 vcc, exec, s[0:1]
	s_cbranch_vccnz .LBB7_2224
; %bb.1975:
	s_andn2_b64 vcc, exec, s[4:5]
	s_cbranch_vccnz .LBB7_1977
.LBB7_1976:
	v_cmp_neq_f64_e32 vcc, 0, v[4:5]
	s_mov_b64 s[6:7], -1
	v_cndmask_b32_e64 v2, 0, 1, vcc
	global_store_byte v[0:1], v2, off
.LBB7_1977:
	s_mov_b64 s[0:1], 0
	s_branch .LBB7_1979
.LBB7_1978:
	s_mov_b64 s[0:1], -1
	s_mov_b64 s[6:7], 0
.LBB7_1979:
	s_and_b64 vcc, exec, s[0:1]
	s_cbranch_vccz .LBB7_2018
; %bb.1980:
	s_and_b32 s4, 0xffff, s14
	s_cmp_lt_i32 s4, 5
	s_mov_b64 s[0:1], -1
	s_cbranch_scc1 .LBB7_2001
; %bb.1981:
	s_cmp_lt_i32 s4, 8
	s_cbranch_scc1 .LBB7_1991
; %bb.1982:
	s_cmp_lt_i32 s4, 9
	s_cbranch_scc1 .LBB7_1988
; %bb.1983:
	s_cmp_gt_i32 s4, 9
	s_cbranch_scc0 .LBB7_1985
; %bb.1984:
	v_mov_b32_e32 v6, 0
	v_mov_b32_e32 v7, v6
	global_store_dwordx4 v[0:1], v[4:7], off
	s_mov_b64 s[0:1], 0
.LBB7_1985:
	s_andn2_b64 vcc, exec, s[0:1]
	s_cbranch_vccnz .LBB7_1987
; %bb.1986:
	v_cvt_f32_f64_e32 v2, v[4:5]
	v_mov_b32_e32 v3, 0
	global_store_dwordx2 v[0:1], v[2:3], off
.LBB7_1987:
	s_mov_b64 s[0:1], 0
.LBB7_1988:
	s_andn2_b64 vcc, exec, s[0:1]
	s_cbranch_vccnz .LBB7_1990
; %bb.1989:
	s_movk_i32 s0, 0x1ff
	v_and_or_b32 v2, v5, s0, v4
	v_cmp_ne_u32_e32 vcc, 0, v2
	v_cndmask_b32_e64 v2, 0, 1, vcc
	v_lshrrev_b32_e32 v3, 8, v5
	s_movk_i32 s0, 0xffe
	v_bfe_u32 v6, v5, 20, 11
	v_and_or_b32 v2, v3, s0, v2
	v_sub_u32_e32 v7, 0x3f1, v6
	v_or_b32_e32 v3, 0x1000, v2
	v_med3_i32 v7, v7, 0, 13
	v_lshrrev_b32_e32 v11, v7, v3
	v_lshlrev_b32_e32 v7, v7, v11
	v_cmp_ne_u32_e32 vcc, v7, v3
	v_cndmask_b32_e64 v3, 0, 1, vcc
	v_add_u32_e32 v6, 0xfffffc10, v6
	v_or_b32_e32 v3, v11, v3
	v_lshl_or_b32 v7, v6, 12, v2
	v_cmp_gt_i32_e32 vcc, 1, v6
	v_cndmask_b32_e32 v3, v7, v3, vcc
	v_and_b32_e32 v7, 7, v3
	v_cmp_lt_i32_e32 vcc, 5, v7
	v_cndmask_b32_e64 v11, 0, 1, vcc
	v_cmp_eq_u32_e32 vcc, 3, v7
	v_cndmask_b32_e64 v7, 0, 1, vcc
	v_or_b32_e32 v7, v7, v11
	v_lshrrev_b32_e32 v3, 2, v3
	v_add_u32_e32 v3, v3, v7
	v_mov_b32_e32 v7, 0x7c00
	v_cmp_gt_i32_e32 vcc, 31, v6
	v_cndmask_b32_e32 v3, v7, v3, vcc
	v_mov_b32_e32 v11, 0x7e00
	v_cmp_ne_u32_e32 vcc, 0, v2
	s_movk_i32 s0, 0x40f
	v_cndmask_b32_e32 v2, v7, v11, vcc
	v_cmp_eq_u32_e32 vcc, s0, v6
	v_cndmask_b32_e32 v2, v3, v2, vcc
	v_lshrrev_b32_e32 v3, 16, v5
	s_mov_b32 s0, 0x8000
	v_and_or_b32 v2, v3, s0, v2
	v_and_b32_e32 v2, 0xffff, v2
	global_store_dword v[0:1], v2, off
.LBB7_1990:
	s_mov_b64 s[0:1], 0
.LBB7_1991:
	s_andn2_b64 vcc, exec, s[0:1]
	s_cbranch_vccnz .LBB7_2000
; %bb.1992:
	s_cmp_lt_i32 s4, 6
	s_mov_b64 s[0:1], -1
	s_cbranch_scc1 .LBB7_1998
; %bb.1993:
	s_cmp_gt_i32 s4, 6
	s_cbranch_scc0 .LBB7_1995
; %bb.1994:
	global_store_dwordx2 v[0:1], v[4:5], off
	s_mov_b64 s[0:1], 0
.LBB7_1995:
	s_andn2_b64 vcc, exec, s[0:1]
	s_cbranch_vccnz .LBB7_1997
; %bb.1996:
	v_cvt_f32_f64_e32 v2, v[4:5]
	global_store_dword v[0:1], v2, off
.LBB7_1997:
	s_mov_b64 s[0:1], 0
.LBB7_1998:
	s_andn2_b64 vcc, exec, s[0:1]
	s_cbranch_vccnz .LBB7_2000
; %bb.1999:
	s_movk_i32 s0, 0x1ff
	v_and_or_b32 v2, v5, s0, v4
	v_cmp_ne_u32_e32 vcc, 0, v2
	v_cndmask_b32_e64 v2, 0, 1, vcc
	v_lshrrev_b32_e32 v3, 8, v5
	s_movk_i32 s0, 0xffe
	v_bfe_u32 v6, v5, 20, 11
	v_and_or_b32 v2, v3, s0, v2
	v_sub_u32_e32 v7, 0x3f1, v6
	v_or_b32_e32 v3, 0x1000, v2
	v_med3_i32 v7, v7, 0, 13
	v_lshrrev_b32_e32 v11, v7, v3
	v_lshlrev_b32_e32 v7, v7, v11
	v_cmp_ne_u32_e32 vcc, v7, v3
	v_cndmask_b32_e64 v3, 0, 1, vcc
	v_add_u32_e32 v6, 0xfffffc10, v6
	v_or_b32_e32 v3, v11, v3
	v_lshl_or_b32 v7, v6, 12, v2
	v_cmp_gt_i32_e32 vcc, 1, v6
	v_cndmask_b32_e32 v3, v7, v3, vcc
	v_and_b32_e32 v7, 7, v3
	v_cmp_lt_i32_e32 vcc, 5, v7
	v_cndmask_b32_e64 v11, 0, 1, vcc
	v_cmp_eq_u32_e32 vcc, 3, v7
	v_cndmask_b32_e64 v7, 0, 1, vcc
	v_or_b32_e32 v7, v7, v11
	v_lshrrev_b32_e32 v3, 2, v3
	v_add_u32_e32 v3, v3, v7
	v_mov_b32_e32 v7, 0x7c00
	v_cmp_gt_i32_e32 vcc, 31, v6
	v_cndmask_b32_e32 v3, v7, v3, vcc
	v_mov_b32_e32 v11, 0x7e00
	v_cmp_ne_u32_e32 vcc, 0, v2
	s_movk_i32 s0, 0x40f
	v_cndmask_b32_e32 v2, v7, v11, vcc
	v_cmp_eq_u32_e32 vcc, s0, v6
	v_cndmask_b32_e32 v2, v3, v2, vcc
	v_lshrrev_b32_e32 v3, 16, v5
	s_mov_b32 s0, 0x8000
	v_and_or_b32 v2, v3, s0, v2
	global_store_short v[0:1], v2, off
.LBB7_2000:
	s_mov_b64 s[0:1], 0
.LBB7_2001:
	s_andn2_b64 vcc, exec, s[0:1]
	s_cbranch_vccnz .LBB7_2017
; %bb.2002:
	s_cmp_lt_i32 s4, 2
	s_mov_b64 s[0:1], -1
	s_cbranch_scc1 .LBB7_2012
; %bb.2003:
	s_cmp_lt_i32 s4, 3
	s_cbranch_scc1 .LBB7_2009
; %bb.2004:
	s_cmp_gt_i32 s4, 3
	s_cbranch_scc0 .LBB7_2006
; %bb.2005:
	v_trunc_f64_e32 v[2:3], v[4:5]
	s_movk_i32 s0, 0xffe0
	v_ldexp_f64 v[6:7], v[2:3], s0
	s_mov_b32 s0, 0
	s_mov_b32 s1, 0xc1f00000
	v_floor_f64_e32 v[6:7], v[6:7]
	v_fma_f64 v[2:3], v[6:7], s[0:1], v[2:3]
	v_cvt_i32_f64_e32 v7, v[6:7]
	s_mov_b64 s[0:1], 0
	v_cvt_u32_f64_e32 v6, v[2:3]
	global_store_dwordx2 v[0:1], v[6:7], off
.LBB7_2006:
	s_andn2_b64 vcc, exec, s[0:1]
	s_cbranch_vccnz .LBB7_2008
; %bb.2007:
	v_cvt_i32_f64_e32 v2, v[4:5]
	global_store_dword v[0:1], v2, off
.LBB7_2008:
	s_mov_b64 s[0:1], 0
.LBB7_2009:
	s_andn2_b64 vcc, exec, s[0:1]
	s_cbranch_vccnz .LBB7_2011
; %bb.2010:
	v_cvt_i32_f64_e32 v2, v[4:5]
	global_store_short v[0:1], v2, off
.LBB7_2011:
	s_mov_b64 s[0:1], 0
.LBB7_2012:
	s_andn2_b64 vcc, exec, s[0:1]
	s_cbranch_vccnz .LBB7_2017
; %bb.2013:
	s_cmp_gt_i32 s4, 0
	s_mov_b64 s[0:1], -1
	s_cbranch_scc0 .LBB7_2015
; %bb.2014:
	v_cvt_i32_f64_e32 v2, v[4:5]
	s_mov_b64 s[0:1], 0
	global_store_byte v[0:1], v2, off
.LBB7_2015:
	s_andn2_b64 vcc, exec, s[0:1]
	s_cbranch_vccnz .LBB7_2017
; %bb.2016:
	v_trunc_f64_e32 v[2:3], v[4:5]
	s_movk_i32 s0, 0xffe0
	v_ldexp_f64 v[4:5], v[2:3], s0
	s_mov_b32 s0, 0
	s_mov_b32 s1, 0xc1f00000
	v_floor_f64_e32 v[4:5], v[4:5]
	v_fma_f64 v[2:3], v[4:5], s[0:1], v[2:3]
	v_cvt_u32_f64_e32 v2, v[2:3]
	global_store_byte v[0:1], v2, off
.LBB7_2017:
	s_mov_b64 s[6:7], -1
.LBB7_2018:
	s_andn2_b64 vcc, exec, s[6:7]
	s_cbranch_vccnz .LBB7_2214
; %bb.2019:
	v_mov_b32_e32 v1, s9
	v_add_co_u32_e32 v0, vcc, s8, v10
	s_cmp_lt_i32 s14, 11
	v_addc_co_u32_e32 v1, vcc, 0, v1, vcc
	s_cbranch_scc1 .LBB7_2097
; %bb.2020:
	s_and_b32 s15, 0xffff, s14
	s_mov_b64 s[10:11], -1
	s_mov_b64 s[4:5], 0
	s_cmp_gt_i32 s15, 25
	s_mov_b64 s[6:7], 0
	s_mov_b64 s[0:1], 0
	s_cbranch_scc0 .LBB7_2053
; %bb.2021:
	s_cmp_gt_i32 s15, 28
	s_cbranch_scc0 .LBB7_2036
; %bb.2022:
	s_cmp_gt_i32 s15, 43
	;; [unrolled: 3-line block ×3, first 2 shown]
	s_cbranch_scc0 .LBB7_2026
; %bb.2024:
	s_mov_b64 s[0:1], -1
	s_mov_b64 s[10:11], 0
	s_cmp_eq_u32 s15, 46
	s_cbranch_scc0 .LBB7_2026
; %bb.2025:
	v_cvt_f32_f64_e32 v2, v[8:9]
	s_movk_i32 s0, 0x7fff
	v_mov_b32_e32 v3, 0x7fc0
	s_mov_b64 s[6:7], -1
	v_bfe_u32 v4, v2, 16, 1
	v_cmp_o_f32_e32 vcc, v2, v2
	v_add3_u32 v2, v2, v4, s0
	v_cndmask_b32_sdwa v2, v3, v2, vcc dst_sel:DWORD dst_unused:UNUSED_PAD src0_sel:DWORD src1_sel:WORD_1
	global_store_dword v[0:1], v2, off
	s_mov_b64 s[0:1], 0
.LBB7_2026:
	s_and_b64 vcc, exec, s[10:11]
	s_cbranch_vccz .LBB7_2031
; %bb.2027:
	s_cmp_eq_u32 s15, 44
	s_mov_b64 s[0:1], -1
	s_cbranch_scc0 .LBB7_2031
; %bb.2028:
	v_cvt_f32_f64_e32 v2, v[8:9]
	s_movk_i32 s0, 0xff
	v_mov_b32_e32 v4, 0xff
	v_bfe_u32 v3, v2, 23, 8
	v_cmp_ne_u32_e32 vcc, s0, v3
	s_and_saveexec_b64 s[6:7], vcc
; %bb.2029:
	s_mov_b32 s0, 0x3fffff
	v_lshrrev_b32_e32 v4, 23, v2
	v_and_b32_e32 v5, 0x400000, v2
	v_and_or_b32 v2, v2, s0, v3
	v_cmp_ne_u32_e32 vcc, 0, v5
	v_cmp_ne_u32_e64 s[0:1], 0, v2
	s_and_b64 s[0:1], vcc, s[0:1]
	v_cndmask_b32_e64 v2, 0, 1, s[0:1]
	v_add_u32_e32 v4, v4, v2
; %bb.2030:
	s_or_b64 exec, exec, s[6:7]
	s_mov_b64 s[0:1], 0
	s_mov_b64 s[6:7], -1
	global_store_byte v[0:1], v4, off
.LBB7_2031:
	s_mov_b64 s[10:11], 0
.LBB7_2032:
	s_and_b64 vcc, exec, s[10:11]
	s_cbranch_vccz .LBB7_2035
; %bb.2033:
	s_cmp_eq_u32 s15, 29
	s_mov_b64 s[0:1], -1
	s_cbranch_scc0 .LBB7_2035
; %bb.2034:
	v_trunc_f64_e32 v[2:3], v[8:9]
	s_movk_i32 s0, 0xffe0
	s_mov_b64 s[6:7], -1
	v_ldexp_f64 v[4:5], v[2:3], s0
	s_mov_b32 s0, 0
	s_mov_b32 s1, 0xc1f00000
	v_floor_f64_e32 v[4:5], v[4:5]
	v_fma_f64 v[2:3], v[4:5], s[0:1], v[2:3]
	v_cvt_u32_f64_e32 v4, v[4:5]
	s_mov_b64 s[0:1], 0
	v_cvt_u32_f64_e32 v3, v[2:3]
	global_store_dwordx2 v[0:1], v[3:4], off
.LBB7_2035:
	s_mov_b64 s[10:11], 0
.LBB7_2036:
	s_and_b64 vcc, exec, s[10:11]
	s_cbranch_vccz .LBB7_2052
; %bb.2037:
	s_cmp_lt_i32 s15, 27
	s_mov_b64 s[6:7], -1
	s_cbranch_scc1 .LBB7_2043
; %bb.2038:
	v_cvt_u32_f64_e32 v2, v[8:9]
	s_cmp_gt_i32 s15, 27
	s_cbranch_scc0 .LBB7_2040
; %bb.2039:
	s_mov_b64 s[6:7], 0
	global_store_dword v[0:1], v2, off
.LBB7_2040:
	s_andn2_b64 vcc, exec, s[6:7]
	s_cbranch_vccnz .LBB7_2042
; %bb.2041:
	global_store_short v[0:1], v2, off
.LBB7_2042:
	s_mov_b64 s[6:7], 0
.LBB7_2043:
	s_andn2_b64 vcc, exec, s[6:7]
	s_cbranch_vccnz .LBB7_2051
; %bb.2044:
	v_cvt_f32_f64_e32 v2, v[8:9]
	s_mov_b32 s6, 0x43800000
	v_mov_b32_e32 v4, 0x80
	v_and_b32_e32 v3, 0x7fffffff, v2
	v_cmp_gt_u32_e32 vcc, s6, v3
	s_and_saveexec_b64 s[6:7], vcc
	s_cbranch_execz .LBB7_2050
; %bb.2045:
	s_mov_b32 s10, 0x3bffffff
	v_cmp_lt_u32_e32 vcc, s10, v3
	s_mov_b64 s[10:11], 0
                                        ; implicit-def: $vgpr3
	s_and_saveexec_b64 s[12:13], vcc
	s_xor_b64 s[12:13], exec, s[12:13]
	s_cbranch_execz .LBB7_2227
; %bb.2046:
	v_bfe_u32 v3, v2, 20, 1
	s_mov_b32 s16, 0x487ffff
	v_add3_u32 v3, v2, v3, s16
	s_mov_b64 s[10:11], exec
	v_lshrrev_b32_e32 v3, 20, v3
	s_andn2_saveexec_b64 s[12:13], s[12:13]
	s_cbranch_execnz .LBB7_2228
.LBB7_2047:
	s_or_b64 exec, exec, s[12:13]
	v_mov_b32_e32 v4, 0
	s_and_saveexec_b64 s[12:13], s[10:11]
.LBB7_2048:
	v_lshrrev_b32_e32 v2, 24, v2
	s_movk_i32 s10, 0x80
	v_and_or_b32 v4, v2, s10, v3
.LBB7_2049:
	s_or_b64 exec, exec, s[12:13]
.LBB7_2050:
	s_or_b64 exec, exec, s[6:7]
	global_store_byte v[0:1], v4, off
.LBB7_2051:
	s_mov_b64 s[6:7], -1
.LBB7_2052:
	s_mov_b64 s[10:11], 0
.LBB7_2053:
	s_and_b64 vcc, exec, s[10:11]
	s_cbranch_vccz .LBB7_2093
; %bb.2054:
	s_cmp_gt_i32 s15, 22
	s_mov_b64 s[4:5], -1
	s_cbranch_scc0 .LBB7_2086
; %bb.2055:
	s_cmp_lt_i32 s15, 24
	s_cbranch_scc1 .LBB7_2075
; %bb.2056:
	s_cmp_gt_i32 s15, 24
	s_cbranch_scc0 .LBB7_2064
; %bb.2057:
	v_cvt_f32_f64_e32 v2, v[8:9]
	s_mov_b32 s4, 0x47800000
	v_mov_b32_e32 v4, 0x80
	v_and_b32_e32 v3, 0x7fffffff, v2
	v_cmp_gt_u32_e32 vcc, s4, v3
	s_and_saveexec_b64 s[4:5], vcc
	s_cbranch_execz .LBB7_2063
; %bb.2058:
	s_mov_b32 s6, 0x37ffffff
	v_cmp_lt_u32_e32 vcc, s6, v3
	s_mov_b64 s[6:7], 0
                                        ; implicit-def: $vgpr3
	s_and_saveexec_b64 s[10:11], vcc
	s_xor_b64 s[10:11], exec, s[10:11]
	s_cbranch_execz .LBB7_2230
; %bb.2059:
	v_bfe_u32 v3, v2, 21, 1
	s_mov_b32 s12, 0x88fffff
	v_add3_u32 v3, v2, v3, s12
	s_mov_b64 s[6:7], exec
	v_lshrrev_b32_e32 v3, 21, v3
	s_andn2_saveexec_b64 s[10:11], s[10:11]
	s_cbranch_execnz .LBB7_2231
.LBB7_2060:
	s_or_b64 exec, exec, s[10:11]
	v_mov_b32_e32 v4, 0
	s_and_saveexec_b64 s[10:11], s[6:7]
.LBB7_2061:
	v_lshrrev_b32_e32 v2, 24, v2
	s_movk_i32 s6, 0x80
	v_and_or_b32 v4, v2, s6, v3
.LBB7_2062:
	s_or_b64 exec, exec, s[10:11]
.LBB7_2063:
	s_or_b64 exec, exec, s[4:5]
	s_mov_b64 s[4:5], 0
	global_store_byte v[0:1], v4, off
.LBB7_2064:
	s_and_b64 vcc, exec, s[4:5]
	s_cbranch_vccz .LBB7_2074
; %bb.2065:
	v_cvt_f32_f64_e32 v2, v[8:9]
	s_mov_b32 s4, 0x43f00000
                                        ; implicit-def: $vgpr3
	v_and_b32_e32 v4, 0x7fffffff, v2
	v_cmp_gt_u32_e32 vcc, s4, v4
	s_and_saveexec_b64 s[4:5], vcc
	s_xor_b64 s[4:5], exec, s[4:5]
	s_cbranch_execz .LBB7_2071
; %bb.2066:
	s_mov_b32 s6, 0x3c7fffff
	v_cmp_lt_u32_e32 vcc, s6, v4
                                        ; implicit-def: $vgpr3
	s_and_saveexec_b64 s[6:7], vcc
	s_xor_b64 s[6:7], exec, s[6:7]
; %bb.2067:
	v_bfe_u32 v3, v2, 20, 1
	s_mov_b32 s10, 0x407ffff
	v_add3_u32 v3, v2, v3, s10
	v_lshrrev_b32_e32 v4, 20, v3
	v_and_b32_e32 v3, 0xff00000, v3
	s_mov_b32 s10, 0x7f00000
	v_mov_b32_e32 v5, 0x7e
	v_cmp_ne_u32_e32 vcc, s10, v3
	v_cndmask_b32_e32 v3, v5, v4, vcc
; %bb.2068:
	s_andn2_saveexec_b64 s[6:7], s[6:7]
; %bb.2069:
	s_mov_b32 s10, 0x46800000
	v_add_f32_e64 v3, |v2|, s10
; %bb.2070:
	s_or_b64 exec, exec, s[6:7]
                                        ; implicit-def: $vgpr4
.LBB7_2071:
	s_andn2_saveexec_b64 s[4:5], s[4:5]
; %bb.2072:
	s_mov_b32 s6, 0x7f800000
	v_mov_b32_e32 v3, 0x7e
	v_mov_b32_e32 v5, 0x7f
	v_cmp_lt_u32_e32 vcc, s6, v4
	v_cndmask_b32_e32 v3, v3, v5, vcc
; %bb.2073:
	s_or_b64 exec, exec, s[4:5]
	v_lshrrev_b32_e32 v2, 24, v2
	s_movk_i32 s4, 0x80
	v_and_or_b32 v2, v2, s4, v3
	global_store_byte v[0:1], v2, off
.LBB7_2074:
	s_mov_b64 s[4:5], 0
.LBB7_2075:
	s_andn2_b64 vcc, exec, s[4:5]
	s_cbranch_vccnz .LBB7_2085
; %bb.2076:
	v_cvt_f32_f64_e32 v2, v[8:9]
	s_mov_b32 s4, 0x47800000
                                        ; implicit-def: $vgpr3
	v_and_b32_e32 v4, 0x7fffffff, v2
	v_cmp_gt_u32_e32 vcc, s4, v4
	s_and_saveexec_b64 s[4:5], vcc
	s_xor_b64 s[4:5], exec, s[4:5]
	s_cbranch_execz .LBB7_2082
; %bb.2077:
	s_mov_b32 s6, 0x387fffff
	v_cmp_lt_u32_e32 vcc, s6, v4
                                        ; implicit-def: $vgpr3
	s_and_saveexec_b64 s[6:7], vcc
	s_xor_b64 s[6:7], exec, s[6:7]
; %bb.2078:
	v_bfe_u32 v3, v2, 21, 1
	s_mov_b32 s10, 0x80fffff
	v_add3_u32 v3, v2, v3, s10
	v_lshrrev_b32_e32 v3, 21, v3
; %bb.2079:
	s_andn2_saveexec_b64 s[6:7], s[6:7]
; %bb.2080:
	s_mov_b32 s10, 0x43000000
	v_add_f32_e64 v3, |v2|, s10
; %bb.2081:
	s_or_b64 exec, exec, s[6:7]
                                        ; implicit-def: $vgpr4
.LBB7_2082:
	s_andn2_saveexec_b64 s[4:5], s[4:5]
; %bb.2083:
	s_mov_b32 s6, 0x7f800000
	v_mov_b32_e32 v3, 0x7c
	v_mov_b32_e32 v5, 0x7f
	v_cmp_lt_u32_e32 vcc, s6, v4
	v_cndmask_b32_e32 v3, v3, v5, vcc
; %bb.2084:
	s_or_b64 exec, exec, s[4:5]
	v_lshrrev_b32_e32 v2, 24, v2
	s_movk_i32 s4, 0x80
	v_and_or_b32 v2, v2, s4, v3
	global_store_byte v[0:1], v2, off
.LBB7_2085:
	s_mov_b64 s[4:5], 0
	s_mov_b64 s[6:7], -1
.LBB7_2086:
	s_andn2_b64 vcc, exec, s[4:5]
	s_mov_b64 s[4:5], 0
	s_cbranch_vccnz .LBB7_2093
; %bb.2087:
	s_cmp_gt_i32 s15, 14
	s_mov_b64 s[10:11], -1
	s_cbranch_scc0 .LBB7_2091
; %bb.2088:
	s_cmp_eq_u32 s15, 15
	s_mov_b64 s[0:1], -1
	s_cbranch_scc0 .LBB7_2090
; %bb.2089:
	v_cvt_f32_f64_e32 v2, v[8:9]
	s_movk_i32 s0, 0x7fff
	v_mov_b32_e32 v3, 0x7fc0
	s_mov_b64 s[6:7], -1
	v_bfe_u32 v4, v2, 16, 1
	v_cmp_o_f32_e32 vcc, v2, v2
	v_add3_u32 v2, v2, v4, s0
	v_cndmask_b32_sdwa v2, v3, v2, vcc dst_sel:DWORD dst_unused:UNUSED_PAD src0_sel:DWORD src1_sel:WORD_1
	global_store_short v[0:1], v2, off
	s_mov_b64 s[0:1], 0
.LBB7_2090:
	s_mov_b64 s[10:11], 0
.LBB7_2091:
	s_and_b64 vcc, exec, s[10:11]
	s_cbranch_vccz .LBB7_2093
; %bb.2092:
	s_cmp_lg_u32 s15, 11
	s_mov_b64 s[4:5], -1
	s_cselect_b64 s[0:1], -1, 0
.LBB7_2093:
	s_and_b64 vcc, exec, s[0:1]
	s_cbranch_vccnz .LBB7_2229
; %bb.2094:
	s_andn2_b64 vcc, exec, s[4:5]
	s_cbranch_vccnz .LBB7_2096
.LBB7_2095:
	v_cmp_neq_f64_e32 vcc, 0, v[8:9]
	s_mov_b64 s[6:7], -1
	v_cndmask_b32_e64 v2, 0, 1, vcc
	global_store_byte v[0:1], v2, off
.LBB7_2096:
	s_mov_b64 s[0:1], 0
	s_branch .LBB7_2098
.LBB7_2097:
	s_mov_b64 s[0:1], -1
	s_mov_b64 s[6:7], 0
.LBB7_2098:
	s_and_b64 vcc, exec, s[0:1]
	s_cbranch_vccz .LBB7_2137
; %bb.2099:
	s_and_b32 s4, 0xffff, s14
	s_cmp_lt_i32 s4, 5
	s_mov_b64 s[0:1], -1
	s_cbranch_scc1 .LBB7_2120
; %bb.2100:
	s_cmp_lt_i32 s4, 8
	s_cbranch_scc1 .LBB7_2110
; %bb.2101:
	s_cmp_lt_i32 s4, 9
	s_cbranch_scc1 .LBB7_2107
; %bb.2102:
	s_cmp_gt_i32 s4, 9
	s_cbranch_scc0 .LBB7_2104
; %bb.2103:
	v_mov_b32_e32 v10, 0
	v_mov_b32_e32 v11, v10
	global_store_dwordx4 v[0:1], v[8:11], off
	s_mov_b64 s[0:1], 0
.LBB7_2104:
	s_andn2_b64 vcc, exec, s[0:1]
	s_cbranch_vccnz .LBB7_2106
; %bb.2105:
	v_cvt_f32_f64_e32 v2, v[8:9]
	v_mov_b32_e32 v3, 0
	global_store_dwordx2 v[0:1], v[2:3], off
.LBB7_2106:
	s_mov_b64 s[0:1], 0
.LBB7_2107:
	s_andn2_b64 vcc, exec, s[0:1]
	s_cbranch_vccnz .LBB7_2109
; %bb.2108:
	s_movk_i32 s0, 0x1ff
	v_and_or_b32 v2, v9, s0, v8
	v_cmp_ne_u32_e32 vcc, 0, v2
	v_cndmask_b32_e64 v2, 0, 1, vcc
	v_lshrrev_b32_e32 v3, 8, v9
	s_movk_i32 s0, 0xffe
	v_bfe_u32 v4, v9, 20, 11
	v_and_or_b32 v2, v3, s0, v2
	v_sub_u32_e32 v5, 0x3f1, v4
	v_or_b32_e32 v3, 0x1000, v2
	v_med3_i32 v5, v5, 0, 13
	v_lshrrev_b32_e32 v6, v5, v3
	v_lshlrev_b32_e32 v5, v5, v6
	v_cmp_ne_u32_e32 vcc, v5, v3
	v_cndmask_b32_e64 v3, 0, 1, vcc
	v_add_u32_e32 v4, 0xfffffc10, v4
	v_or_b32_e32 v3, v6, v3
	v_lshl_or_b32 v5, v4, 12, v2
	v_cmp_gt_i32_e32 vcc, 1, v4
	v_cndmask_b32_e32 v3, v5, v3, vcc
	v_and_b32_e32 v5, 7, v3
	v_cmp_lt_i32_e32 vcc, 5, v5
	v_cndmask_b32_e64 v6, 0, 1, vcc
	v_cmp_eq_u32_e32 vcc, 3, v5
	v_cndmask_b32_e64 v5, 0, 1, vcc
	v_or_b32_e32 v5, v5, v6
	v_lshrrev_b32_e32 v3, 2, v3
	v_add_u32_e32 v3, v3, v5
	v_mov_b32_e32 v5, 0x7c00
	v_cmp_gt_i32_e32 vcc, 31, v4
	v_cndmask_b32_e32 v3, v5, v3, vcc
	v_mov_b32_e32 v6, 0x7e00
	v_cmp_ne_u32_e32 vcc, 0, v2
	s_movk_i32 s0, 0x40f
	v_cndmask_b32_e32 v2, v5, v6, vcc
	v_cmp_eq_u32_e32 vcc, s0, v4
	v_cndmask_b32_e32 v2, v3, v2, vcc
	v_lshrrev_b32_e32 v3, 16, v9
	s_mov_b32 s0, 0x8000
	v_and_or_b32 v2, v3, s0, v2
	v_and_b32_e32 v2, 0xffff, v2
	global_store_dword v[0:1], v2, off
.LBB7_2109:
	s_mov_b64 s[0:1], 0
.LBB7_2110:
	s_andn2_b64 vcc, exec, s[0:1]
	s_cbranch_vccnz .LBB7_2119
; %bb.2111:
	s_cmp_lt_i32 s4, 6
	s_mov_b64 s[0:1], -1
	s_cbranch_scc1 .LBB7_2117
; %bb.2112:
	s_cmp_gt_i32 s4, 6
	s_cbranch_scc0 .LBB7_2114
; %bb.2113:
	global_store_dwordx2 v[0:1], v[8:9], off
	s_mov_b64 s[0:1], 0
.LBB7_2114:
	s_andn2_b64 vcc, exec, s[0:1]
	s_cbranch_vccnz .LBB7_2116
; %bb.2115:
	v_cvt_f32_f64_e32 v2, v[8:9]
	global_store_dword v[0:1], v2, off
.LBB7_2116:
	s_mov_b64 s[0:1], 0
.LBB7_2117:
	s_andn2_b64 vcc, exec, s[0:1]
	s_cbranch_vccnz .LBB7_2119
; %bb.2118:
	s_movk_i32 s0, 0x1ff
	v_and_or_b32 v2, v9, s0, v8
	v_cmp_ne_u32_e32 vcc, 0, v2
	v_cndmask_b32_e64 v2, 0, 1, vcc
	v_lshrrev_b32_e32 v3, 8, v9
	s_movk_i32 s0, 0xffe
	v_bfe_u32 v4, v9, 20, 11
	v_and_or_b32 v2, v3, s0, v2
	v_sub_u32_e32 v5, 0x3f1, v4
	v_or_b32_e32 v3, 0x1000, v2
	v_med3_i32 v5, v5, 0, 13
	v_lshrrev_b32_e32 v6, v5, v3
	v_lshlrev_b32_e32 v5, v5, v6
	v_cmp_ne_u32_e32 vcc, v5, v3
	v_cndmask_b32_e64 v3, 0, 1, vcc
	v_add_u32_e32 v4, 0xfffffc10, v4
	v_or_b32_e32 v3, v6, v3
	v_lshl_or_b32 v5, v4, 12, v2
	v_cmp_gt_i32_e32 vcc, 1, v4
	v_cndmask_b32_e32 v3, v5, v3, vcc
	v_and_b32_e32 v5, 7, v3
	v_cmp_lt_i32_e32 vcc, 5, v5
	v_cndmask_b32_e64 v6, 0, 1, vcc
	v_cmp_eq_u32_e32 vcc, 3, v5
	v_cndmask_b32_e64 v5, 0, 1, vcc
	v_or_b32_e32 v5, v5, v6
	v_lshrrev_b32_e32 v3, 2, v3
	v_add_u32_e32 v3, v3, v5
	v_mov_b32_e32 v5, 0x7c00
	v_cmp_gt_i32_e32 vcc, 31, v4
	v_cndmask_b32_e32 v3, v5, v3, vcc
	v_mov_b32_e32 v6, 0x7e00
	v_cmp_ne_u32_e32 vcc, 0, v2
	s_movk_i32 s0, 0x40f
	v_cndmask_b32_e32 v2, v5, v6, vcc
	v_cmp_eq_u32_e32 vcc, s0, v4
	v_cndmask_b32_e32 v2, v3, v2, vcc
	v_lshrrev_b32_e32 v3, 16, v9
	s_mov_b32 s0, 0x8000
	v_and_or_b32 v2, v3, s0, v2
	global_store_short v[0:1], v2, off
.LBB7_2119:
	s_mov_b64 s[0:1], 0
.LBB7_2120:
	s_andn2_b64 vcc, exec, s[0:1]
	s_cbranch_vccnz .LBB7_2136
; %bb.2121:
	s_cmp_lt_i32 s4, 2
	s_mov_b64 s[0:1], -1
	s_cbranch_scc1 .LBB7_2131
; %bb.2122:
	s_cmp_lt_i32 s4, 3
	s_cbranch_scc1 .LBB7_2128
; %bb.2123:
	s_cmp_gt_i32 s4, 3
	s_cbranch_scc0 .LBB7_2125
; %bb.2124:
	v_trunc_f64_e32 v[2:3], v[8:9]
	s_movk_i32 s0, 0xffe0
	v_ldexp_f64 v[4:5], v[2:3], s0
	s_mov_b32 s0, 0
	s_mov_b32 s1, 0xc1f00000
	v_floor_f64_e32 v[4:5], v[4:5]
	v_fma_f64 v[2:3], v[4:5], s[0:1], v[2:3]
	v_cvt_i32_f64_e32 v4, v[4:5]
	s_mov_b64 s[0:1], 0
	v_cvt_u32_f64_e32 v3, v[2:3]
	global_store_dwordx2 v[0:1], v[3:4], off
.LBB7_2125:
	s_andn2_b64 vcc, exec, s[0:1]
	s_cbranch_vccnz .LBB7_2127
; %bb.2126:
	v_cvt_i32_f64_e32 v2, v[8:9]
	global_store_dword v[0:1], v2, off
.LBB7_2127:
	s_mov_b64 s[0:1], 0
.LBB7_2128:
	s_andn2_b64 vcc, exec, s[0:1]
	s_cbranch_vccnz .LBB7_2130
; %bb.2129:
	v_cvt_i32_f64_e32 v2, v[8:9]
	global_store_short v[0:1], v2, off
.LBB7_2130:
	s_mov_b64 s[0:1], 0
.LBB7_2131:
	s_andn2_b64 vcc, exec, s[0:1]
	s_cbranch_vccnz .LBB7_2136
; %bb.2132:
	s_cmp_gt_i32 s4, 0
	s_mov_b64 s[0:1], -1
	s_cbranch_scc0 .LBB7_2134
; %bb.2133:
	v_cvt_i32_f64_e32 v2, v[8:9]
	s_mov_b64 s[0:1], 0
	global_store_byte v[0:1], v2, off
.LBB7_2134:
	s_andn2_b64 vcc, exec, s[0:1]
	s_cbranch_vccnz .LBB7_2136
; %bb.2135:
	v_trunc_f64_e32 v[2:3], v[8:9]
	s_movk_i32 s0, 0xffe0
	v_ldexp_f64 v[4:5], v[2:3], s0
	s_mov_b32 s0, 0
	s_mov_b32 s1, 0xc1f00000
	v_floor_f64_e32 v[4:5], v[4:5]
	v_fma_f64 v[2:3], v[4:5], s[0:1], v[2:3]
	v_cvt_u32_f64_e32 v2, v[2:3]
	global_store_byte v[0:1], v2, off
.LBB7_2136:
	s_mov_b64 s[6:7], -1
.LBB7_2137:
	s_andn2_b64 vcc, exec, s[6:7]
	s_cbranch_vccnz .LBB7_2214
; %bb.2138:
	v_mov_b32_e32 v1, s9
	v_add_co_u32_e32 v0, vcc, s8, v14
	s_cmp_lt_i32 s14, 11
	v_addc_co_u32_e32 v1, vcc, 0, v1, vcc
	s_cbranch_scc1 .LBB7_2215
; %bb.2139:
	s_and_b32 s12, 0xffff, s14
	s_mov_b64 s[6:7], -1
	s_mov_b64 s[4:5], 0
	s_cmp_gt_i32 s12, 25
	s_mov_b64 s[0:1], 0
	s_cbranch_scc0 .LBB7_2172
; %bb.2140:
	s_cmp_gt_i32 s12, 28
	s_cbranch_scc0 .LBB7_2156
; %bb.2141:
	s_cmp_gt_i32 s12, 43
	;; [unrolled: 3-line block ×3, first 2 shown]
	s_cbranch_scc0 .LBB7_2146
; %bb.2143:
	s_cmp_eq_u32 s12, 46
	s_mov_b64 s[0:1], -1
	s_cbranch_scc0 .LBB7_2145
; %bb.2144:
	v_cvt_f32_f64_e32 v2, v[12:13]
	s_movk_i32 s0, 0x7fff
	v_mov_b32_e32 v3, 0x7fc0
	v_bfe_u32 v4, v2, 16, 1
	v_cmp_o_f32_e32 vcc, v2, v2
	v_add3_u32 v2, v2, v4, s0
	v_cndmask_b32_sdwa v2, v3, v2, vcc dst_sel:DWORD dst_unused:UNUSED_PAD src0_sel:DWORD src1_sel:WORD_1
	global_store_dword v[0:1], v2, off
	s_mov_b64 s[0:1], 0
.LBB7_2145:
	s_mov_b64 s[6:7], 0
.LBB7_2146:
	s_and_b64 vcc, exec, s[6:7]
	s_cbranch_vccz .LBB7_2151
; %bb.2147:
	s_cmp_eq_u32 s12, 44
	s_mov_b64 s[0:1], -1
	s_cbranch_scc0 .LBB7_2151
; %bb.2148:
	v_cvt_f32_f64_e32 v2, v[12:13]
	s_movk_i32 s0, 0xff
	v_mov_b32_e32 v4, 0xff
	v_bfe_u32 v3, v2, 23, 8
	v_cmp_ne_u32_e32 vcc, s0, v3
	s_and_saveexec_b64 s[6:7], vcc
; %bb.2149:
	s_mov_b32 s0, 0x3fffff
	v_lshrrev_b32_e32 v4, 23, v2
	v_and_b32_e32 v5, 0x400000, v2
	v_and_or_b32 v2, v2, s0, v3
	v_cmp_ne_u32_e32 vcc, 0, v5
	v_cmp_ne_u32_e64 s[0:1], 0, v2
	s_and_b64 s[0:1], vcc, s[0:1]
	v_cndmask_b32_e64 v2, 0, 1, s[0:1]
	v_add_u32_e32 v4, v4, v2
; %bb.2150:
	s_or_b64 exec, exec, s[6:7]
	s_mov_b64 s[0:1], 0
	global_store_byte v[0:1], v4, off
.LBB7_2151:
	s_mov_b64 s[6:7], 0
.LBB7_2152:
	s_and_b64 vcc, exec, s[6:7]
	s_cbranch_vccz .LBB7_2155
; %bb.2153:
	s_cmp_eq_u32 s12, 29
	s_mov_b64 s[0:1], -1
	s_cbranch_scc0 .LBB7_2155
; %bb.2154:
	v_trunc_f64_e32 v[2:3], v[12:13]
	s_movk_i32 s0, 0xffe0
	v_ldexp_f64 v[4:5], v[2:3], s0
	s_mov_b32 s0, 0
	s_mov_b32 s1, 0xc1f00000
	v_floor_f64_e32 v[4:5], v[4:5]
	v_fma_f64 v[2:3], v[4:5], s[0:1], v[2:3]
	v_cvt_u32_f64_e32 v4, v[4:5]
	s_mov_b64 s[0:1], 0
	v_cvt_u32_f64_e32 v3, v[2:3]
	global_store_dwordx2 v[0:1], v[3:4], off
.LBB7_2155:
	s_mov_b64 s[6:7], 0
.LBB7_2156:
	s_and_b64 vcc, exec, s[6:7]
	s_cbranch_vccz .LBB7_2171
; %bb.2157:
	s_cmp_lt_i32 s12, 27
	s_mov_b64 s[6:7], -1
	s_cbranch_scc1 .LBB7_2163
; %bb.2158:
	s_cmp_gt_i32 s12, 27
	s_cbranch_scc0 .LBB7_2160
; %bb.2159:
	v_cvt_u32_f64_e32 v2, v[12:13]
	s_mov_b64 s[6:7], 0
	global_store_dword v[0:1], v2, off
.LBB7_2160:
	s_andn2_b64 vcc, exec, s[6:7]
	s_cbranch_vccnz .LBB7_2162
; %bb.2161:
	v_cvt_u32_f64_e32 v2, v[12:13]
	global_store_short v[0:1], v2, off
.LBB7_2162:
	s_mov_b64 s[6:7], 0
.LBB7_2163:
	s_andn2_b64 vcc, exec, s[6:7]
	s_cbranch_vccnz .LBB7_2171
; %bb.2164:
	v_cvt_f32_f64_e32 v2, v[12:13]
	s_mov_b32 s6, 0x43800000
	v_mov_b32_e32 v4, 0x80
	v_and_b32_e32 v3, 0x7fffffff, v2
	v_cmp_gt_u32_e32 vcc, s6, v3
	s_and_saveexec_b64 s[6:7], vcc
	s_cbranch_execz .LBB7_2170
; %bb.2165:
	s_mov_b32 s8, 0x3bffffff
	v_cmp_lt_u32_e32 vcc, s8, v3
	s_mov_b64 s[8:9], 0
                                        ; implicit-def: $vgpr3
	s_and_saveexec_b64 s[10:11], vcc
	s_xor_b64 s[10:11], exec, s[10:11]
	s_cbranch_execz .LBB7_2232
; %bb.2166:
	v_bfe_u32 v3, v2, 20, 1
	s_mov_b32 s13, 0x487ffff
	v_add3_u32 v3, v2, v3, s13
	s_mov_b64 s[8:9], exec
	v_lshrrev_b32_e32 v3, 20, v3
	s_andn2_saveexec_b64 s[10:11], s[10:11]
	s_cbranch_execnz .LBB7_2233
.LBB7_2167:
	s_or_b64 exec, exec, s[10:11]
	v_mov_b32_e32 v4, 0
	s_and_saveexec_b64 s[10:11], s[8:9]
.LBB7_2168:
	v_lshrrev_b32_e32 v2, 24, v2
	s_movk_i32 s8, 0x80
	v_and_or_b32 v4, v2, s8, v3
.LBB7_2169:
	s_or_b64 exec, exec, s[10:11]
.LBB7_2170:
	s_or_b64 exec, exec, s[6:7]
	global_store_byte v[0:1], v4, off
.LBB7_2171:
	s_mov_b64 s[6:7], 0
.LBB7_2172:
	s_and_b64 vcc, exec, s[6:7]
	s_cbranch_vccz .LBB7_2212
; %bb.2173:
	s_cmp_gt_i32 s12, 22
	s_mov_b64 s[4:5], -1
	s_cbranch_scc0 .LBB7_2205
; %bb.2174:
	s_cmp_lt_i32 s12, 24
	s_cbranch_scc1 .LBB7_2194
; %bb.2175:
	s_cmp_gt_i32 s12, 24
	s_cbranch_scc0 .LBB7_2183
; %bb.2176:
	v_cvt_f32_f64_e32 v2, v[12:13]
	s_mov_b32 s4, 0x47800000
	v_mov_b32_e32 v4, 0x80
	v_and_b32_e32 v3, 0x7fffffff, v2
	v_cmp_gt_u32_e32 vcc, s4, v3
	s_and_saveexec_b64 s[4:5], vcc
	s_cbranch_execz .LBB7_2182
; %bb.2177:
	s_mov_b32 s6, 0x37ffffff
	v_cmp_lt_u32_e32 vcc, s6, v3
	s_mov_b64 s[6:7], 0
                                        ; implicit-def: $vgpr3
	s_and_saveexec_b64 s[8:9], vcc
	s_xor_b64 s[8:9], exec, s[8:9]
	s_cbranch_execz .LBB7_2235
; %bb.2178:
	v_bfe_u32 v3, v2, 21, 1
	s_mov_b32 s10, 0x88fffff
	v_add3_u32 v3, v2, v3, s10
	s_mov_b64 s[6:7], exec
	v_lshrrev_b32_e32 v3, 21, v3
	s_andn2_saveexec_b64 s[8:9], s[8:9]
	s_cbranch_execnz .LBB7_2236
.LBB7_2179:
	s_or_b64 exec, exec, s[8:9]
	v_mov_b32_e32 v4, 0
	s_and_saveexec_b64 s[8:9], s[6:7]
.LBB7_2180:
	v_lshrrev_b32_e32 v2, 24, v2
	s_movk_i32 s6, 0x80
	v_and_or_b32 v4, v2, s6, v3
.LBB7_2181:
	s_or_b64 exec, exec, s[8:9]
.LBB7_2182:
	s_or_b64 exec, exec, s[4:5]
	s_mov_b64 s[4:5], 0
	global_store_byte v[0:1], v4, off
.LBB7_2183:
	s_and_b64 vcc, exec, s[4:5]
	s_cbranch_vccz .LBB7_2193
; %bb.2184:
	v_cvt_f32_f64_e32 v2, v[12:13]
	s_mov_b32 s4, 0x43f00000
                                        ; implicit-def: $vgpr3
	v_and_b32_e32 v4, 0x7fffffff, v2
	v_cmp_gt_u32_e32 vcc, s4, v4
	s_and_saveexec_b64 s[4:5], vcc
	s_xor_b64 s[4:5], exec, s[4:5]
	s_cbranch_execz .LBB7_2190
; %bb.2185:
	s_mov_b32 s6, 0x3c7fffff
	v_cmp_lt_u32_e32 vcc, s6, v4
                                        ; implicit-def: $vgpr3
	s_and_saveexec_b64 s[6:7], vcc
	s_xor_b64 s[6:7], exec, s[6:7]
; %bb.2186:
	v_bfe_u32 v3, v2, 20, 1
	s_mov_b32 s8, 0x407ffff
	v_add3_u32 v3, v2, v3, s8
	v_lshrrev_b32_e32 v4, 20, v3
	v_and_b32_e32 v3, 0xff00000, v3
	s_mov_b32 s8, 0x7f00000
	v_mov_b32_e32 v5, 0x7e
	v_cmp_ne_u32_e32 vcc, s8, v3
	v_cndmask_b32_e32 v3, v5, v4, vcc
; %bb.2187:
	s_andn2_saveexec_b64 s[6:7], s[6:7]
; %bb.2188:
	s_mov_b32 s8, 0x46800000
	v_add_f32_e64 v3, |v2|, s8
; %bb.2189:
	s_or_b64 exec, exec, s[6:7]
                                        ; implicit-def: $vgpr4
.LBB7_2190:
	s_andn2_saveexec_b64 s[4:5], s[4:5]
; %bb.2191:
	s_mov_b32 s6, 0x7f800000
	v_mov_b32_e32 v3, 0x7e
	v_mov_b32_e32 v5, 0x7f
	v_cmp_lt_u32_e32 vcc, s6, v4
	v_cndmask_b32_e32 v3, v3, v5, vcc
; %bb.2192:
	s_or_b64 exec, exec, s[4:5]
	v_lshrrev_b32_e32 v2, 24, v2
	s_movk_i32 s4, 0x80
	v_and_or_b32 v2, v2, s4, v3
	global_store_byte v[0:1], v2, off
.LBB7_2193:
	s_mov_b64 s[4:5], 0
.LBB7_2194:
	s_andn2_b64 vcc, exec, s[4:5]
	s_cbranch_vccnz .LBB7_2204
; %bb.2195:
	v_cvt_f32_f64_e32 v2, v[12:13]
	s_mov_b32 s4, 0x47800000
                                        ; implicit-def: $vgpr3
	v_and_b32_e32 v4, 0x7fffffff, v2
	v_cmp_gt_u32_e32 vcc, s4, v4
	s_and_saveexec_b64 s[4:5], vcc
	s_xor_b64 s[4:5], exec, s[4:5]
	s_cbranch_execz .LBB7_2201
; %bb.2196:
	s_mov_b32 s6, 0x387fffff
	v_cmp_lt_u32_e32 vcc, s6, v4
                                        ; implicit-def: $vgpr3
	s_and_saveexec_b64 s[6:7], vcc
	s_xor_b64 s[6:7], exec, s[6:7]
; %bb.2197:
	v_bfe_u32 v3, v2, 21, 1
	s_mov_b32 s8, 0x80fffff
	v_add3_u32 v3, v2, v3, s8
	v_lshrrev_b32_e32 v3, 21, v3
; %bb.2198:
	s_andn2_saveexec_b64 s[6:7], s[6:7]
; %bb.2199:
	s_mov_b32 s8, 0x43000000
	v_add_f32_e64 v3, |v2|, s8
; %bb.2200:
	s_or_b64 exec, exec, s[6:7]
                                        ; implicit-def: $vgpr4
.LBB7_2201:
	s_andn2_saveexec_b64 s[4:5], s[4:5]
; %bb.2202:
	s_mov_b32 s6, 0x7f800000
	v_mov_b32_e32 v3, 0x7c
	v_mov_b32_e32 v5, 0x7f
	v_cmp_lt_u32_e32 vcc, s6, v4
	v_cndmask_b32_e32 v3, v3, v5, vcc
; %bb.2203:
	s_or_b64 exec, exec, s[4:5]
	v_lshrrev_b32_e32 v2, 24, v2
	s_movk_i32 s4, 0x80
	v_and_or_b32 v2, v2, s4, v3
	global_store_byte v[0:1], v2, off
.LBB7_2204:
	s_mov_b64 s[4:5], 0
.LBB7_2205:
	s_andn2_b64 vcc, exec, s[4:5]
	s_mov_b64 s[4:5], 0
	s_cbranch_vccnz .LBB7_2212
; %bb.2206:
	s_cmp_gt_i32 s12, 14
	s_mov_b64 s[6:7], -1
	s_cbranch_scc0 .LBB7_2210
; %bb.2207:
	s_cmp_eq_u32 s12, 15
	s_mov_b64 s[0:1], -1
	s_cbranch_scc0 .LBB7_2209
; %bb.2208:
	v_cvt_f32_f64_e32 v2, v[12:13]
	s_movk_i32 s0, 0x7fff
	v_mov_b32_e32 v3, 0x7fc0
	v_bfe_u32 v4, v2, 16, 1
	v_cmp_o_f32_e32 vcc, v2, v2
	v_add3_u32 v2, v2, v4, s0
	v_cndmask_b32_sdwa v2, v3, v2, vcc dst_sel:DWORD dst_unused:UNUSED_PAD src0_sel:DWORD src1_sel:WORD_1
	global_store_short v[0:1], v2, off
	s_mov_b64 s[0:1], 0
.LBB7_2209:
	s_mov_b64 s[6:7], 0
.LBB7_2210:
	s_and_b64 vcc, exec, s[6:7]
	s_cbranch_vccz .LBB7_2212
; %bb.2211:
	s_cmp_lg_u32 s12, 11
	s_mov_b64 s[4:5], -1
	s_cselect_b64 s[0:1], -1, 0
.LBB7_2212:
	s_and_b64 vcc, exec, s[0:1]
	s_cbranch_vccnz .LBB7_2234
.LBB7_2213:
	s_mov_b64 s[0:1], 0
	s_branch .LBB7_1815
.LBB7_2214:
	s_mov_b64 s[0:1], 0
                                        ; implicit-def: $vgpr0_vgpr1
                                        ; implicit-def: $sgpr14
	s_branch .LBB7_1814
.LBB7_2215:
	s_mov_b64 s[4:5], 0
	s_mov_b64 s[0:1], -1
	s_branch .LBB7_1815
.LBB7_2216:
	s_trap 2
	s_or_b64 s[2:3], s[2:3], exec
	s_cbranch_execz .LBB7_1673
	s_branch .LBB7_1674
.LBB7_2217:
	s_andn2_saveexec_b64 s[12:13], s[12:13]
	s_cbranch_execz .LBB7_1763
.LBB7_2218:
	s_mov_b32 s17, 0x46000000
	v_add_f32_e64 v3, |v2|, s17
	v_and_b32_e32 v3, 0xff, v3
	v_cmp_ne_u32_e32 vcc, 0, v3
	s_andn2_b64 s[10:11], s[10:11], exec
	s_and_b64 s[18:19], vcc, exec
	s_or_b64 s[10:11], s[10:11], s[18:19]
	s_or_b64 exec, exec, s[12:13]
	v_mov_b32_e32 v7, 0
	s_and_saveexec_b64 s[12:13], s[10:11]
	s_cbranch_execnz .LBB7_1764
	s_branch .LBB7_1765
.LBB7_2219:
	s_trap 2
	s_or_b64 s[2:3], s[2:3], exec
	s_cbranch_execz .LBB7_1811
	s_branch .LBB7_1812
.LBB7_2220:
	s_andn2_saveexec_b64 s[10:11], s[10:11]
	s_cbranch_execz .LBB7_1776
.LBB7_2221:
	s_mov_b32 s12, 0x42800000
	v_add_f32_e64 v3, |v2|, s12
	v_and_b32_e32 v3, 0xff, v3
	v_cmp_ne_u32_e32 vcc, 0, v3
	s_andn2_b64 s[6:7], s[6:7], exec
	s_and_b64 s[12:13], vcc, exec
	s_or_b64 s[6:7], s[6:7], s[12:13]
	s_or_b64 exec, exec, s[10:11]
	v_mov_b32_e32 v7, 0
	s_and_saveexec_b64 s[10:11], s[6:7]
	s_cbranch_execnz .LBB7_1777
	s_branch .LBB7_1778
.LBB7_2222:
	s_andn2_saveexec_b64 s[12:13], s[12:13]
	s_cbranch_execz .LBB7_1928
.LBB7_2223:
	s_mov_b32 s16, 0x46000000
	v_add_f32_e64 v3, |v2|, s16
	v_and_b32_e32 v3, 0xff, v3
	v_cmp_ne_u32_e32 vcc, 0, v3
	s_andn2_b64 s[10:11], s[10:11], exec
	s_and_b64 s[16:17], vcc, exec
	s_or_b64 s[10:11], s[10:11], s[16:17]
	s_or_b64 exec, exec, s[12:13]
	v_mov_b32_e32 v6, 0
	s_and_saveexec_b64 s[12:13], s[10:11]
	s_cbranch_execnz .LBB7_1929
	s_branch .LBB7_1930
.LBB7_2224:
	s_trap 2
	s_or_b64 s[2:3], s[2:3], exec
	s_cbranch_execz .LBB7_1976
	s_branch .LBB7_1977
.LBB7_2225:
	s_andn2_saveexec_b64 s[10:11], s[10:11]
	s_cbranch_execz .LBB7_1941
.LBB7_2226:
	s_mov_b32 s12, 0x42800000
	v_add_f32_e64 v3, |v2|, s12
	v_and_b32_e32 v3, 0xff, v3
	v_cmp_ne_u32_e32 vcc, 0, v3
	s_andn2_b64 s[6:7], s[6:7], exec
	s_and_b64 s[12:13], vcc, exec
	s_or_b64 s[6:7], s[6:7], s[12:13]
	s_or_b64 exec, exec, s[10:11]
	v_mov_b32_e32 v6, 0
	s_and_saveexec_b64 s[10:11], s[6:7]
	s_cbranch_execnz .LBB7_1942
	s_branch .LBB7_1943
.LBB7_2227:
	s_andn2_saveexec_b64 s[12:13], s[12:13]
	s_cbranch_execz .LBB7_2047
.LBB7_2228:
	s_mov_b32 s16, 0x46000000
	v_add_f32_e64 v3, |v2|, s16
	v_and_b32_e32 v3, 0xff, v3
	v_cmp_ne_u32_e32 vcc, 0, v3
	s_andn2_b64 s[10:11], s[10:11], exec
	s_and_b64 s[16:17], vcc, exec
	s_or_b64 s[10:11], s[10:11], s[16:17]
	s_or_b64 exec, exec, s[12:13]
	v_mov_b32_e32 v4, 0
	s_and_saveexec_b64 s[12:13], s[10:11]
	s_cbranch_execnz .LBB7_2048
	s_branch .LBB7_2049
.LBB7_2229:
	s_trap 2
	s_or_b64 s[2:3], s[2:3], exec
	s_cbranch_execz .LBB7_2095
	s_branch .LBB7_2096
.LBB7_2230:
	s_andn2_saveexec_b64 s[10:11], s[10:11]
	s_cbranch_execz .LBB7_2060
.LBB7_2231:
	s_mov_b32 s12, 0x42800000
	v_add_f32_e64 v3, |v2|, s12
	v_and_b32_e32 v3, 0xff, v3
	v_cmp_ne_u32_e32 vcc, 0, v3
	s_andn2_b64 s[6:7], s[6:7], exec
	s_and_b64 s[12:13], vcc, exec
	s_or_b64 s[6:7], s[6:7], s[12:13]
	s_or_b64 exec, exec, s[10:11]
	v_mov_b32_e32 v4, 0
	s_and_saveexec_b64 s[10:11], s[6:7]
	s_cbranch_execnz .LBB7_2061
	s_branch .LBB7_2062
.LBB7_2232:
	s_andn2_saveexec_b64 s[10:11], s[10:11]
	s_cbranch_execz .LBB7_2167
.LBB7_2233:
	s_mov_b32 s13, 0x46000000
	v_add_f32_e64 v3, |v2|, s13
	v_and_b32_e32 v3, 0xff, v3
	v_cmp_ne_u32_e32 vcc, 0, v3
	s_andn2_b64 s[8:9], s[8:9], exec
	s_and_b64 s[16:17], vcc, exec
	s_or_b64 s[8:9], s[8:9], s[16:17]
	s_or_b64 exec, exec, s[10:11]
	v_mov_b32_e32 v4, 0
	s_and_saveexec_b64 s[10:11], s[8:9]
	s_cbranch_execnz .LBB7_2168
	s_branch .LBB7_2169
.LBB7_2234:
	s_mov_b64 s[4:5], 0
	s_or_b64 s[2:3], s[2:3], exec
	s_trap 2
	s_branch .LBB7_2213
.LBB7_2235:
	s_andn2_saveexec_b64 s[8:9], s[8:9]
	s_cbranch_execz .LBB7_2179
.LBB7_2236:
	s_mov_b32 s10, 0x42800000
	v_add_f32_e64 v3, |v2|, s10
	v_and_b32_e32 v3, 0xff, v3
	v_cmp_ne_u32_e32 vcc, 0, v3
	s_andn2_b64 s[6:7], s[6:7], exec
	s_and_b64 s[10:11], vcc, exec
	s_or_b64 s[6:7], s[6:7], s[10:11]
	s_or_b64 exec, exec, s[8:9]
	v_mov_b32_e32 v4, 0
	s_and_saveexec_b64 s[8:9], s[6:7]
	s_cbranch_execnz .LBB7_2180
	s_branch .LBB7_2181
	.section	.rodata,"a",@progbits
	.p2align	6, 0x0
	.amdhsa_kernel _ZN2at6native32elementwise_kernel_manual_unrollILi128ELi4EZNS0_15gpu_kernel_implIZZZNS0_12_GLOBAL__N_131spherical_bessel_j0_kernel_cudaERNS_18TensorIteratorBaseEENKUlvE_clEvENKUlvE_clEvEUldE_EEvS5_RKT_EUlibE0_EEviT1_
		.amdhsa_group_segment_fixed_size 0
		.amdhsa_private_segment_fixed_size 0
		.amdhsa_kernarg_size 360
		.amdhsa_user_sgpr_count 6
		.amdhsa_user_sgpr_private_segment_buffer 1
		.amdhsa_user_sgpr_dispatch_ptr 0
		.amdhsa_user_sgpr_queue_ptr 0
		.amdhsa_user_sgpr_kernarg_segment_ptr 1
		.amdhsa_user_sgpr_dispatch_id 0
		.amdhsa_user_sgpr_flat_scratch_init 0
		.amdhsa_user_sgpr_private_segment_size 0
		.amdhsa_uses_dynamic_stack 0
		.amdhsa_system_sgpr_private_segment_wavefront_offset 0
		.amdhsa_system_sgpr_workgroup_id_x 1
		.amdhsa_system_sgpr_workgroup_id_y 0
		.amdhsa_system_sgpr_workgroup_id_z 0
		.amdhsa_system_sgpr_workgroup_info 0
		.amdhsa_system_vgpr_workitem_id 0
		.amdhsa_next_free_vgpr 47
		.amdhsa_next_free_sgpr 78
		.amdhsa_reserve_vcc 1
		.amdhsa_reserve_flat_scratch 0
		.amdhsa_float_round_mode_32 0
		.amdhsa_float_round_mode_16_64 0
		.amdhsa_float_denorm_mode_32 3
		.amdhsa_float_denorm_mode_16_64 3
		.amdhsa_dx10_clamp 1
		.amdhsa_ieee_mode 1
		.amdhsa_fp16_overflow 0
		.amdhsa_exception_fp_ieee_invalid_op 0
		.amdhsa_exception_fp_denorm_src 0
		.amdhsa_exception_fp_ieee_div_zero 0
		.amdhsa_exception_fp_ieee_overflow 0
		.amdhsa_exception_fp_ieee_underflow 0
		.amdhsa_exception_fp_ieee_inexact 0
		.amdhsa_exception_int_div_zero 0
	.end_amdhsa_kernel
	.section	.text._ZN2at6native32elementwise_kernel_manual_unrollILi128ELi4EZNS0_15gpu_kernel_implIZZZNS0_12_GLOBAL__N_131spherical_bessel_j0_kernel_cudaERNS_18TensorIteratorBaseEENKUlvE_clEvENKUlvE_clEvEUldE_EEvS5_RKT_EUlibE0_EEviT1_,"axG",@progbits,_ZN2at6native32elementwise_kernel_manual_unrollILi128ELi4EZNS0_15gpu_kernel_implIZZZNS0_12_GLOBAL__N_131spherical_bessel_j0_kernel_cudaERNS_18TensorIteratorBaseEENKUlvE_clEvENKUlvE_clEvEUldE_EEvS5_RKT_EUlibE0_EEviT1_,comdat
.Lfunc_end7:
	.size	_ZN2at6native32elementwise_kernel_manual_unrollILi128ELi4EZNS0_15gpu_kernel_implIZZZNS0_12_GLOBAL__N_131spherical_bessel_j0_kernel_cudaERNS_18TensorIteratorBaseEENKUlvE_clEvENKUlvE_clEvEUldE_EEvS5_RKT_EUlibE0_EEviT1_, .Lfunc_end7-_ZN2at6native32elementwise_kernel_manual_unrollILi128ELi4EZNS0_15gpu_kernel_implIZZZNS0_12_GLOBAL__N_131spherical_bessel_j0_kernel_cudaERNS_18TensorIteratorBaseEENKUlvE_clEvENKUlvE_clEvEUldE_EEvS5_RKT_EUlibE0_EEviT1_
                                        ; -- End function
	.set _ZN2at6native32elementwise_kernel_manual_unrollILi128ELi4EZNS0_15gpu_kernel_implIZZZNS0_12_GLOBAL__N_131spherical_bessel_j0_kernel_cudaERNS_18TensorIteratorBaseEENKUlvE_clEvENKUlvE_clEvEUldE_EEvS5_RKT_EUlibE0_EEviT1_.num_vgpr, 47
	.set _ZN2at6native32elementwise_kernel_manual_unrollILi128ELi4EZNS0_15gpu_kernel_implIZZZNS0_12_GLOBAL__N_131spherical_bessel_j0_kernel_cudaERNS_18TensorIteratorBaseEENKUlvE_clEvENKUlvE_clEvEUldE_EEvS5_RKT_EUlibE0_EEviT1_.num_agpr, 0
	.set _ZN2at6native32elementwise_kernel_manual_unrollILi128ELi4EZNS0_15gpu_kernel_implIZZZNS0_12_GLOBAL__N_131spherical_bessel_j0_kernel_cudaERNS_18TensorIteratorBaseEENKUlvE_clEvENKUlvE_clEvEUldE_EEvS5_RKT_EUlibE0_EEviT1_.numbered_sgpr, 78
	.set _ZN2at6native32elementwise_kernel_manual_unrollILi128ELi4EZNS0_15gpu_kernel_implIZZZNS0_12_GLOBAL__N_131spherical_bessel_j0_kernel_cudaERNS_18TensorIteratorBaseEENKUlvE_clEvENKUlvE_clEvEUldE_EEvS5_RKT_EUlibE0_EEviT1_.num_named_barrier, 0
	.set _ZN2at6native32elementwise_kernel_manual_unrollILi128ELi4EZNS0_15gpu_kernel_implIZZZNS0_12_GLOBAL__N_131spherical_bessel_j0_kernel_cudaERNS_18TensorIteratorBaseEENKUlvE_clEvENKUlvE_clEvEUldE_EEvS5_RKT_EUlibE0_EEviT1_.private_seg_size, 0
	.set _ZN2at6native32elementwise_kernel_manual_unrollILi128ELi4EZNS0_15gpu_kernel_implIZZZNS0_12_GLOBAL__N_131spherical_bessel_j0_kernel_cudaERNS_18TensorIteratorBaseEENKUlvE_clEvENKUlvE_clEvEUldE_EEvS5_RKT_EUlibE0_EEviT1_.uses_vcc, 1
	.set _ZN2at6native32elementwise_kernel_manual_unrollILi128ELi4EZNS0_15gpu_kernel_implIZZZNS0_12_GLOBAL__N_131spherical_bessel_j0_kernel_cudaERNS_18TensorIteratorBaseEENKUlvE_clEvENKUlvE_clEvEUldE_EEvS5_RKT_EUlibE0_EEviT1_.uses_flat_scratch, 0
	.set _ZN2at6native32elementwise_kernel_manual_unrollILi128ELi4EZNS0_15gpu_kernel_implIZZZNS0_12_GLOBAL__N_131spherical_bessel_j0_kernel_cudaERNS_18TensorIteratorBaseEENKUlvE_clEvENKUlvE_clEvEUldE_EEvS5_RKT_EUlibE0_EEviT1_.has_dyn_sized_stack, 0
	.set _ZN2at6native32elementwise_kernel_manual_unrollILi128ELi4EZNS0_15gpu_kernel_implIZZZNS0_12_GLOBAL__N_131spherical_bessel_j0_kernel_cudaERNS_18TensorIteratorBaseEENKUlvE_clEvENKUlvE_clEvEUldE_EEvS5_RKT_EUlibE0_EEviT1_.has_recursion, 0
	.set _ZN2at6native32elementwise_kernel_manual_unrollILi128ELi4EZNS0_15gpu_kernel_implIZZZNS0_12_GLOBAL__N_131spherical_bessel_j0_kernel_cudaERNS_18TensorIteratorBaseEENKUlvE_clEvENKUlvE_clEvEUldE_EEvS5_RKT_EUlibE0_EEviT1_.has_indirect_call, 0
	.section	.AMDGPU.csdata,"",@progbits
; Kernel info:
; codeLenInByte = 53720
; TotalNumSgprs: 82
; NumVgprs: 47
; ScratchSize: 0
; MemoryBound: 1
; FloatMode: 240
; IeeeMode: 1
; LDSByteSize: 0 bytes/workgroup (compile time only)
; SGPRBlocks: 10
; VGPRBlocks: 11
; NumSGPRsForWavesPerEU: 82
; NumVGPRsForWavesPerEU: 47
; Occupancy: 5
; WaveLimiterHint : 1
; COMPUTE_PGM_RSRC2:SCRATCH_EN: 0
; COMPUTE_PGM_RSRC2:USER_SGPR: 6
; COMPUTE_PGM_RSRC2:TRAP_HANDLER: 0
; COMPUTE_PGM_RSRC2:TGID_X_EN: 1
; COMPUTE_PGM_RSRC2:TGID_Y_EN: 0
; COMPUTE_PGM_RSRC2:TGID_Z_EN: 0
; COMPUTE_PGM_RSRC2:TIDIG_COMP_CNT: 0
	.section	.text._ZN2at6native29vectorized_elementwise_kernelILi16EZZZNS0_12_GLOBAL__N_131spherical_bessel_j0_kernel_cudaERNS_18TensorIteratorBaseEENKUlvE_clEvENKUlvE0_clEvEUlfE_St5arrayIPcLm2EEEEviT0_T1_,"axG",@progbits,_ZN2at6native29vectorized_elementwise_kernelILi16EZZZNS0_12_GLOBAL__N_131spherical_bessel_j0_kernel_cudaERNS_18TensorIteratorBaseEENKUlvE_clEvENKUlvE0_clEvEUlfE_St5arrayIPcLm2EEEEviT0_T1_,comdat
	.globl	_ZN2at6native29vectorized_elementwise_kernelILi16EZZZNS0_12_GLOBAL__N_131spherical_bessel_j0_kernel_cudaERNS_18TensorIteratorBaseEENKUlvE_clEvENKUlvE0_clEvEUlfE_St5arrayIPcLm2EEEEviT0_T1_ ; -- Begin function _ZN2at6native29vectorized_elementwise_kernelILi16EZZZNS0_12_GLOBAL__N_131spherical_bessel_j0_kernel_cudaERNS_18TensorIteratorBaseEENKUlvE_clEvENKUlvE0_clEvEUlfE_St5arrayIPcLm2EEEEviT0_T1_
	.p2align	8
	.type	_ZN2at6native29vectorized_elementwise_kernelILi16EZZZNS0_12_GLOBAL__N_131spherical_bessel_j0_kernel_cudaERNS_18TensorIteratorBaseEENKUlvE_clEvENKUlvE0_clEvEUlfE_St5arrayIPcLm2EEEEviT0_T1_,@function
_ZN2at6native29vectorized_elementwise_kernelILi16EZZZNS0_12_GLOBAL__N_131spherical_bessel_j0_kernel_cudaERNS_18TensorIteratorBaseEENKUlvE_clEvENKUlvE0_clEvEUlfE_St5arrayIPcLm2EEEEviT0_T1_: ; @_ZN2at6native29vectorized_elementwise_kernelILi16EZZZNS0_12_GLOBAL__N_131spherical_bessel_j0_kernel_cudaERNS_18TensorIteratorBaseEENKUlvE_clEvENKUlvE0_clEvEUlfE_St5arrayIPcLm2EEEEviT0_T1_
; %bb.0:
	s_load_dword s0, s[4:5], 0x0
	s_load_dwordx4 s[8:11], s[4:5], 0x8
	s_lshl_b32 s12, s6, 10
	s_waitcnt lgkmcnt(0)
	s_sub_i32 s20, s0, s12
	s_cmpk_gt_i32 s20, 0x3ff
	s_mov_b64 s[0:1], -1
	s_cbranch_scc0 .LBB8_42
; %bb.1:
	s_ashr_i32 s13, s12, 31
	s_lshl_b64 s[6:7], s[12:13], 2
	s_add_u32 s0, s10, s6
	s_addc_u32 s1, s11, s7
	v_lshlrev_b32_e32 v9, 4, v0
	global_load_dwordx4 v[5:8], v9, s[0:1]
	s_mov_b32 s13, 0x7f800000
	v_mov_b32_e32 v2, 0
	v_mov_b32_e32 v1, 0
	s_waitcnt vmcnt(0)
	v_cmp_neq_f32_e64 s[0:1], |v5|, s13
	s_and_saveexec_b64 s[14:15], s[0:1]
	s_cbranch_execz .LBB8_11
; %bb.2:
	v_cmp_nlt_f32_e64 s[0:1], |v5|, 0.5
	s_and_saveexec_b64 s[2:3], s[0:1]
	s_xor_b64 s[16:17], exec, s[2:3]
	s_cbranch_execz .LBB8_8
; %bb.3:
	s_brev_b32 s0, 18
	v_and_b32_e32 v1, 0x7fffffff, v5
	v_cmp_nlt_f32_e64 s[0:1], |v5|, s0
                                        ; implicit-def: $vgpr3
                                        ; implicit-def: $vgpr4
	s_and_saveexec_b64 s[2:3], s[0:1]
	s_xor_b64 s[18:19], exec, s[2:3]
	s_cbranch_execz .LBB8_5
; %bb.4:
	v_and_b32_e32 v3, 0x7fffff, v1
	v_or_b32_e32 v18, 0x800000, v3
	s_mov_b32 s0, 0xfe5163ab
	v_mad_u64_u32 v[3:4], s[0:1], v18, s0, 0
	v_mov_b32_e32 v11, 0
	s_mov_b32 s0, 0x3c439041
	v_mov_b32_e32 v10, v4
	v_mad_u64_u32 v[12:13], s[0:1], v18, s0, v[10:11]
	s_mov_b32 s0, 0xdb629599
	v_lshrrev_b32_e32 v4, 23, v1
	v_mov_b32_e32 v10, v13
	v_mad_u64_u32 v[13:14], s[0:1], v18, s0, v[10:11]
	s_mov_b32 s0, 0xf534ddc0
	v_add_u32_e32 v4, 0xffffff88, v4
	v_mov_b32_e32 v10, v14
	v_mad_u64_u32 v[14:15], s[0:1], v18, s0, v[10:11]
	s_mov_b32 s0, 0xfc2757d1
	v_not_b32_e32 v17, 63
	v_mov_b32_e32 v10, v15
	v_mad_u64_u32 v[15:16], s[0:1], v18, s0, v[10:11]
	v_cmp_lt_u32_e32 vcc, 63, v4
	v_cndmask_b32_e32 v10, 0, v17, vcc
	v_add_u32_e32 v4, v10, v4
	v_mov_b32_e32 v10, v16
	s_mov_b32 s0, 0x4e441529
	v_mad_u64_u32 v[16:17], s[0:1], v18, s0, v[10:11]
	v_not_b32_e32 v19, 31
	v_cmp_lt_u32_e64 s[0:1], 31, v4
	v_cndmask_b32_e64 v10, 0, v19, s[0:1]
	v_add_u32_e32 v4, v10, v4
	v_mov_b32_e32 v10, v17
	s_mov_b32 s2, 0xa2f9836e
	v_mad_u64_u32 v[10:11], s[2:3], v18, s2, v[10:11]
	v_cmp_lt_u32_e64 s[2:3], 31, v4
	v_cndmask_b32_e64 v17, 0, v19, s[2:3]
	v_add_u32_e32 v4, v17, v4
	v_cndmask_b32_e32 v17, v16, v14, vcc
	v_cndmask_b32_e32 v10, v10, v15, vcc
	;; [unrolled: 1-line block ×3, first 2 shown]
	v_cndmask_b32_e64 v18, v10, v17, s[0:1]
	v_cndmask_b32_e64 v10, v11, v10, s[0:1]
	v_cndmask_b32_e32 v11, v15, v13, vcc
	v_cndmask_b32_e64 v15, v17, v11, s[0:1]
	v_sub_u32_e32 v17, 32, v4
	v_cmp_eq_u32_e64 s[4:5], 0, v4
	v_cndmask_b32_e32 v4, v14, v12, vcc
	v_cndmask_b32_e64 v10, v10, v18, s[2:3]
	v_cndmask_b32_e64 v16, v18, v15, s[2:3]
	;; [unrolled: 1-line block ×3, first 2 shown]
	v_alignbit_b32 v18, v10, v16, v17
	v_cndmask_b32_e64 v12, v15, v11, s[2:3]
	v_cndmask_b32_e64 v10, v18, v10, s[4:5]
	v_alignbit_b32 v14, v16, v12, v17
	v_cndmask_b32_e32 v3, v13, v3, vcc
	v_cndmask_b32_e64 v14, v14, v16, s[4:5]
	v_bfe_u32 v18, v10, 29, 1
	v_cndmask_b32_e64 v3, v4, v3, s[0:1]
	v_alignbit_b32 v15, v10, v14, 30
	v_sub_u32_e32 v19, 0, v18
	v_cndmask_b32_e64 v3, v11, v3, s[2:3]
	v_xor_b32_e32 v15, v15, v19
	v_alignbit_b32 v4, v12, v3, v17
	v_cndmask_b32_e64 v4, v4, v12, s[4:5]
	v_ffbh_u32_e32 v12, v15
	v_alignbit_b32 v11, v14, v4, 30
	v_min_u32_e32 v12, 32, v12
	v_alignbit_b32 v3, v4, v3, 30
	v_xor_b32_e32 v11, v11, v19
	v_sub_u32_e32 v13, 31, v12
	v_xor_b32_e32 v3, v3, v19
	v_alignbit_b32 v14, v15, v11, v13
	v_alignbit_b32 v3, v11, v3, v13
	;; [unrolled: 1-line block ×3, first 2 shown]
	v_ffbh_u32_e32 v11, v4
	v_min_u32_e32 v11, 32, v11
	v_lshrrev_b32_e32 v16, 29, v10
	v_not_b32_e32 v13, v11
	v_alignbit_b32 v3, v4, v3, v13
	v_lshlrev_b32_e32 v4, 31, v16
	v_or_b32_e32 v13, 0x33000000, v4
	v_add_lshl_u32 v11, v11, v12, 23
	v_lshrrev_b32_e32 v3, 9, v3
	v_sub_u32_e32 v11, v13, v11
	v_or_b32_e32 v4, 0.5, v4
	v_lshlrev_b32_e32 v12, 23, v12
	v_or_b32_e32 v3, v11, v3
	v_lshrrev_b32_e32 v11, 9, v14
	v_sub_u32_e32 v4, v4, v12
	v_or_b32_e32 v4, v11, v4
	s_mov_b32 s0, 0x3fc90fda
	v_mul_f32_e32 v11, 0x3fc90fda, v4
	v_fma_f32 v12, v4, s0, -v11
	v_fmac_f32_e32 v12, 0x33a22168, v4
	v_fmac_f32_e32 v12, 0x3fc90fda, v3
	v_lshrrev_b32_e32 v3, 30, v10
	v_add_f32_e32 v4, v11, v12
	v_add_u32_e32 v3, v18, v3
.LBB8_5:
	s_andn2_saveexec_b64 s[0:1], s[18:19]
	s_cbranch_execz .LBB8_7
; %bb.6:
	s_mov_b32 s2, 0x3f22f983
	v_mul_f32_e64 v3, |v5|, s2
	v_rndne_f32_e32 v10, v3
	s_mov_b32 s2, 0xbfc90fda
	v_cvt_i32_f32_e32 v3, v10
	v_fma_f32 v4, v10, s2, |v5|
	v_fmac_f32_e32 v4, 0xb3a22168, v10
	v_fmac_f32_e32 v4, 0xa7c234c4, v10
.LBB8_7:
	s_or_b64 exec, exec, s[0:1]
	v_mul_f32_e32 v10, v4, v4
	v_mov_b32_e32 v11, 0x3c0881c4
	v_fmac_f32_e32 v11, 0xb94c1982, v10
	v_mov_b32_e32 v12, 0xbe2aaa9d
	v_fmac_f32_e32 v12, v10, v11
	v_mul_f32_e32 v11, v10, v12
	v_fmac_f32_e32 v4, v4, v11
	v_mov_b32_e32 v11, 0xbab64f3b
	v_fmac_f32_e32 v11, 0x37d75334, v10
	v_mov_b32_e32 v12, 0x3d2aabf7
	;; [unrolled: 2-line block ×3, first 2 shown]
	v_fmac_f32_e32 v11, v10, v12
	v_fma_f32 v10, v10, v11, 1.0
	v_and_b32_e32 v11, 1, v3
	v_lshlrev_b32_e32 v3, 30, v3
	v_cmp_eq_u32_e32 vcc, 0, v11
	v_and_b32_e32 v3, 0x80000000, v3
	v_xor_b32_e32 v1, v1, v5
	v_cndmask_b32_e32 v4, v10, v4, vcc
	v_xor_b32_e32 v1, v1, v3
	s_movk_i32 s0, 0x1f8
	v_xor_b32_e32 v1, v1, v4
	v_mov_b32_e32 v3, 0x7fc00000
	v_cmp_class_f32_e64 vcc, v5, s0
	v_cndmask_b32_e32 v1, v3, v1, vcc
	v_div_scale_f32 v3, s[0:1], v5, v5, v1
	v_div_scale_f32 v4, vcc, v1, v5, v1
	v_rcp_f32_e32 v10, v3
	v_fma_f32 v11, -v3, v10, 1.0
	v_fmac_f32_e32 v10, v11, v10
	v_mul_f32_e32 v11, v4, v10
	v_fma_f32 v12, -v3, v11, v4
	v_fmac_f32_e32 v11, v12, v10
	v_fma_f32 v3, -v3, v11, v4
	v_div_fmas_f32 v3, v3, v10, v11
	v_div_fixup_f32 v1, v3, v5, v1
.LBB8_8:
	s_andn2_saveexec_b64 s[0:1], s[16:17]
	s_cbranch_execz .LBB8_10
; %bb.9:
	v_mul_f32_e32 v1, v5, v5
	v_mov_b32_e32 v3, 0xb2d7322b
	v_fmac_f32_e32 v3, 0x2f309231, v1
	v_mov_b32_e32 v4, 0x3638ef1d
	v_fmac_f32_e32 v4, v1, v3
	;; [unrolled: 2-line block ×5, first 2 shown]
	v_fma_f32 v1, v1, v3, 1.0
.LBB8_10:
	s_or_b64 exec, exec, s[0:1]
.LBB8_11:
	s_or_b64 exec, exec, s[14:15]
	v_cmp_neq_f32_e64 s[0:1], |v6|, s13
	s_and_saveexec_b64 s[14:15], s[0:1]
	s_cbranch_execz .LBB8_21
; %bb.12:
	v_cmp_nlt_f32_e64 s[0:1], |v6|, 0.5
	s_and_saveexec_b64 s[2:3], s[0:1]
	s_xor_b64 s[16:17], exec, s[2:3]
	s_cbranch_execz .LBB8_18
; %bb.13:
	s_brev_b32 s0, 18
	v_and_b32_e32 v2, 0x7fffffff, v6
	v_cmp_nlt_f32_e64 s[0:1], |v6|, s0
                                        ; implicit-def: $vgpr3
                                        ; implicit-def: $vgpr4
	s_and_saveexec_b64 s[2:3], s[0:1]
	s_xor_b64 s[18:19], exec, s[2:3]
	s_cbranch_execz .LBB8_15
; %bb.14:
	v_and_b32_e32 v3, 0x7fffff, v2
	v_or_b32_e32 v16, 0x800000, v3
	s_mov_b32 s0, 0xfe5163ab
	v_mad_u64_u32 v[3:4], s[0:1], v16, s0, 0
	v_mov_b32_e32 v5, 0
	s_mov_b32 s0, 0x3c439041
	v_mad_u64_u32 v[10:11], s[0:1], v16, s0, v[4:5]
	s_mov_b32 s0, 0xdb629599
	v_not_b32_e32 v15, 63
	v_mov_b32_e32 v4, v11
	v_mad_u64_u32 v[11:12], s[0:1], v16, s0, v[4:5]
	s_mov_b32 s0, 0xf534ddc0
	v_not_b32_e32 v18, 31
	v_mov_b32_e32 v4, v12
	v_mad_u64_u32 v[12:13], s[0:1], v16, s0, v[4:5]
	v_lshrrev_b32_e32 v4, 23, v2
	v_add_u32_e32 v17, 0xffffff88, v4
	v_mov_b32_e32 v4, v13
	s_mov_b32 s0, 0xfc2757d1
	v_mad_u64_u32 v[13:14], s[0:1], v16, s0, v[4:5]
	v_cmp_lt_u32_e32 vcc, 63, v17
	v_cndmask_b32_e32 v4, 0, v15, vcc
	v_add_u32_e32 v17, v4, v17
	v_mov_b32_e32 v4, v14
	s_mov_b32 s0, 0x4e441529
	v_mad_u64_u32 v[14:15], s[0:1], v16, s0, v[4:5]
	v_cmp_lt_u32_e64 s[0:1], 31, v17
	v_cndmask_b32_e64 v4, 0, v18, s[0:1]
	v_add_u32_e32 v17, v4, v17
	v_mov_b32_e32 v4, v15
	s_mov_b32 s2, 0xa2f9836e
	v_mad_u64_u32 v[4:5], s[2:3], v16, s2, v[4:5]
	v_cmp_lt_u32_e64 s[2:3], 31, v17
	v_cndmask_b32_e64 v15, 0, v18, s[2:3]
	v_cndmask_b32_e32 v16, v14, v12, vcc
	v_cndmask_b32_e32 v4, v4, v13, vcc
	;; [unrolled: 1-line block ×3, first 2 shown]
	v_add_u32_e32 v15, v15, v17
	v_cndmask_b32_e64 v17, v4, v16, s[0:1]
	v_cndmask_b32_e64 v4, v5, v4, s[0:1]
	v_cndmask_b32_e32 v5, v13, v11, vcc
	v_cndmask_b32_e64 v13, v16, v5, s[0:1]
	v_cndmask_b32_e64 v4, v4, v17, s[2:3]
	;; [unrolled: 1-line block ×3, first 2 shown]
	v_sub_u32_e32 v16, 32, v15
	v_alignbit_b32 v17, v4, v14, v16
	v_cmp_eq_u32_e64 s[4:5], 0, v15
	v_cndmask_b32_e64 v15, v17, v4, s[4:5]
	v_cndmask_b32_e32 v4, v12, v10, vcc
	v_cndmask_b32_e64 v5, v5, v4, s[0:1]
	v_cndmask_b32_e64 v10, v13, v5, s[2:3]
	v_alignbit_b32 v12, v14, v10, v16
	v_cndmask_b32_e32 v3, v11, v3, vcc
	v_cndmask_b32_e64 v12, v12, v14, s[4:5]
	v_bfe_u32 v17, v15, 29, 1
	v_cndmask_b32_e64 v3, v4, v3, s[0:1]
	v_alignbit_b32 v13, v15, v12, 30
	v_sub_u32_e32 v18, 0, v17
	v_cndmask_b32_e64 v3, v5, v3, s[2:3]
	v_xor_b32_e32 v13, v13, v18
	v_alignbit_b32 v4, v10, v3, v16
	v_cndmask_b32_e64 v4, v4, v10, s[4:5]
	v_ffbh_u32_e32 v10, v13
	v_alignbit_b32 v5, v12, v4, 30
	v_min_u32_e32 v10, 32, v10
	v_alignbit_b32 v3, v4, v3, 30
	v_xor_b32_e32 v5, v5, v18
	v_sub_u32_e32 v11, 31, v10
	v_xor_b32_e32 v3, v3, v18
	v_alignbit_b32 v12, v13, v5, v11
	v_alignbit_b32 v3, v5, v3, v11
	;; [unrolled: 1-line block ×3, first 2 shown]
	v_ffbh_u32_e32 v5, v4
	v_min_u32_e32 v5, 32, v5
	v_lshrrev_b32_e32 v14, 29, v15
	v_not_b32_e32 v11, v5
	v_alignbit_b32 v3, v4, v3, v11
	v_lshlrev_b32_e32 v4, 31, v14
	v_or_b32_e32 v11, 0x33000000, v4
	v_add_lshl_u32 v5, v5, v10, 23
	v_lshrrev_b32_e32 v3, 9, v3
	v_sub_u32_e32 v5, v11, v5
	v_or_b32_e32 v4, 0.5, v4
	v_lshlrev_b32_e32 v10, 23, v10
	v_or_b32_e32 v3, v5, v3
	v_lshrrev_b32_e32 v5, 9, v12
	v_sub_u32_e32 v4, v4, v10
	v_or_b32_e32 v4, v5, v4
	s_mov_b32 s0, 0x3fc90fda
	v_mul_f32_e32 v5, 0x3fc90fda, v4
	v_fma_f32 v10, v4, s0, -v5
	v_fmac_f32_e32 v10, 0x33a22168, v4
	v_fmac_f32_e32 v10, 0x3fc90fda, v3
	v_lshrrev_b32_e32 v3, 30, v15
	v_add_f32_e32 v4, v5, v10
	v_add_u32_e32 v3, v17, v3
.LBB8_15:
	s_andn2_saveexec_b64 s[0:1], s[18:19]
	s_cbranch_execz .LBB8_17
; %bb.16:
	s_mov_b32 s2, 0x3f22f983
	v_mul_f32_e64 v3, |v6|, s2
	v_rndne_f32_e32 v5, v3
	s_mov_b32 s2, 0xbfc90fda
	v_cvt_i32_f32_e32 v3, v5
	v_fma_f32 v4, v5, s2, |v6|
	v_fmac_f32_e32 v4, 0xb3a22168, v5
	v_fmac_f32_e32 v4, 0xa7c234c4, v5
.LBB8_17:
	s_or_b64 exec, exec, s[0:1]
	v_mul_f32_e32 v5, v4, v4
	v_mov_b32_e32 v10, 0x3c0881c4
	v_fmac_f32_e32 v10, 0xb94c1982, v5
	v_mov_b32_e32 v11, 0xbe2aaa9d
	v_fmac_f32_e32 v11, v5, v10
	v_mul_f32_e32 v10, v5, v11
	v_fmac_f32_e32 v4, v4, v10
	v_mov_b32_e32 v10, 0xbab64f3b
	v_fmac_f32_e32 v10, 0x37d75334, v5
	v_mov_b32_e32 v11, 0x3d2aabf7
	;; [unrolled: 2-line block ×3, first 2 shown]
	v_fmac_f32_e32 v10, v5, v11
	v_fma_f32 v5, v5, v10, 1.0
	v_and_b32_e32 v10, 1, v3
	v_lshlrev_b32_e32 v3, 30, v3
	v_cmp_eq_u32_e32 vcc, 0, v10
	v_and_b32_e32 v3, 0x80000000, v3
	v_xor_b32_e32 v2, v2, v6
	v_cndmask_b32_e32 v4, v5, v4, vcc
	v_xor_b32_e32 v2, v2, v3
	s_movk_i32 s0, 0x1f8
	v_xor_b32_e32 v2, v2, v4
	v_mov_b32_e32 v3, 0x7fc00000
	v_cmp_class_f32_e64 vcc, v6, s0
	v_cndmask_b32_e32 v2, v3, v2, vcc
	v_div_scale_f32 v3, s[0:1], v6, v6, v2
	v_div_scale_f32 v4, vcc, v2, v6, v2
	v_rcp_f32_e32 v5, v3
	v_fma_f32 v10, -v3, v5, 1.0
	v_fmac_f32_e32 v5, v10, v5
	v_mul_f32_e32 v10, v4, v5
	v_fma_f32 v11, -v3, v10, v4
	v_fmac_f32_e32 v10, v11, v5
	v_fma_f32 v3, -v3, v10, v4
	v_div_fmas_f32 v3, v3, v5, v10
	v_div_fixup_f32 v2, v3, v6, v2
.LBB8_18:
	s_andn2_saveexec_b64 s[0:1], s[16:17]
	s_cbranch_execz .LBB8_20
; %bb.19:
	v_mul_f32_e32 v2, v6, v6
	v_mov_b32_e32 v3, 0xb2d7322b
	v_fmac_f32_e32 v3, 0x2f309231, v2
	v_mov_b32_e32 v4, 0x3638ef1d
	v_fmac_f32_e32 v4, v2, v3
	;; [unrolled: 2-line block ×5, first 2 shown]
	v_fma_f32 v2, v2, v3, 1.0
.LBB8_20:
	s_or_b64 exec, exec, s[0:1]
.LBB8_21:
	s_or_b64 exec, exec, s[14:15]
	v_cmp_neq_f32_e64 s[0:1], |v7|, s13
	v_mov_b32_e32 v4, 0
	v_mov_b32_e32 v3, 0
	s_and_saveexec_b64 s[14:15], s[0:1]
	s_cbranch_execz .LBB8_31
; %bb.22:
	v_cmp_nlt_f32_e64 s[0:1], |v7|, 0.5
	s_and_saveexec_b64 s[2:3], s[0:1]
	s_xor_b64 s[16:17], exec, s[2:3]
	s_cbranch_execz .LBB8_28
; %bb.23:
	s_brev_b32 s0, 18
	v_and_b32_e32 v3, 0x7fffffff, v7
	v_cmp_nlt_f32_e64 s[0:1], |v7|, s0
                                        ; implicit-def: $vgpr5
                                        ; implicit-def: $vgpr6
	s_and_saveexec_b64 s[2:3], s[0:1]
	s_xor_b64 s[18:19], exec, s[2:3]
	s_cbranch_execz .LBB8_25
; %bb.24:
	v_and_b32_e32 v5, 0x7fffff, v3
	v_or_b32_e32 v18, 0x800000, v5
	s_mov_b32 s0, 0xfe5163ab
	v_mad_u64_u32 v[5:6], s[0:1], v18, s0, 0
	v_mov_b32_e32 v11, 0
	s_mov_b32 s0, 0x3c439041
	v_mov_b32_e32 v10, v6
	v_mad_u64_u32 v[12:13], s[0:1], v18, s0, v[10:11]
	s_mov_b32 s0, 0xdb629599
	v_lshrrev_b32_e32 v6, 23, v3
	v_mov_b32_e32 v10, v13
	v_mad_u64_u32 v[13:14], s[0:1], v18, s0, v[10:11]
	s_mov_b32 s0, 0xf534ddc0
	v_add_u32_e32 v6, 0xffffff88, v6
	v_mov_b32_e32 v10, v14
	v_mad_u64_u32 v[14:15], s[0:1], v18, s0, v[10:11]
	s_mov_b32 s0, 0xfc2757d1
	v_not_b32_e32 v17, 63
	v_mov_b32_e32 v10, v15
	v_mad_u64_u32 v[15:16], s[0:1], v18, s0, v[10:11]
	v_cmp_lt_u32_e32 vcc, 63, v6
	v_cndmask_b32_e32 v10, 0, v17, vcc
	v_add_u32_e32 v6, v10, v6
	v_mov_b32_e32 v10, v16
	s_mov_b32 s0, 0x4e441529
	v_mad_u64_u32 v[16:17], s[0:1], v18, s0, v[10:11]
	v_not_b32_e32 v19, 31
	v_cmp_lt_u32_e64 s[0:1], 31, v6
	v_cndmask_b32_e64 v10, 0, v19, s[0:1]
	v_add_u32_e32 v6, v10, v6
	v_mov_b32_e32 v10, v17
	s_mov_b32 s2, 0xa2f9836e
	v_mad_u64_u32 v[10:11], s[2:3], v18, s2, v[10:11]
	v_cmp_lt_u32_e64 s[2:3], 31, v6
	v_cndmask_b32_e64 v17, 0, v19, s[2:3]
	v_add_u32_e32 v6, v17, v6
	v_cndmask_b32_e32 v17, v16, v14, vcc
	v_cndmask_b32_e32 v10, v10, v15, vcc
	;; [unrolled: 1-line block ×3, first 2 shown]
	v_cndmask_b32_e64 v18, v10, v17, s[0:1]
	v_cndmask_b32_e64 v10, v11, v10, s[0:1]
	v_cndmask_b32_e32 v11, v15, v13, vcc
	v_cndmask_b32_e64 v15, v17, v11, s[0:1]
	v_sub_u32_e32 v17, 32, v6
	v_cmp_eq_u32_e64 s[4:5], 0, v6
	v_cndmask_b32_e32 v6, v14, v12, vcc
	v_cndmask_b32_e64 v10, v10, v18, s[2:3]
	v_cndmask_b32_e64 v16, v18, v15, s[2:3]
	;; [unrolled: 1-line block ×3, first 2 shown]
	v_alignbit_b32 v18, v10, v16, v17
	v_cndmask_b32_e64 v12, v15, v11, s[2:3]
	v_cndmask_b32_e64 v10, v18, v10, s[4:5]
	v_alignbit_b32 v14, v16, v12, v17
	v_cndmask_b32_e32 v5, v13, v5, vcc
	v_cndmask_b32_e64 v14, v14, v16, s[4:5]
	v_bfe_u32 v18, v10, 29, 1
	v_cndmask_b32_e64 v5, v6, v5, s[0:1]
	v_alignbit_b32 v15, v10, v14, 30
	v_sub_u32_e32 v19, 0, v18
	v_cndmask_b32_e64 v5, v11, v5, s[2:3]
	v_xor_b32_e32 v15, v15, v19
	v_alignbit_b32 v6, v12, v5, v17
	v_cndmask_b32_e64 v6, v6, v12, s[4:5]
	v_ffbh_u32_e32 v12, v15
	v_alignbit_b32 v11, v14, v6, 30
	v_min_u32_e32 v12, 32, v12
	v_alignbit_b32 v5, v6, v5, 30
	v_xor_b32_e32 v11, v11, v19
	v_sub_u32_e32 v13, 31, v12
	v_xor_b32_e32 v5, v5, v19
	v_alignbit_b32 v14, v15, v11, v13
	v_alignbit_b32 v5, v11, v5, v13
	;; [unrolled: 1-line block ×3, first 2 shown]
	v_ffbh_u32_e32 v11, v6
	v_min_u32_e32 v11, 32, v11
	v_lshrrev_b32_e32 v16, 29, v10
	v_not_b32_e32 v13, v11
	v_alignbit_b32 v5, v6, v5, v13
	v_lshlrev_b32_e32 v6, 31, v16
	v_or_b32_e32 v13, 0x33000000, v6
	v_add_lshl_u32 v11, v11, v12, 23
	v_lshrrev_b32_e32 v5, 9, v5
	v_sub_u32_e32 v11, v13, v11
	v_or_b32_e32 v6, 0.5, v6
	v_lshlrev_b32_e32 v12, 23, v12
	v_or_b32_e32 v5, v11, v5
	v_lshrrev_b32_e32 v11, 9, v14
	v_sub_u32_e32 v6, v6, v12
	v_or_b32_e32 v6, v11, v6
	s_mov_b32 s0, 0x3fc90fda
	v_mul_f32_e32 v11, 0x3fc90fda, v6
	v_fma_f32 v12, v6, s0, -v11
	v_fmac_f32_e32 v12, 0x33a22168, v6
	v_fmac_f32_e32 v12, 0x3fc90fda, v5
	v_lshrrev_b32_e32 v5, 30, v10
	v_add_f32_e32 v6, v11, v12
	v_add_u32_e32 v5, v18, v5
.LBB8_25:
	s_andn2_saveexec_b64 s[0:1], s[18:19]
	s_cbranch_execz .LBB8_27
; %bb.26:
	s_mov_b32 s2, 0x3f22f983
	v_mul_f32_e64 v5, |v7|, s2
	v_rndne_f32_e32 v10, v5
	s_mov_b32 s2, 0xbfc90fda
	v_cvt_i32_f32_e32 v5, v10
	v_fma_f32 v6, v10, s2, |v7|
	v_fmac_f32_e32 v6, 0xb3a22168, v10
	v_fmac_f32_e32 v6, 0xa7c234c4, v10
.LBB8_27:
	s_or_b64 exec, exec, s[0:1]
	v_mul_f32_e32 v10, v6, v6
	v_mov_b32_e32 v11, 0x3c0881c4
	v_fmac_f32_e32 v11, 0xb94c1982, v10
	v_mov_b32_e32 v12, 0xbe2aaa9d
	v_fmac_f32_e32 v12, v10, v11
	v_mul_f32_e32 v11, v10, v12
	v_fmac_f32_e32 v6, v6, v11
	v_mov_b32_e32 v11, 0xbab64f3b
	v_fmac_f32_e32 v11, 0x37d75334, v10
	v_mov_b32_e32 v12, 0x3d2aabf7
	;; [unrolled: 2-line block ×3, first 2 shown]
	v_fmac_f32_e32 v11, v10, v12
	v_fma_f32 v10, v10, v11, 1.0
	v_and_b32_e32 v11, 1, v5
	v_lshlrev_b32_e32 v5, 30, v5
	v_cmp_eq_u32_e32 vcc, 0, v11
	v_and_b32_e32 v5, 0x80000000, v5
	v_xor_b32_e32 v3, v3, v7
	v_cndmask_b32_e32 v6, v10, v6, vcc
	v_xor_b32_e32 v3, v3, v5
	s_movk_i32 s0, 0x1f8
	v_xor_b32_e32 v3, v3, v6
	v_mov_b32_e32 v5, 0x7fc00000
	v_cmp_class_f32_e64 vcc, v7, s0
	v_cndmask_b32_e32 v3, v5, v3, vcc
	v_div_scale_f32 v5, s[0:1], v7, v7, v3
	v_div_scale_f32 v6, vcc, v3, v7, v3
	v_rcp_f32_e32 v10, v5
	v_fma_f32 v11, -v5, v10, 1.0
	v_fmac_f32_e32 v10, v11, v10
	v_mul_f32_e32 v11, v6, v10
	v_fma_f32 v12, -v5, v11, v6
	v_fmac_f32_e32 v11, v12, v10
	v_fma_f32 v5, -v5, v11, v6
	v_div_fmas_f32 v5, v5, v10, v11
	v_div_fixup_f32 v3, v5, v7, v3
.LBB8_28:
	s_andn2_saveexec_b64 s[0:1], s[16:17]
	s_cbranch_execz .LBB8_30
; %bb.29:
	v_mul_f32_e32 v3, v7, v7
	v_mov_b32_e32 v5, 0xb2d7322b
	v_fmac_f32_e32 v5, 0x2f309231, v3
	v_mov_b32_e32 v6, 0x3638ef1d
	v_fmac_f32_e32 v6, v3, v5
	;; [unrolled: 2-line block ×5, first 2 shown]
	v_fma_f32 v3, v3, v5, 1.0
.LBB8_30:
	s_or_b64 exec, exec, s[0:1]
.LBB8_31:
	s_or_b64 exec, exec, s[14:15]
	v_cmp_neq_f32_e64 s[0:1], |v8|, s13
	s_and_saveexec_b64 s[14:15], s[0:1]
	s_cbranch_execz .LBB8_41
; %bb.32:
	v_cmp_nlt_f32_e64 s[0:1], |v8|, 0.5
	s_and_saveexec_b64 s[2:3], s[0:1]
	s_xor_b64 s[16:17], exec, s[2:3]
	s_cbranch_execz .LBB8_38
; %bb.33:
	s_brev_b32 s0, 18
	v_and_b32_e32 v4, 0x7fffffff, v8
	v_cmp_nlt_f32_e64 s[0:1], |v8|, s0
                                        ; implicit-def: $vgpr5
                                        ; implicit-def: $vgpr6
	s_and_saveexec_b64 s[2:3], s[0:1]
	s_xor_b64 s[18:19], exec, s[2:3]
	s_cbranch_execz .LBB8_35
; %bb.34:
	v_and_b32_e32 v5, 0x7fffff, v4
	v_or_b32_e32 v16, 0x800000, v5
	s_mov_b32 s0, 0xfe5163ab
	v_mad_u64_u32 v[5:6], s[0:1], v16, s0, 0
	v_mov_b32_e32 v7, 0
	s_mov_b32 s0, 0x3c439041
	v_mad_u64_u32 v[10:11], s[0:1], v16, s0, v[6:7]
	s_mov_b32 s0, 0xdb629599
	v_not_b32_e32 v15, 63
	v_mov_b32_e32 v6, v11
	v_mad_u64_u32 v[11:12], s[0:1], v16, s0, v[6:7]
	s_mov_b32 s0, 0xf534ddc0
	v_not_b32_e32 v18, 31
	v_mov_b32_e32 v6, v12
	v_mad_u64_u32 v[12:13], s[0:1], v16, s0, v[6:7]
	v_lshrrev_b32_e32 v6, 23, v4
	v_add_u32_e32 v17, 0xffffff88, v6
	v_mov_b32_e32 v6, v13
	s_mov_b32 s0, 0xfc2757d1
	v_mad_u64_u32 v[13:14], s[0:1], v16, s0, v[6:7]
	v_cmp_lt_u32_e32 vcc, 63, v17
	v_cndmask_b32_e32 v6, 0, v15, vcc
	v_add_u32_e32 v17, v6, v17
	v_mov_b32_e32 v6, v14
	s_mov_b32 s0, 0x4e441529
	v_mad_u64_u32 v[14:15], s[0:1], v16, s0, v[6:7]
	v_cmp_lt_u32_e64 s[0:1], 31, v17
	v_cndmask_b32_e64 v6, 0, v18, s[0:1]
	v_add_u32_e32 v17, v6, v17
	v_mov_b32_e32 v6, v15
	s_mov_b32 s2, 0xa2f9836e
	v_mad_u64_u32 v[6:7], s[2:3], v16, s2, v[6:7]
	v_cmp_lt_u32_e64 s[2:3], 31, v17
	v_cndmask_b32_e64 v15, 0, v18, s[2:3]
	v_cndmask_b32_e32 v16, v14, v12, vcc
	v_cndmask_b32_e32 v6, v6, v13, vcc
	;; [unrolled: 1-line block ×3, first 2 shown]
	v_add_u32_e32 v15, v15, v17
	v_cndmask_b32_e64 v17, v6, v16, s[0:1]
	v_cndmask_b32_e64 v6, v7, v6, s[0:1]
	v_cndmask_b32_e32 v7, v13, v11, vcc
	v_cndmask_b32_e64 v13, v16, v7, s[0:1]
	v_cndmask_b32_e64 v6, v6, v17, s[2:3]
	;; [unrolled: 1-line block ×3, first 2 shown]
	v_sub_u32_e32 v16, 32, v15
	v_alignbit_b32 v17, v6, v14, v16
	v_cmp_eq_u32_e64 s[4:5], 0, v15
	v_cndmask_b32_e64 v15, v17, v6, s[4:5]
	v_cndmask_b32_e32 v6, v12, v10, vcc
	v_cndmask_b32_e64 v7, v7, v6, s[0:1]
	v_cndmask_b32_e64 v10, v13, v7, s[2:3]
	v_alignbit_b32 v12, v14, v10, v16
	v_cndmask_b32_e32 v5, v11, v5, vcc
	v_cndmask_b32_e64 v12, v12, v14, s[4:5]
	v_bfe_u32 v17, v15, 29, 1
	v_cndmask_b32_e64 v5, v6, v5, s[0:1]
	v_alignbit_b32 v13, v15, v12, 30
	v_sub_u32_e32 v18, 0, v17
	v_cndmask_b32_e64 v5, v7, v5, s[2:3]
	v_xor_b32_e32 v13, v13, v18
	v_alignbit_b32 v6, v10, v5, v16
	v_cndmask_b32_e64 v6, v6, v10, s[4:5]
	v_ffbh_u32_e32 v10, v13
	v_alignbit_b32 v7, v12, v6, 30
	v_min_u32_e32 v10, 32, v10
	v_alignbit_b32 v5, v6, v5, 30
	v_xor_b32_e32 v7, v7, v18
	v_sub_u32_e32 v11, 31, v10
	v_xor_b32_e32 v5, v5, v18
	v_alignbit_b32 v12, v13, v7, v11
	v_alignbit_b32 v5, v7, v5, v11
	;; [unrolled: 1-line block ×3, first 2 shown]
	v_ffbh_u32_e32 v7, v6
	v_min_u32_e32 v7, 32, v7
	v_lshrrev_b32_e32 v14, 29, v15
	v_not_b32_e32 v11, v7
	v_alignbit_b32 v5, v6, v5, v11
	v_lshlrev_b32_e32 v6, 31, v14
	v_or_b32_e32 v11, 0x33000000, v6
	v_add_lshl_u32 v7, v7, v10, 23
	v_lshrrev_b32_e32 v5, 9, v5
	v_sub_u32_e32 v7, v11, v7
	v_or_b32_e32 v6, 0.5, v6
	v_lshlrev_b32_e32 v10, 23, v10
	v_or_b32_e32 v5, v7, v5
	v_lshrrev_b32_e32 v7, 9, v12
	v_sub_u32_e32 v6, v6, v10
	v_or_b32_e32 v6, v7, v6
	s_mov_b32 s0, 0x3fc90fda
	v_mul_f32_e32 v7, 0x3fc90fda, v6
	v_fma_f32 v10, v6, s0, -v7
	v_fmac_f32_e32 v10, 0x33a22168, v6
	v_fmac_f32_e32 v10, 0x3fc90fda, v5
	v_lshrrev_b32_e32 v5, 30, v15
	v_add_f32_e32 v6, v7, v10
	v_add_u32_e32 v5, v17, v5
.LBB8_35:
	s_andn2_saveexec_b64 s[0:1], s[18:19]
	s_cbranch_execz .LBB8_37
; %bb.36:
	s_mov_b32 s2, 0x3f22f983
	v_mul_f32_e64 v5, |v8|, s2
	v_rndne_f32_e32 v7, v5
	s_mov_b32 s2, 0xbfc90fda
	v_cvt_i32_f32_e32 v5, v7
	v_fma_f32 v6, v7, s2, |v8|
	v_fmac_f32_e32 v6, 0xb3a22168, v7
	v_fmac_f32_e32 v6, 0xa7c234c4, v7
.LBB8_37:
	s_or_b64 exec, exec, s[0:1]
	v_mul_f32_e32 v7, v6, v6
	v_mov_b32_e32 v10, 0x3c0881c4
	v_fmac_f32_e32 v10, 0xb94c1982, v7
	v_mov_b32_e32 v11, 0xbe2aaa9d
	v_fmac_f32_e32 v11, v7, v10
	v_mul_f32_e32 v10, v7, v11
	v_fmac_f32_e32 v6, v6, v10
	v_mov_b32_e32 v10, 0xbab64f3b
	v_fmac_f32_e32 v10, 0x37d75334, v7
	v_mov_b32_e32 v11, 0x3d2aabf7
	;; [unrolled: 2-line block ×3, first 2 shown]
	v_fmac_f32_e32 v10, v7, v11
	v_fma_f32 v7, v7, v10, 1.0
	v_and_b32_e32 v10, 1, v5
	v_lshlrev_b32_e32 v5, 30, v5
	v_cmp_eq_u32_e32 vcc, 0, v10
	v_and_b32_e32 v5, 0x80000000, v5
	v_xor_b32_e32 v4, v4, v8
	v_cndmask_b32_e32 v6, v7, v6, vcc
	v_xor_b32_e32 v4, v4, v5
	s_movk_i32 s0, 0x1f8
	v_xor_b32_e32 v4, v4, v6
	v_mov_b32_e32 v5, 0x7fc00000
	v_cmp_class_f32_e64 vcc, v8, s0
	v_cndmask_b32_e32 v4, v5, v4, vcc
	v_div_scale_f32 v5, s[0:1], v8, v8, v4
	v_div_scale_f32 v6, vcc, v4, v8, v4
	v_rcp_f32_e32 v7, v5
	v_fma_f32 v10, -v5, v7, 1.0
	v_fmac_f32_e32 v7, v10, v7
	v_mul_f32_e32 v10, v6, v7
	v_fma_f32 v11, -v5, v10, v6
	v_fmac_f32_e32 v10, v11, v7
	v_fma_f32 v5, -v5, v10, v6
	v_div_fmas_f32 v5, v5, v7, v10
	v_div_fixup_f32 v4, v5, v8, v4
                                        ; implicit-def: $vgpr5_vgpr6_vgpr7_vgpr8
.LBB8_38:
	s_andn2_saveexec_b64 s[0:1], s[16:17]
	s_cbranch_execz .LBB8_40
; %bb.39:
	v_mul_f32_e32 v4, v8, v8
	v_mov_b32_e32 v5, 0xb2d7322b
	v_fmac_f32_e32 v5, 0x2f309231, v4
	v_mov_b32_e32 v6, 0x3638ef1d
	v_fmac_f32_e32 v6, v4, v5
	;; [unrolled: 2-line block ×5, first 2 shown]
	v_fma_f32 v4, v4, v5, 1.0
.LBB8_40:
	s_or_b64 exec, exec, s[0:1]
.LBB8_41:
	s_or_b64 exec, exec, s[14:15]
	s_add_u32 s0, s8, s6
	s_addc_u32 s1, s9, s7
	global_store_dwordx4 v9, v[1:4], s[0:1]
	s_mov_b64 s[0:1], 0
.LBB8_42:
	s_and_b64 vcc, exec, s[0:1]
	s_cbranch_vccz .LBB8_93
; %bb.43:
	v_cmp_gt_i32_e64 s[0:1], s20, v0
	v_mov_b32_e32 v9, 0
	v_or_b32_e32 v6, s12, v0
	v_mov_b32_e32 v5, 0
	v_mov_b32_e32 v1, v0
	s_and_saveexec_b64 s[2:3], s[0:1]
	s_cbranch_execz .LBB8_45
; %bb.44:
	v_mov_b32_e32 v7, 0
	v_lshlrev_b64 v[1:2], 2, v[6:7]
	v_mov_b32_e32 v3, s11
	v_add_co_u32_e32 v1, vcc, s10, v1
	v_addc_co_u32_e32 v2, vcc, v3, v2, vcc
	global_load_dword v5, v[1:2], off
	v_or_b32_e32 v1, 0x100, v0
.LBB8_45:
	s_or_b64 exec, exec, s[2:3]
	v_cmp_gt_i32_e32 vcc, s20, v1
	s_and_saveexec_b64 s[2:3], vcc
	s_cbranch_execz .LBB8_47
; %bb.46:
	v_add_u32_e32 v2, s12, v1
	v_mov_b32_e32 v3, 0
	v_lshlrev_b64 v[2:3], 2, v[2:3]
	v_mov_b32_e32 v4, s11
	v_add_co_u32_e32 v2, vcc, s10, v2
	v_addc_co_u32_e32 v3, vcc, v4, v3, vcc
	global_load_dword v9, v[2:3], off
	v_add_u32_e32 v1, 0x100, v1
.LBB8_47:
	s_or_b64 exec, exec, s[2:3]
	v_cmp_gt_i32_e32 vcc, s20, v1
	v_mov_b32_e32 v7, 0
	v_mov_b32_e32 v8, 0
	s_and_saveexec_b64 s[2:3], vcc
	s_cbranch_execz .LBB8_49
; %bb.48:
	v_add_u32_e32 v2, s12, v1
	v_mov_b32_e32 v3, 0
	v_lshlrev_b64 v[2:3], 2, v[2:3]
	v_mov_b32_e32 v4, s11
	v_add_co_u32_e32 v2, vcc, s10, v2
	v_addc_co_u32_e32 v3, vcc, v4, v3, vcc
	global_load_dword v8, v[2:3], off
	v_add_u32_e32 v1, 0x100, v1
.LBB8_49:
	s_or_b64 exec, exec, s[2:3]
	v_cmp_gt_i32_e32 vcc, s20, v1
	s_and_saveexec_b64 s[2:3], vcc
	s_cbranch_execz .LBB8_51
; %bb.50:
	v_add_u32_e32 v1, s12, v1
	v_mov_b32_e32 v2, 0
	v_lshlrev_b64 v[1:2], 2, v[1:2]
	v_mov_b32_e32 v3, s11
	v_add_co_u32_e32 v1, vcc, s10, v1
	v_addc_co_u32_e32 v2, vcc, v3, v2, vcc
	global_load_dword v7, v[1:2], off
.LBB8_51:
	s_or_b64 exec, exec, s[2:3]
	v_mov_b32_e32 v1, 0
	v_mov_b32_e32 v2, v1
	;; [unrolled: 1-line block ×4, first 2 shown]
	s_and_saveexec_b64 s[10:11], s[0:1]
	s_cbranch_execz .LBB8_63
; %bb.52:
	s_mov_b32 s2, 0x7f800000
	s_waitcnt vmcnt(0)
	v_cmp_neq_f32_e64 s[2:3], |v5|, s2
	v_mov_b32_e32 v2, 0
	s_and_saveexec_b64 s[14:15], s[2:3]
	s_cbranch_execz .LBB8_62
; %bb.53:
	v_cmp_nlt_f32_e64 s[2:3], |v5|, 0.5
                                        ; implicit-def: $vgpr2
	s_and_saveexec_b64 s[4:5], s[2:3]
	s_xor_b64 s[16:17], exec, s[4:5]
	s_cbranch_execz .LBB8_59
; %bb.54:
	s_brev_b32 s2, 18
	v_and_b32_e32 v2, 0x7fffffff, v5
	v_cmp_nlt_f32_e64 s[2:3], |v5|, s2
                                        ; implicit-def: $vgpr3
                                        ; implicit-def: $vgpr4
	s_and_saveexec_b64 s[4:5], s[2:3]
	s_xor_b64 s[18:19], exec, s[4:5]
	s_cbranch_execz .LBB8_56
; %bb.55:
	v_and_b32_e32 v3, 0x7fffff, v2
	v_or_b32_e32 v18, 0x800000, v3
	s_mov_b32 s2, 0xfe5163ab
	v_mad_u64_u32 v[3:4], s[2:3], v18, s2, 0
	v_mov_b32_e32 v11, 0
	s_mov_b32 s2, 0x3c439041
	v_mov_b32_e32 v10, v4
	v_mad_u64_u32 v[12:13], s[2:3], v18, s2, v[10:11]
	s_mov_b32 s2, 0xdb629599
	v_lshrrev_b32_e32 v4, 23, v2
	v_mov_b32_e32 v10, v13
	v_mad_u64_u32 v[13:14], s[2:3], v18, s2, v[10:11]
	s_mov_b32 s2, 0xf534ddc0
	v_add_u32_e32 v4, 0xffffff88, v4
	v_mov_b32_e32 v10, v14
	v_mad_u64_u32 v[14:15], s[2:3], v18, s2, v[10:11]
	s_mov_b32 s2, 0xfc2757d1
	v_not_b32_e32 v17, 63
	v_mov_b32_e32 v10, v15
	v_mad_u64_u32 v[15:16], s[2:3], v18, s2, v[10:11]
	v_cmp_lt_u32_e32 vcc, 63, v4
	v_cndmask_b32_e32 v10, 0, v17, vcc
	v_add_u32_e32 v4, v10, v4
	v_mov_b32_e32 v10, v16
	s_mov_b32 s2, 0x4e441529
	v_mad_u64_u32 v[16:17], s[2:3], v18, s2, v[10:11]
	v_not_b32_e32 v19, 31
	v_cmp_lt_u32_e64 s[2:3], 31, v4
	v_cndmask_b32_e64 v10, 0, v19, s[2:3]
	v_add_u32_e32 v4, v10, v4
	v_mov_b32_e32 v10, v17
	s_mov_b32 s4, 0xa2f9836e
	v_mad_u64_u32 v[10:11], s[4:5], v18, s4, v[10:11]
	v_cmp_lt_u32_e64 s[4:5], 31, v4
	v_cndmask_b32_e64 v17, 0, v19, s[4:5]
	v_add_u32_e32 v4, v17, v4
	v_cndmask_b32_e32 v17, v16, v14, vcc
	v_cndmask_b32_e32 v10, v10, v15, vcc
	;; [unrolled: 1-line block ×3, first 2 shown]
	v_cndmask_b32_e64 v18, v10, v17, s[2:3]
	v_cndmask_b32_e64 v10, v11, v10, s[2:3]
	v_cndmask_b32_e32 v11, v15, v13, vcc
	v_cndmask_b32_e64 v15, v17, v11, s[2:3]
	v_sub_u32_e32 v17, 32, v4
	v_cmp_eq_u32_e64 s[6:7], 0, v4
	v_cndmask_b32_e32 v4, v14, v12, vcc
	v_cndmask_b32_e64 v10, v10, v18, s[4:5]
	v_cndmask_b32_e64 v16, v18, v15, s[4:5]
	;; [unrolled: 1-line block ×3, first 2 shown]
	v_alignbit_b32 v18, v10, v16, v17
	v_cndmask_b32_e64 v12, v15, v11, s[4:5]
	v_cndmask_b32_e64 v10, v18, v10, s[6:7]
	v_alignbit_b32 v14, v16, v12, v17
	v_cndmask_b32_e32 v3, v13, v3, vcc
	v_cndmask_b32_e64 v14, v14, v16, s[6:7]
	v_bfe_u32 v18, v10, 29, 1
	v_cndmask_b32_e64 v3, v4, v3, s[2:3]
	v_alignbit_b32 v15, v10, v14, 30
	v_sub_u32_e32 v19, 0, v18
	v_cndmask_b32_e64 v3, v11, v3, s[4:5]
	v_xor_b32_e32 v15, v15, v19
	v_alignbit_b32 v4, v12, v3, v17
	v_cndmask_b32_e64 v4, v4, v12, s[6:7]
	v_ffbh_u32_e32 v12, v15
	v_alignbit_b32 v11, v14, v4, 30
	v_min_u32_e32 v12, 32, v12
	v_alignbit_b32 v3, v4, v3, 30
	v_xor_b32_e32 v11, v11, v19
	v_sub_u32_e32 v13, 31, v12
	v_xor_b32_e32 v3, v3, v19
	v_alignbit_b32 v14, v15, v11, v13
	v_alignbit_b32 v3, v11, v3, v13
	;; [unrolled: 1-line block ×3, first 2 shown]
	v_ffbh_u32_e32 v11, v4
	v_min_u32_e32 v11, 32, v11
	v_lshrrev_b32_e32 v16, 29, v10
	v_not_b32_e32 v13, v11
	v_alignbit_b32 v3, v4, v3, v13
	v_lshlrev_b32_e32 v4, 31, v16
	v_or_b32_e32 v13, 0x33000000, v4
	v_add_lshl_u32 v11, v11, v12, 23
	v_lshrrev_b32_e32 v3, 9, v3
	v_sub_u32_e32 v11, v13, v11
	v_or_b32_e32 v4, 0.5, v4
	v_lshlrev_b32_e32 v12, 23, v12
	v_or_b32_e32 v3, v11, v3
	v_lshrrev_b32_e32 v11, 9, v14
	v_sub_u32_e32 v4, v4, v12
	v_or_b32_e32 v4, v11, v4
	s_mov_b32 s2, 0x3fc90fda
	v_mul_f32_e32 v11, 0x3fc90fda, v4
	v_fma_f32 v12, v4, s2, -v11
	v_fmac_f32_e32 v12, 0x33a22168, v4
	v_fmac_f32_e32 v12, 0x3fc90fda, v3
	v_lshrrev_b32_e32 v3, 30, v10
	v_add_f32_e32 v4, v11, v12
	v_add_u32_e32 v3, v18, v3
.LBB8_56:
	s_andn2_saveexec_b64 s[2:3], s[18:19]
	s_cbranch_execz .LBB8_58
; %bb.57:
	s_mov_b32 s4, 0x3f22f983
	v_mul_f32_e64 v3, |v5|, s4
	v_rndne_f32_e32 v10, v3
	s_mov_b32 s4, 0xbfc90fda
	v_cvt_i32_f32_e32 v3, v10
	v_fma_f32 v4, v10, s4, |v5|
	v_fmac_f32_e32 v4, 0xb3a22168, v10
	v_fmac_f32_e32 v4, 0xa7c234c4, v10
.LBB8_58:
	s_or_b64 exec, exec, s[2:3]
	v_mul_f32_e32 v10, v4, v4
	v_mov_b32_e32 v11, 0x3c0881c4
	v_fmac_f32_e32 v11, 0xb94c1982, v10
	v_mov_b32_e32 v12, 0xbe2aaa9d
	v_fmac_f32_e32 v12, v10, v11
	v_mul_f32_e32 v11, v10, v12
	v_fmac_f32_e32 v4, v4, v11
	v_mov_b32_e32 v11, 0xbab64f3b
	v_fmac_f32_e32 v11, 0x37d75334, v10
	v_mov_b32_e32 v12, 0x3d2aabf7
	;; [unrolled: 2-line block ×3, first 2 shown]
	v_fmac_f32_e32 v11, v10, v12
	v_fma_f32 v10, v10, v11, 1.0
	v_and_b32_e32 v11, 1, v3
	v_lshlrev_b32_e32 v3, 30, v3
	v_cmp_eq_u32_e32 vcc, 0, v11
	v_and_b32_e32 v3, 0x80000000, v3
	v_xor_b32_e32 v2, v2, v5
	v_cndmask_b32_e32 v4, v10, v4, vcc
	v_xor_b32_e32 v2, v2, v3
	s_movk_i32 s2, 0x1f8
	v_xor_b32_e32 v2, v2, v4
	v_mov_b32_e32 v3, 0x7fc00000
	v_cmp_class_f32_e64 vcc, v5, s2
	v_cndmask_b32_e32 v2, v3, v2, vcc
	v_div_scale_f32 v3, s[2:3], v5, v5, v2
	v_div_scale_f32 v4, vcc, v2, v5, v2
	v_rcp_f32_e32 v10, v3
	v_fma_f32 v11, -v3, v10, 1.0
	v_fmac_f32_e32 v10, v11, v10
	v_mul_f32_e32 v11, v4, v10
	v_fma_f32 v12, -v3, v11, v4
	v_fmac_f32_e32 v11, v12, v10
	v_fma_f32 v3, -v3, v11, v4
	v_div_fmas_f32 v3, v3, v10, v11
	v_div_fixup_f32 v2, v3, v5, v2
                                        ; implicit-def: $vgpr5
.LBB8_59:
	s_andn2_saveexec_b64 s[2:3], s[16:17]
	s_cbranch_execz .LBB8_61
; %bb.60:
	v_mul_f32_e32 v2, v5, v5
	v_mov_b32_e32 v3, 0xb2d7322b
	v_fmac_f32_e32 v3, 0x2f309231, v2
	v_mov_b32_e32 v4, 0x3638ef1d
	v_fmac_f32_e32 v4, v2, v3
	;; [unrolled: 2-line block ×5, first 2 shown]
	v_fma_f32 v2, v2, v3, 1.0
.LBB8_61:
	s_or_b64 exec, exec, s[2:3]
.LBB8_62:
	s_or_b64 exec, exec, s[14:15]
	v_mov_b32_e32 v3, v1
	v_mov_b32_e32 v4, v1
	;; [unrolled: 1-line block ×7, first 2 shown]
.LBB8_63:
	s_or_b64 exec, exec, s[10:11]
	s_waitcnt vmcnt(0)
	v_or_b32_e32 v5, 0x100, v0
	v_cmp_gt_i32_e32 vcc, s20, v5
	s_and_saveexec_b64 s[10:11], vcc
	s_cbranch_execz .LBB8_75
; %bb.64:
	s_mov_b32 s2, 0x7f800000
	v_cmp_neq_f32_e64 s[2:3], |v9|, s2
	v_mov_b32_e32 v2, 0
	s_and_saveexec_b64 s[14:15], s[2:3]
	s_cbranch_execz .LBB8_74
; %bb.65:
	v_cmp_nlt_f32_e64 s[2:3], |v9|, 0.5
	s_and_saveexec_b64 s[4:5], s[2:3]
	s_xor_b64 s[16:17], exec, s[4:5]
	s_cbranch_execz .LBB8_71
; %bb.66:
	s_brev_b32 s2, 18
	v_and_b32_e32 v2, 0x7fffffff, v9
	v_cmp_nlt_f32_e64 s[2:3], |v9|, s2
                                        ; implicit-def: $vgpr10
                                        ; implicit-def: $vgpr11
	s_and_saveexec_b64 s[4:5], s[2:3]
	s_xor_b64 s[18:19], exec, s[4:5]
	s_cbranch_execz .LBB8_68
; %bb.67:
	v_and_b32_e32 v10, 0x7fffff, v2
	v_or_b32_e32 v19, 0x800000, v10
	s_mov_b32 s2, 0xfe5163ab
	v_mad_u64_u32 v[10:11], s[2:3], v19, s2, 0
	v_mov_b32_e32 v12, 0
	s_mov_b32 s2, 0x3c439041
	v_mad_u64_u32 v[13:14], s[2:3], v19, s2, v[11:12]
	s_mov_b32 s2, 0xdb629599
	v_not_b32_e32 v18, 63
	v_mov_b32_e32 v11, v14
	v_mad_u64_u32 v[14:15], s[2:3], v19, s2, v[11:12]
	s_mov_b32 s2, 0xf534ddc0
	v_not_b32_e32 v21, 31
	v_mov_b32_e32 v11, v15
	v_mad_u64_u32 v[15:16], s[2:3], v19, s2, v[11:12]
	v_lshrrev_b32_e32 v11, 23, v2
	v_add_u32_e32 v20, 0xffffff88, v11
	v_mov_b32_e32 v11, v16
	s_mov_b32 s2, 0xfc2757d1
	v_mad_u64_u32 v[16:17], s[2:3], v19, s2, v[11:12]
	v_cmp_lt_u32_e32 vcc, 63, v20
	v_cndmask_b32_e32 v11, 0, v18, vcc
	v_add_u32_e32 v20, v11, v20
	v_mov_b32_e32 v11, v17
	s_mov_b32 s2, 0x4e441529
	v_mad_u64_u32 v[17:18], s[2:3], v19, s2, v[11:12]
	v_cmp_lt_u32_e64 s[2:3], 31, v20
	v_cndmask_b32_e64 v11, 0, v21, s[2:3]
	v_add_u32_e32 v20, v11, v20
	v_mov_b32_e32 v11, v18
	s_mov_b32 s4, 0xa2f9836e
	v_mad_u64_u32 v[11:12], s[4:5], v19, s4, v[11:12]
	v_cmp_lt_u32_e64 s[4:5], 31, v20
	v_cndmask_b32_e64 v18, 0, v21, s[4:5]
	v_cndmask_b32_e32 v19, v17, v15, vcc
	v_cndmask_b32_e32 v11, v11, v16, vcc
	v_cndmask_b32_e32 v12, v12, v17, vcc
	v_add_u32_e32 v18, v18, v20
	v_cndmask_b32_e64 v20, v11, v19, s[2:3]
	v_cndmask_b32_e64 v11, v12, v11, s[2:3]
	v_cndmask_b32_e32 v12, v16, v14, vcc
	v_cndmask_b32_e64 v16, v19, v12, s[2:3]
	v_cndmask_b32_e64 v11, v11, v20, s[4:5]
	;; [unrolled: 1-line block ×3, first 2 shown]
	v_sub_u32_e32 v19, 32, v18
	v_alignbit_b32 v20, v11, v17, v19
	v_cmp_eq_u32_e64 s[6:7], 0, v18
	v_cndmask_b32_e64 v18, v20, v11, s[6:7]
	v_cndmask_b32_e32 v11, v15, v13, vcc
	v_cndmask_b32_e64 v12, v12, v11, s[2:3]
	v_cndmask_b32_e64 v13, v16, v12, s[4:5]
	v_alignbit_b32 v15, v17, v13, v19
	v_cndmask_b32_e32 v10, v14, v10, vcc
	v_cndmask_b32_e64 v15, v15, v17, s[6:7]
	v_bfe_u32 v20, v18, 29, 1
	v_cndmask_b32_e64 v10, v11, v10, s[2:3]
	v_alignbit_b32 v16, v18, v15, 30
	v_sub_u32_e32 v21, 0, v20
	v_cndmask_b32_e64 v10, v12, v10, s[4:5]
	v_xor_b32_e32 v16, v16, v21
	v_alignbit_b32 v11, v13, v10, v19
	v_cndmask_b32_e64 v11, v11, v13, s[6:7]
	v_ffbh_u32_e32 v13, v16
	v_alignbit_b32 v12, v15, v11, 30
	v_min_u32_e32 v13, 32, v13
	v_alignbit_b32 v10, v11, v10, 30
	v_xor_b32_e32 v12, v12, v21
	v_sub_u32_e32 v14, 31, v13
	v_xor_b32_e32 v10, v10, v21
	v_alignbit_b32 v15, v16, v12, v14
	v_alignbit_b32 v10, v12, v10, v14
	;; [unrolled: 1-line block ×3, first 2 shown]
	v_ffbh_u32_e32 v12, v11
	v_min_u32_e32 v12, 32, v12
	v_lshrrev_b32_e32 v17, 29, v18
	v_not_b32_e32 v14, v12
	v_alignbit_b32 v10, v11, v10, v14
	v_lshlrev_b32_e32 v11, 31, v17
	v_or_b32_e32 v14, 0x33000000, v11
	v_add_lshl_u32 v12, v12, v13, 23
	v_lshrrev_b32_e32 v10, 9, v10
	v_sub_u32_e32 v12, v14, v12
	v_or_b32_e32 v11, 0.5, v11
	v_lshlrev_b32_e32 v13, 23, v13
	v_or_b32_e32 v10, v12, v10
	v_lshrrev_b32_e32 v12, 9, v15
	v_sub_u32_e32 v11, v11, v13
	v_or_b32_e32 v11, v12, v11
	s_mov_b32 s2, 0x3fc90fda
	v_mul_f32_e32 v12, 0x3fc90fda, v11
	v_fma_f32 v13, v11, s2, -v12
	v_fmac_f32_e32 v13, 0x33a22168, v11
	v_fmac_f32_e32 v13, 0x3fc90fda, v10
	v_lshrrev_b32_e32 v10, 30, v18
	v_add_f32_e32 v11, v12, v13
	v_add_u32_e32 v10, v20, v10
.LBB8_68:
	s_andn2_saveexec_b64 s[2:3], s[18:19]
	s_cbranch_execz .LBB8_70
; %bb.69:
	s_mov_b32 s4, 0x3f22f983
	v_mul_f32_e64 v10, |v9|, s4
	v_rndne_f32_e32 v12, v10
	s_mov_b32 s4, 0xbfc90fda
	v_cvt_i32_f32_e32 v10, v12
	v_fma_f32 v11, v12, s4, |v9|
	v_fmac_f32_e32 v11, 0xb3a22168, v12
	v_fmac_f32_e32 v11, 0xa7c234c4, v12
.LBB8_70:
	s_or_b64 exec, exec, s[2:3]
	v_mul_f32_e32 v12, v11, v11
	v_mov_b32_e32 v13, 0x3c0881c4
	v_fmac_f32_e32 v13, 0xb94c1982, v12
	v_mov_b32_e32 v14, 0xbe2aaa9d
	v_fmac_f32_e32 v14, v12, v13
	v_mul_f32_e32 v13, v12, v14
	v_fmac_f32_e32 v11, v11, v13
	v_mov_b32_e32 v13, 0xbab64f3b
	v_fmac_f32_e32 v13, 0x37d75334, v12
	v_mov_b32_e32 v14, 0x3d2aabf7
	;; [unrolled: 2-line block ×3, first 2 shown]
	v_fmac_f32_e32 v13, v12, v14
	v_fma_f32 v12, v12, v13, 1.0
	v_and_b32_e32 v13, 1, v10
	v_lshlrev_b32_e32 v10, 30, v10
	v_cmp_eq_u32_e32 vcc, 0, v13
	v_and_b32_e32 v10, 0x80000000, v10
	v_xor_b32_e32 v2, v2, v9
	v_cndmask_b32_e32 v11, v12, v11, vcc
	v_xor_b32_e32 v2, v2, v10
	s_movk_i32 s2, 0x1f8
	v_xor_b32_e32 v2, v2, v11
	v_mov_b32_e32 v10, 0x7fc00000
	v_cmp_class_f32_e64 vcc, v9, s2
	v_cndmask_b32_e32 v2, v10, v2, vcc
	v_div_scale_f32 v10, s[2:3], v9, v9, v2
	v_div_scale_f32 v11, vcc, v2, v9, v2
	v_rcp_f32_e32 v12, v10
	v_fma_f32 v13, -v10, v12, 1.0
	v_fmac_f32_e32 v12, v13, v12
	v_mul_f32_e32 v13, v11, v12
	v_fma_f32 v14, -v10, v13, v11
	v_fmac_f32_e32 v13, v14, v12
	v_fma_f32 v10, -v10, v13, v11
	v_div_fmas_f32 v10, v10, v12, v13
	v_div_fixup_f32 v2, v10, v9, v2
                                        ; implicit-def: $vgpr9
.LBB8_71:
	s_andn2_saveexec_b64 s[2:3], s[16:17]
	s_cbranch_execz .LBB8_73
; %bb.72:
	v_mul_f32_e32 v2, v9, v9
	v_mov_b32_e32 v9, 0xb2d7322b
	v_fmac_f32_e32 v9, 0x2f309231, v2
	v_mov_b32_e32 v10, 0x3638ef1d
	v_fmac_f32_e32 v10, v2, v9
	;; [unrolled: 2-line block ×5, first 2 shown]
	v_fma_f32 v2, v2, v9, 1.0
.LBB8_73:
	s_or_b64 exec, exec, s[2:3]
.LBB8_74:
	s_or_b64 exec, exec, s[14:15]
.LBB8_75:
	s_or_b64 exec, exec, s[10:11]
	v_or_b32_e32 v9, 0x200, v0
	v_cmp_gt_i32_e32 vcc, s20, v9
	s_and_saveexec_b64 s[10:11], vcc
	s_cbranch_execz .LBB8_87
; %bb.76:
	s_mov_b32 s2, 0x7f800000
	v_cmp_neq_f32_e64 s[2:3], |v8|, s2
	v_mov_b32_e32 v3, 0
	s_and_saveexec_b64 s[14:15], s[2:3]
	s_cbranch_execz .LBB8_86
; %bb.77:
	v_cmp_nlt_f32_e64 s[2:3], |v8|, 0.5
	s_and_saveexec_b64 s[4:5], s[2:3]
	s_xor_b64 s[16:17], exec, s[4:5]
	s_cbranch_execz .LBB8_83
; %bb.78:
	s_brev_b32 s2, 18
	v_and_b32_e32 v3, 0x7fffffff, v8
	v_cmp_nlt_f32_e64 s[2:3], |v8|, s2
                                        ; implicit-def: $vgpr9
                                        ; implicit-def: $vgpr10
	s_and_saveexec_b64 s[4:5], s[2:3]
	s_xor_b64 s[18:19], exec, s[4:5]
	s_cbranch_execz .LBB8_80
; %bb.79:
	v_and_b32_e32 v9, 0x7fffff, v3
	v_or_b32_e32 v18, 0x800000, v9
	s_mov_b32 s2, 0xfe5163ab
	v_mad_u64_u32 v[9:10], s[2:3], v18, s2, 0
	v_mov_b32_e32 v11, 0
	s_mov_b32 s2, 0x3c439041
	v_mad_u64_u32 v[12:13], s[2:3], v18, s2, v[10:11]
	s_mov_b32 s2, 0xdb629599
	v_not_b32_e32 v17, 63
	v_mov_b32_e32 v10, v13
	v_mad_u64_u32 v[13:14], s[2:3], v18, s2, v[10:11]
	s_mov_b32 s2, 0xf534ddc0
	v_not_b32_e32 v20, 31
	v_mov_b32_e32 v10, v14
	v_mad_u64_u32 v[14:15], s[2:3], v18, s2, v[10:11]
	v_lshrrev_b32_e32 v10, 23, v3
	v_add_u32_e32 v19, 0xffffff88, v10
	v_mov_b32_e32 v10, v15
	s_mov_b32 s2, 0xfc2757d1
	v_mad_u64_u32 v[15:16], s[2:3], v18, s2, v[10:11]
	v_cmp_lt_u32_e32 vcc, 63, v19
	v_cndmask_b32_e32 v10, 0, v17, vcc
	v_add_u32_e32 v19, v10, v19
	v_mov_b32_e32 v10, v16
	s_mov_b32 s2, 0x4e441529
	v_mad_u64_u32 v[16:17], s[2:3], v18, s2, v[10:11]
	v_cmp_lt_u32_e64 s[2:3], 31, v19
	v_cndmask_b32_e64 v10, 0, v20, s[2:3]
	v_add_u32_e32 v19, v10, v19
	v_mov_b32_e32 v10, v17
	s_mov_b32 s4, 0xa2f9836e
	v_mad_u64_u32 v[10:11], s[4:5], v18, s4, v[10:11]
	v_cmp_lt_u32_e64 s[4:5], 31, v19
	v_cndmask_b32_e64 v17, 0, v20, s[4:5]
	v_cndmask_b32_e32 v18, v16, v14, vcc
	v_cndmask_b32_e32 v10, v10, v15, vcc
	;; [unrolled: 1-line block ×3, first 2 shown]
	v_add_u32_e32 v17, v17, v19
	v_cndmask_b32_e64 v19, v10, v18, s[2:3]
	v_cndmask_b32_e64 v10, v11, v10, s[2:3]
	v_cndmask_b32_e32 v11, v15, v13, vcc
	v_cndmask_b32_e64 v15, v18, v11, s[2:3]
	v_cndmask_b32_e64 v10, v10, v19, s[4:5]
	;; [unrolled: 1-line block ×3, first 2 shown]
	v_sub_u32_e32 v18, 32, v17
	v_alignbit_b32 v19, v10, v16, v18
	v_cmp_eq_u32_e64 s[6:7], 0, v17
	v_cndmask_b32_e64 v17, v19, v10, s[6:7]
	v_cndmask_b32_e32 v10, v14, v12, vcc
	v_cndmask_b32_e64 v11, v11, v10, s[2:3]
	v_cndmask_b32_e64 v12, v15, v11, s[4:5]
	v_alignbit_b32 v14, v16, v12, v18
	v_cndmask_b32_e32 v9, v13, v9, vcc
	v_cndmask_b32_e64 v14, v14, v16, s[6:7]
	v_bfe_u32 v19, v17, 29, 1
	v_cndmask_b32_e64 v9, v10, v9, s[2:3]
	v_alignbit_b32 v15, v17, v14, 30
	v_sub_u32_e32 v20, 0, v19
	v_cndmask_b32_e64 v9, v11, v9, s[4:5]
	v_xor_b32_e32 v15, v15, v20
	v_alignbit_b32 v10, v12, v9, v18
	v_cndmask_b32_e64 v10, v10, v12, s[6:7]
	v_ffbh_u32_e32 v12, v15
	v_alignbit_b32 v11, v14, v10, 30
	v_min_u32_e32 v12, 32, v12
	v_alignbit_b32 v9, v10, v9, 30
	v_xor_b32_e32 v11, v11, v20
	v_sub_u32_e32 v13, 31, v12
	v_xor_b32_e32 v9, v9, v20
	v_alignbit_b32 v14, v15, v11, v13
	v_alignbit_b32 v9, v11, v9, v13
	;; [unrolled: 1-line block ×3, first 2 shown]
	v_ffbh_u32_e32 v11, v10
	v_min_u32_e32 v11, 32, v11
	v_lshrrev_b32_e32 v16, 29, v17
	v_not_b32_e32 v13, v11
	v_alignbit_b32 v9, v10, v9, v13
	v_lshlrev_b32_e32 v10, 31, v16
	v_or_b32_e32 v13, 0x33000000, v10
	v_add_lshl_u32 v11, v11, v12, 23
	v_lshrrev_b32_e32 v9, 9, v9
	v_sub_u32_e32 v11, v13, v11
	v_or_b32_e32 v10, 0.5, v10
	v_lshlrev_b32_e32 v12, 23, v12
	v_or_b32_e32 v9, v11, v9
	v_lshrrev_b32_e32 v11, 9, v14
	v_sub_u32_e32 v10, v10, v12
	v_or_b32_e32 v10, v11, v10
	s_mov_b32 s2, 0x3fc90fda
	v_mul_f32_e32 v11, 0x3fc90fda, v10
	v_fma_f32 v12, v10, s2, -v11
	v_fmac_f32_e32 v12, 0x33a22168, v10
	v_fmac_f32_e32 v12, 0x3fc90fda, v9
	v_lshrrev_b32_e32 v9, 30, v17
	v_add_f32_e32 v10, v11, v12
	v_add_u32_e32 v9, v19, v9
.LBB8_80:
	s_andn2_saveexec_b64 s[2:3], s[18:19]
	s_cbranch_execz .LBB8_82
; %bb.81:
	s_mov_b32 s4, 0x3f22f983
	v_mul_f32_e64 v9, |v8|, s4
	v_rndne_f32_e32 v11, v9
	s_mov_b32 s4, 0xbfc90fda
	v_cvt_i32_f32_e32 v9, v11
	v_fma_f32 v10, v11, s4, |v8|
	v_fmac_f32_e32 v10, 0xb3a22168, v11
	v_fmac_f32_e32 v10, 0xa7c234c4, v11
.LBB8_82:
	s_or_b64 exec, exec, s[2:3]
	v_mul_f32_e32 v11, v10, v10
	v_mov_b32_e32 v12, 0x3c0881c4
	v_fmac_f32_e32 v12, 0xb94c1982, v11
	v_mov_b32_e32 v13, 0xbe2aaa9d
	v_fmac_f32_e32 v13, v11, v12
	v_mul_f32_e32 v12, v11, v13
	v_fmac_f32_e32 v10, v10, v12
	v_mov_b32_e32 v12, 0xbab64f3b
	v_fmac_f32_e32 v12, 0x37d75334, v11
	v_mov_b32_e32 v13, 0x3d2aabf7
	;; [unrolled: 2-line block ×3, first 2 shown]
	v_fmac_f32_e32 v12, v11, v13
	v_fma_f32 v11, v11, v12, 1.0
	v_and_b32_e32 v12, 1, v9
	v_lshlrev_b32_e32 v9, 30, v9
	v_cmp_eq_u32_e32 vcc, 0, v12
	v_and_b32_e32 v9, 0x80000000, v9
	v_xor_b32_e32 v3, v3, v8
	v_cndmask_b32_e32 v10, v11, v10, vcc
	v_xor_b32_e32 v3, v3, v9
	s_movk_i32 s2, 0x1f8
	v_xor_b32_e32 v3, v3, v10
	v_mov_b32_e32 v9, 0x7fc00000
	v_cmp_class_f32_e64 vcc, v8, s2
	v_cndmask_b32_e32 v3, v9, v3, vcc
	v_div_scale_f32 v9, s[2:3], v8, v8, v3
	v_div_scale_f32 v10, vcc, v3, v8, v3
	v_rcp_f32_e32 v11, v9
	v_fma_f32 v12, -v9, v11, 1.0
	v_fmac_f32_e32 v11, v12, v11
	v_mul_f32_e32 v12, v10, v11
	v_fma_f32 v13, -v9, v12, v10
	v_fmac_f32_e32 v12, v13, v11
	v_fma_f32 v9, -v9, v12, v10
	v_div_fmas_f32 v9, v9, v11, v12
	v_div_fixup_f32 v3, v9, v8, v3
                                        ; implicit-def: $vgpr8
.LBB8_83:
	s_andn2_saveexec_b64 s[2:3], s[16:17]
	s_cbranch_execz .LBB8_85
; %bb.84:
	v_mul_f32_e32 v3, v8, v8
	v_mov_b32_e32 v8, 0xb2d7322b
	v_fmac_f32_e32 v8, 0x2f309231, v3
	v_mov_b32_e32 v9, 0x3638ef1d
	v_fmac_f32_e32 v9, v3, v8
	;; [unrolled: 2-line block ×5, first 2 shown]
	v_fma_f32 v3, v3, v8, 1.0
.LBB8_85:
	s_or_b64 exec, exec, s[2:3]
.LBB8_86:
	s_or_b64 exec, exec, s[14:15]
.LBB8_87:
	s_or_b64 exec, exec, s[10:11]
	v_or_b32_e32 v8, 0x300, v0
	v_cmp_gt_i32_e32 vcc, s20, v8
	s_and_saveexec_b64 s[10:11], vcc
	s_cbranch_execnz .LBB8_94
; %bb.88:
	s_or_b64 exec, exec, s[10:11]
	s_and_saveexec_b64 s[2:3], s[0:1]
	s_xor_b64 s[0:1], exec, s[2:3]
	s_cbranch_execnz .LBB8_105
.LBB8_89:
	s_or_b64 exec, exec, s[0:1]
	v_cmp_gt_i32_e32 vcc, s20, v0
	s_and_saveexec_b64 s[0:1], vcc
	s_cbranch_execnz .LBB8_106
.LBB8_90:
	s_or_b64 exec, exec, s[0:1]
	v_cmp_gt_i32_e32 vcc, s20, v0
	s_and_saveexec_b64 s[0:1], vcc
	s_cbranch_execnz .LBB8_107
.LBB8_91:
	s_or_b64 exec, exec, s[0:1]
	v_cmp_gt_i32_e32 vcc, s20, v0
	s_and_saveexec_b64 s[0:1], vcc
	s_cbranch_execz .LBB8_93
.LBB8_92:
	v_add_u32_e32 v0, s12, v0
	v_mov_b32_e32 v1, 0
	v_lshlrev_b64 v[0:1], 2, v[0:1]
	v_mov_b32_e32 v2, s9
	v_add_co_u32_e32 v0, vcc, s8, v0
	v_addc_co_u32_e32 v1, vcc, v2, v1, vcc
	global_store_dword v[0:1], v4, off
.LBB8_93:
	s_endpgm
.LBB8_94:
	s_mov_b32 s2, 0x7f800000
	v_cmp_neq_f32_e64 s[2:3], |v7|, s2
	v_mov_b32_e32 v4, 0
	s_and_saveexec_b64 s[14:15], s[2:3]
	s_cbranch_execz .LBB8_104
; %bb.95:
	v_cmp_nlt_f32_e64 s[2:3], |v7|, 0.5
	s_and_saveexec_b64 s[4:5], s[2:3]
	s_xor_b64 s[16:17], exec, s[4:5]
	s_cbranch_execz .LBB8_101
; %bb.96:
	s_brev_b32 s2, 18
	v_and_b32_e32 v4, 0x7fffffff, v7
	v_cmp_nlt_f32_e64 s[2:3], |v7|, s2
                                        ; implicit-def: $vgpr8
                                        ; implicit-def: $vgpr9
	s_and_saveexec_b64 s[4:5], s[2:3]
	s_xor_b64 s[18:19], exec, s[4:5]
	s_cbranch_execz .LBB8_98
; %bb.97:
	v_and_b32_e32 v8, 0x7fffff, v4
	v_or_b32_e32 v17, 0x800000, v8
	s_mov_b32 s2, 0xfe5163ab
	v_mad_u64_u32 v[8:9], s[2:3], v17, s2, 0
	v_mov_b32_e32 v10, 0
	s_mov_b32 s2, 0x3c439041
	v_mad_u64_u32 v[11:12], s[2:3], v17, s2, v[9:10]
	s_mov_b32 s2, 0xdb629599
	v_not_b32_e32 v16, 63
	v_mov_b32_e32 v9, v12
	v_mad_u64_u32 v[12:13], s[2:3], v17, s2, v[9:10]
	s_mov_b32 s2, 0xf534ddc0
	v_not_b32_e32 v19, 31
	v_mov_b32_e32 v9, v13
	v_mad_u64_u32 v[13:14], s[2:3], v17, s2, v[9:10]
	v_lshrrev_b32_e32 v9, 23, v4
	v_add_u32_e32 v18, 0xffffff88, v9
	v_mov_b32_e32 v9, v14
	s_mov_b32 s2, 0xfc2757d1
	v_mad_u64_u32 v[14:15], s[2:3], v17, s2, v[9:10]
	v_cmp_lt_u32_e32 vcc, 63, v18
	v_cndmask_b32_e32 v9, 0, v16, vcc
	v_add_u32_e32 v18, v9, v18
	v_mov_b32_e32 v9, v15
	s_mov_b32 s2, 0x4e441529
	v_mad_u64_u32 v[15:16], s[2:3], v17, s2, v[9:10]
	v_cmp_lt_u32_e64 s[2:3], 31, v18
	v_cndmask_b32_e64 v9, 0, v19, s[2:3]
	v_add_u32_e32 v18, v9, v18
	v_mov_b32_e32 v9, v16
	s_mov_b32 s4, 0xa2f9836e
	v_mad_u64_u32 v[9:10], s[4:5], v17, s4, v[9:10]
	v_cmp_lt_u32_e64 s[4:5], 31, v18
	v_cndmask_b32_e64 v16, 0, v19, s[4:5]
	v_cndmask_b32_e32 v17, v15, v13, vcc
	v_cndmask_b32_e32 v9, v9, v14, vcc
	;; [unrolled: 1-line block ×3, first 2 shown]
	v_add_u32_e32 v16, v16, v18
	v_cndmask_b32_e64 v18, v9, v17, s[2:3]
	v_cndmask_b32_e64 v9, v10, v9, s[2:3]
	v_cndmask_b32_e32 v10, v14, v12, vcc
	v_cndmask_b32_e64 v14, v17, v10, s[2:3]
	v_cndmask_b32_e64 v9, v9, v18, s[4:5]
	;; [unrolled: 1-line block ×3, first 2 shown]
	v_sub_u32_e32 v17, 32, v16
	v_alignbit_b32 v18, v9, v15, v17
	v_cmp_eq_u32_e64 s[6:7], 0, v16
	v_cndmask_b32_e64 v16, v18, v9, s[6:7]
	v_cndmask_b32_e32 v9, v13, v11, vcc
	v_cndmask_b32_e64 v10, v10, v9, s[2:3]
	v_cndmask_b32_e64 v11, v14, v10, s[4:5]
	v_alignbit_b32 v13, v15, v11, v17
	v_cndmask_b32_e32 v8, v12, v8, vcc
	v_cndmask_b32_e64 v13, v13, v15, s[6:7]
	v_bfe_u32 v18, v16, 29, 1
	v_cndmask_b32_e64 v8, v9, v8, s[2:3]
	v_alignbit_b32 v14, v16, v13, 30
	v_sub_u32_e32 v19, 0, v18
	v_cndmask_b32_e64 v8, v10, v8, s[4:5]
	v_xor_b32_e32 v14, v14, v19
	v_alignbit_b32 v9, v11, v8, v17
	v_cndmask_b32_e64 v9, v9, v11, s[6:7]
	v_ffbh_u32_e32 v11, v14
	v_alignbit_b32 v10, v13, v9, 30
	v_min_u32_e32 v11, 32, v11
	v_alignbit_b32 v8, v9, v8, 30
	v_xor_b32_e32 v10, v10, v19
	v_sub_u32_e32 v12, 31, v11
	v_xor_b32_e32 v8, v8, v19
	v_alignbit_b32 v13, v14, v10, v12
	v_alignbit_b32 v8, v10, v8, v12
	;; [unrolled: 1-line block ×3, first 2 shown]
	v_ffbh_u32_e32 v10, v9
	v_min_u32_e32 v10, 32, v10
	v_lshrrev_b32_e32 v15, 29, v16
	v_not_b32_e32 v12, v10
	v_alignbit_b32 v8, v9, v8, v12
	v_lshlrev_b32_e32 v9, 31, v15
	v_or_b32_e32 v12, 0x33000000, v9
	v_add_lshl_u32 v10, v10, v11, 23
	v_lshrrev_b32_e32 v8, 9, v8
	v_sub_u32_e32 v10, v12, v10
	v_or_b32_e32 v9, 0.5, v9
	v_lshlrev_b32_e32 v11, 23, v11
	v_or_b32_e32 v8, v10, v8
	v_lshrrev_b32_e32 v10, 9, v13
	v_sub_u32_e32 v9, v9, v11
	v_or_b32_e32 v9, v10, v9
	s_mov_b32 s2, 0x3fc90fda
	v_mul_f32_e32 v10, 0x3fc90fda, v9
	v_fma_f32 v11, v9, s2, -v10
	v_fmac_f32_e32 v11, 0x33a22168, v9
	v_fmac_f32_e32 v11, 0x3fc90fda, v8
	v_lshrrev_b32_e32 v8, 30, v16
	v_add_f32_e32 v9, v10, v11
	v_add_u32_e32 v8, v18, v8
.LBB8_98:
	s_andn2_saveexec_b64 s[2:3], s[18:19]
	s_cbranch_execz .LBB8_100
; %bb.99:
	s_mov_b32 s4, 0x3f22f983
	v_mul_f32_e64 v8, |v7|, s4
	v_rndne_f32_e32 v10, v8
	s_mov_b32 s4, 0xbfc90fda
	v_cvt_i32_f32_e32 v8, v10
	v_fma_f32 v9, v10, s4, |v7|
	v_fmac_f32_e32 v9, 0xb3a22168, v10
	v_fmac_f32_e32 v9, 0xa7c234c4, v10
.LBB8_100:
	s_or_b64 exec, exec, s[2:3]
	v_mul_f32_e32 v10, v9, v9
	v_mov_b32_e32 v11, 0x3c0881c4
	v_fmac_f32_e32 v11, 0xb94c1982, v10
	v_mov_b32_e32 v12, 0xbe2aaa9d
	v_fmac_f32_e32 v12, v10, v11
	v_mul_f32_e32 v11, v10, v12
	v_fmac_f32_e32 v9, v9, v11
	v_mov_b32_e32 v11, 0xbab64f3b
	v_fmac_f32_e32 v11, 0x37d75334, v10
	v_mov_b32_e32 v12, 0x3d2aabf7
	;; [unrolled: 2-line block ×3, first 2 shown]
	v_fmac_f32_e32 v11, v10, v12
	v_fma_f32 v10, v10, v11, 1.0
	v_and_b32_e32 v11, 1, v8
	v_lshlrev_b32_e32 v8, 30, v8
	v_cmp_eq_u32_e32 vcc, 0, v11
	v_and_b32_e32 v8, 0x80000000, v8
	v_xor_b32_e32 v4, v4, v7
	v_cndmask_b32_e32 v9, v10, v9, vcc
	v_xor_b32_e32 v4, v4, v8
	s_movk_i32 s2, 0x1f8
	v_xor_b32_e32 v4, v4, v9
	v_mov_b32_e32 v8, 0x7fc00000
	v_cmp_class_f32_e64 vcc, v7, s2
	v_cndmask_b32_e32 v4, v8, v4, vcc
	v_div_scale_f32 v8, s[2:3], v7, v7, v4
	v_div_scale_f32 v9, vcc, v4, v7, v4
	v_rcp_f32_e32 v10, v8
	v_fma_f32 v11, -v8, v10, 1.0
	v_fmac_f32_e32 v10, v11, v10
	v_mul_f32_e32 v11, v9, v10
	v_fma_f32 v12, -v8, v11, v9
	v_fmac_f32_e32 v11, v12, v10
	v_fma_f32 v8, -v8, v11, v9
	v_div_fmas_f32 v8, v8, v10, v11
	v_div_fixup_f32 v4, v8, v7, v4
                                        ; implicit-def: $vgpr7
.LBB8_101:
	s_andn2_saveexec_b64 s[2:3], s[16:17]
	s_cbranch_execz .LBB8_103
; %bb.102:
	v_mul_f32_e32 v4, v7, v7
	v_mov_b32_e32 v7, 0xb2d7322b
	v_fmac_f32_e32 v7, 0x2f309231, v4
	v_mov_b32_e32 v8, 0x3638ef1d
	v_fmac_f32_e32 v8, v4, v7
	;; [unrolled: 2-line block ×5, first 2 shown]
	v_fma_f32 v4, v4, v7, 1.0
.LBB8_103:
	s_or_b64 exec, exec, s[2:3]
.LBB8_104:
	s_or_b64 exec, exec, s[14:15]
	s_or_b64 exec, exec, s[10:11]
	s_and_saveexec_b64 s[2:3], s[0:1]
	s_xor_b64 s[0:1], exec, s[2:3]
	s_cbranch_execz .LBB8_89
.LBB8_105:
	v_mov_b32_e32 v7, 0
	v_lshlrev_b64 v[6:7], 2, v[6:7]
	v_mov_b32_e32 v0, s9
	v_add_co_u32_e32 v6, vcc, s8, v6
	v_addc_co_u32_e32 v7, vcc, v0, v7, vcc
	v_mov_b32_e32 v0, v5
	global_store_dword v[6:7], v1, off
	s_or_b64 exec, exec, s[0:1]
	v_cmp_gt_i32_e32 vcc, s20, v0
	s_and_saveexec_b64 s[0:1], vcc
	s_cbranch_execz .LBB8_90
.LBB8_106:
	v_add_u32_e32 v5, s12, v0
	v_mov_b32_e32 v6, 0
	v_lshlrev_b64 v[5:6], 2, v[5:6]
	v_mov_b32_e32 v1, s9
	v_add_co_u32_e32 v5, vcc, s8, v5
	v_addc_co_u32_e32 v6, vcc, v1, v6, vcc
	v_add_u32_e32 v0, 0x100, v0
	global_store_dword v[5:6], v2, off
	s_or_b64 exec, exec, s[0:1]
	v_cmp_gt_i32_e32 vcc, s20, v0
	s_and_saveexec_b64 s[0:1], vcc
	s_cbranch_execz .LBB8_91
.LBB8_107:
	v_add_u32_e32 v1, s12, v0
	v_mov_b32_e32 v2, 0
	v_lshlrev_b64 v[1:2], 2, v[1:2]
	v_mov_b32_e32 v5, s9
	v_add_co_u32_e32 v1, vcc, s8, v1
	v_addc_co_u32_e32 v2, vcc, v5, v2, vcc
	v_add_u32_e32 v0, 0x100, v0
	global_store_dword v[1:2], v3, off
	s_or_b64 exec, exec, s[0:1]
	v_cmp_gt_i32_e32 vcc, s20, v0
	s_and_saveexec_b64 s[0:1], vcc
	s_cbranch_execnz .LBB8_92
	s_branch .LBB8_93
	.section	.rodata,"a",@progbits
	.p2align	6, 0x0
	.amdhsa_kernel _ZN2at6native29vectorized_elementwise_kernelILi16EZZZNS0_12_GLOBAL__N_131spherical_bessel_j0_kernel_cudaERNS_18TensorIteratorBaseEENKUlvE_clEvENKUlvE0_clEvEUlfE_St5arrayIPcLm2EEEEviT0_T1_
		.amdhsa_group_segment_fixed_size 0
		.amdhsa_private_segment_fixed_size 0
		.amdhsa_kernarg_size 24
		.amdhsa_user_sgpr_count 6
		.amdhsa_user_sgpr_private_segment_buffer 1
		.amdhsa_user_sgpr_dispatch_ptr 0
		.amdhsa_user_sgpr_queue_ptr 0
		.amdhsa_user_sgpr_kernarg_segment_ptr 1
		.amdhsa_user_sgpr_dispatch_id 0
		.amdhsa_user_sgpr_flat_scratch_init 0
		.amdhsa_user_sgpr_private_segment_size 0
		.amdhsa_uses_dynamic_stack 0
		.amdhsa_system_sgpr_private_segment_wavefront_offset 0
		.amdhsa_system_sgpr_workgroup_id_x 1
		.amdhsa_system_sgpr_workgroup_id_y 0
		.amdhsa_system_sgpr_workgroup_id_z 0
		.amdhsa_system_sgpr_workgroup_info 0
		.amdhsa_system_vgpr_workitem_id 0
		.amdhsa_next_free_vgpr 22
		.amdhsa_next_free_sgpr 21
		.amdhsa_reserve_vcc 1
		.amdhsa_reserve_flat_scratch 0
		.amdhsa_float_round_mode_32 0
		.amdhsa_float_round_mode_16_64 0
		.amdhsa_float_denorm_mode_32 3
		.amdhsa_float_denorm_mode_16_64 3
		.amdhsa_dx10_clamp 1
		.amdhsa_ieee_mode 1
		.amdhsa_fp16_overflow 0
		.amdhsa_exception_fp_ieee_invalid_op 0
		.amdhsa_exception_fp_denorm_src 0
		.amdhsa_exception_fp_ieee_div_zero 0
		.amdhsa_exception_fp_ieee_overflow 0
		.amdhsa_exception_fp_ieee_underflow 0
		.amdhsa_exception_fp_ieee_inexact 0
		.amdhsa_exception_int_div_zero 0
	.end_amdhsa_kernel
	.section	.text._ZN2at6native29vectorized_elementwise_kernelILi16EZZZNS0_12_GLOBAL__N_131spherical_bessel_j0_kernel_cudaERNS_18TensorIteratorBaseEENKUlvE_clEvENKUlvE0_clEvEUlfE_St5arrayIPcLm2EEEEviT0_T1_,"axG",@progbits,_ZN2at6native29vectorized_elementwise_kernelILi16EZZZNS0_12_GLOBAL__N_131spherical_bessel_j0_kernel_cudaERNS_18TensorIteratorBaseEENKUlvE_clEvENKUlvE0_clEvEUlfE_St5arrayIPcLm2EEEEviT0_T1_,comdat
.Lfunc_end8:
	.size	_ZN2at6native29vectorized_elementwise_kernelILi16EZZZNS0_12_GLOBAL__N_131spherical_bessel_j0_kernel_cudaERNS_18TensorIteratorBaseEENKUlvE_clEvENKUlvE0_clEvEUlfE_St5arrayIPcLm2EEEEviT0_T1_, .Lfunc_end8-_ZN2at6native29vectorized_elementwise_kernelILi16EZZZNS0_12_GLOBAL__N_131spherical_bessel_j0_kernel_cudaERNS_18TensorIteratorBaseEENKUlvE_clEvENKUlvE0_clEvEUlfE_St5arrayIPcLm2EEEEviT0_T1_
                                        ; -- End function
	.set _ZN2at6native29vectorized_elementwise_kernelILi16EZZZNS0_12_GLOBAL__N_131spherical_bessel_j0_kernel_cudaERNS_18TensorIteratorBaseEENKUlvE_clEvENKUlvE0_clEvEUlfE_St5arrayIPcLm2EEEEviT0_T1_.num_vgpr, 22
	.set _ZN2at6native29vectorized_elementwise_kernelILi16EZZZNS0_12_GLOBAL__N_131spherical_bessel_j0_kernel_cudaERNS_18TensorIteratorBaseEENKUlvE_clEvENKUlvE0_clEvEUlfE_St5arrayIPcLm2EEEEviT0_T1_.num_agpr, 0
	.set _ZN2at6native29vectorized_elementwise_kernelILi16EZZZNS0_12_GLOBAL__N_131spherical_bessel_j0_kernel_cudaERNS_18TensorIteratorBaseEENKUlvE_clEvENKUlvE0_clEvEUlfE_St5arrayIPcLm2EEEEviT0_T1_.numbered_sgpr, 21
	.set _ZN2at6native29vectorized_elementwise_kernelILi16EZZZNS0_12_GLOBAL__N_131spherical_bessel_j0_kernel_cudaERNS_18TensorIteratorBaseEENKUlvE_clEvENKUlvE0_clEvEUlfE_St5arrayIPcLm2EEEEviT0_T1_.num_named_barrier, 0
	.set _ZN2at6native29vectorized_elementwise_kernelILi16EZZZNS0_12_GLOBAL__N_131spherical_bessel_j0_kernel_cudaERNS_18TensorIteratorBaseEENKUlvE_clEvENKUlvE0_clEvEUlfE_St5arrayIPcLm2EEEEviT0_T1_.private_seg_size, 0
	.set _ZN2at6native29vectorized_elementwise_kernelILi16EZZZNS0_12_GLOBAL__N_131spherical_bessel_j0_kernel_cudaERNS_18TensorIteratorBaseEENKUlvE_clEvENKUlvE0_clEvEUlfE_St5arrayIPcLm2EEEEviT0_T1_.uses_vcc, 1
	.set _ZN2at6native29vectorized_elementwise_kernelILi16EZZZNS0_12_GLOBAL__N_131spherical_bessel_j0_kernel_cudaERNS_18TensorIteratorBaseEENKUlvE_clEvENKUlvE0_clEvEUlfE_St5arrayIPcLm2EEEEviT0_T1_.uses_flat_scratch, 0
	.set _ZN2at6native29vectorized_elementwise_kernelILi16EZZZNS0_12_GLOBAL__N_131spherical_bessel_j0_kernel_cudaERNS_18TensorIteratorBaseEENKUlvE_clEvENKUlvE0_clEvEUlfE_St5arrayIPcLm2EEEEviT0_T1_.has_dyn_sized_stack, 0
	.set _ZN2at6native29vectorized_elementwise_kernelILi16EZZZNS0_12_GLOBAL__N_131spherical_bessel_j0_kernel_cudaERNS_18TensorIteratorBaseEENKUlvE_clEvENKUlvE0_clEvEUlfE_St5arrayIPcLm2EEEEviT0_T1_.has_recursion, 0
	.set _ZN2at6native29vectorized_elementwise_kernelILi16EZZZNS0_12_GLOBAL__N_131spherical_bessel_j0_kernel_cudaERNS_18TensorIteratorBaseEENKUlvE_clEvENKUlvE0_clEvEUlfE_St5arrayIPcLm2EEEEviT0_T1_.has_indirect_call, 0
	.section	.AMDGPU.csdata,"",@progbits
; Kernel info:
; codeLenInByte = 9188
; TotalNumSgprs: 25
; NumVgprs: 22
; ScratchSize: 0
; MemoryBound: 0
; FloatMode: 240
; IeeeMode: 1
; LDSByteSize: 0 bytes/workgroup (compile time only)
; SGPRBlocks: 3
; VGPRBlocks: 5
; NumSGPRsForWavesPerEU: 25
; NumVGPRsForWavesPerEU: 22
; Occupancy: 10
; WaveLimiterHint : 0
; COMPUTE_PGM_RSRC2:SCRATCH_EN: 0
; COMPUTE_PGM_RSRC2:USER_SGPR: 6
; COMPUTE_PGM_RSRC2:TRAP_HANDLER: 0
; COMPUTE_PGM_RSRC2:TGID_X_EN: 1
; COMPUTE_PGM_RSRC2:TGID_Y_EN: 0
; COMPUTE_PGM_RSRC2:TGID_Z_EN: 0
; COMPUTE_PGM_RSRC2:TIDIG_COMP_CNT: 0
	.section	.text._ZN2at6native29vectorized_elementwise_kernelILi8EZZZNS0_12_GLOBAL__N_131spherical_bessel_j0_kernel_cudaERNS_18TensorIteratorBaseEENKUlvE_clEvENKUlvE0_clEvEUlfE_St5arrayIPcLm2EEEEviT0_T1_,"axG",@progbits,_ZN2at6native29vectorized_elementwise_kernelILi8EZZZNS0_12_GLOBAL__N_131spherical_bessel_j0_kernel_cudaERNS_18TensorIteratorBaseEENKUlvE_clEvENKUlvE0_clEvEUlfE_St5arrayIPcLm2EEEEviT0_T1_,comdat
	.globl	_ZN2at6native29vectorized_elementwise_kernelILi8EZZZNS0_12_GLOBAL__N_131spherical_bessel_j0_kernel_cudaERNS_18TensorIteratorBaseEENKUlvE_clEvENKUlvE0_clEvEUlfE_St5arrayIPcLm2EEEEviT0_T1_ ; -- Begin function _ZN2at6native29vectorized_elementwise_kernelILi8EZZZNS0_12_GLOBAL__N_131spherical_bessel_j0_kernel_cudaERNS_18TensorIteratorBaseEENKUlvE_clEvENKUlvE0_clEvEUlfE_St5arrayIPcLm2EEEEviT0_T1_
	.p2align	8
	.type	_ZN2at6native29vectorized_elementwise_kernelILi8EZZZNS0_12_GLOBAL__N_131spherical_bessel_j0_kernel_cudaERNS_18TensorIteratorBaseEENKUlvE_clEvENKUlvE0_clEvEUlfE_St5arrayIPcLm2EEEEviT0_T1_,@function
_ZN2at6native29vectorized_elementwise_kernelILi8EZZZNS0_12_GLOBAL__N_131spherical_bessel_j0_kernel_cudaERNS_18TensorIteratorBaseEENKUlvE_clEvENKUlvE0_clEvEUlfE_St5arrayIPcLm2EEEEviT0_T1_: ; @_ZN2at6native29vectorized_elementwise_kernelILi8EZZZNS0_12_GLOBAL__N_131spherical_bessel_j0_kernel_cudaERNS_18TensorIteratorBaseEENKUlvE_clEvENKUlvE0_clEvEUlfE_St5arrayIPcLm2EEEEviT0_T1_
; %bb.0:
	s_load_dword s0, s[4:5], 0x0
	s_load_dwordx4 s[8:11], s[4:5], 0x8
	s_lshl_b32 s12, s6, 10
	s_waitcnt lgkmcnt(0)
	s_sub_i32 s20, s0, s12
	s_cmpk_gt_i32 s20, 0x3ff
	s_mov_b64 s[0:1], -1
	s_cbranch_scc0 .LBB9_42
; %bb.1:
	s_ashr_i32 s13, s12, 31
	s_lshl_b64 s[6:7], s[12:13], 2
	s_add_u32 s0, s10, s6
	s_addc_u32 s1, s11, s7
	v_lshlrev_b32_e32 v9, 4, v0
	global_load_dwordx4 v[5:8], v9, s[0:1]
	s_mov_b32 s13, 0x7f800000
	v_mov_b32_e32 v2, 0
	v_mov_b32_e32 v1, 0
	s_waitcnt vmcnt(0)
	v_cmp_neq_f32_e64 s[0:1], |v5|, s13
	s_and_saveexec_b64 s[14:15], s[0:1]
	s_cbranch_execz .LBB9_11
; %bb.2:
	v_cmp_nlt_f32_e64 s[0:1], |v5|, 0.5
	s_and_saveexec_b64 s[2:3], s[0:1]
	s_xor_b64 s[16:17], exec, s[2:3]
	s_cbranch_execz .LBB9_8
; %bb.3:
	s_brev_b32 s0, 18
	v_and_b32_e32 v1, 0x7fffffff, v5
	v_cmp_nlt_f32_e64 s[0:1], |v5|, s0
                                        ; implicit-def: $vgpr3
                                        ; implicit-def: $vgpr4
	s_and_saveexec_b64 s[2:3], s[0:1]
	s_xor_b64 s[18:19], exec, s[2:3]
	s_cbranch_execz .LBB9_5
; %bb.4:
	v_and_b32_e32 v3, 0x7fffff, v1
	v_or_b32_e32 v18, 0x800000, v3
	s_mov_b32 s0, 0xfe5163ab
	v_mad_u64_u32 v[3:4], s[0:1], v18, s0, 0
	v_mov_b32_e32 v11, 0
	s_mov_b32 s0, 0x3c439041
	v_mov_b32_e32 v10, v4
	v_mad_u64_u32 v[12:13], s[0:1], v18, s0, v[10:11]
	s_mov_b32 s0, 0xdb629599
	v_lshrrev_b32_e32 v4, 23, v1
	v_mov_b32_e32 v10, v13
	v_mad_u64_u32 v[13:14], s[0:1], v18, s0, v[10:11]
	s_mov_b32 s0, 0xf534ddc0
	v_add_u32_e32 v4, 0xffffff88, v4
	v_mov_b32_e32 v10, v14
	v_mad_u64_u32 v[14:15], s[0:1], v18, s0, v[10:11]
	s_mov_b32 s0, 0xfc2757d1
	v_not_b32_e32 v17, 63
	v_mov_b32_e32 v10, v15
	v_mad_u64_u32 v[15:16], s[0:1], v18, s0, v[10:11]
	v_cmp_lt_u32_e32 vcc, 63, v4
	v_cndmask_b32_e32 v10, 0, v17, vcc
	v_add_u32_e32 v4, v10, v4
	v_mov_b32_e32 v10, v16
	s_mov_b32 s0, 0x4e441529
	v_mad_u64_u32 v[16:17], s[0:1], v18, s0, v[10:11]
	v_not_b32_e32 v19, 31
	v_cmp_lt_u32_e64 s[0:1], 31, v4
	v_cndmask_b32_e64 v10, 0, v19, s[0:1]
	v_add_u32_e32 v4, v10, v4
	v_mov_b32_e32 v10, v17
	s_mov_b32 s2, 0xa2f9836e
	v_mad_u64_u32 v[10:11], s[2:3], v18, s2, v[10:11]
	v_cmp_lt_u32_e64 s[2:3], 31, v4
	v_cndmask_b32_e64 v17, 0, v19, s[2:3]
	v_add_u32_e32 v4, v17, v4
	v_cndmask_b32_e32 v17, v16, v14, vcc
	v_cndmask_b32_e32 v10, v10, v15, vcc
	;; [unrolled: 1-line block ×3, first 2 shown]
	v_cndmask_b32_e64 v18, v10, v17, s[0:1]
	v_cndmask_b32_e64 v10, v11, v10, s[0:1]
	v_cndmask_b32_e32 v11, v15, v13, vcc
	v_cndmask_b32_e64 v15, v17, v11, s[0:1]
	v_sub_u32_e32 v17, 32, v4
	v_cmp_eq_u32_e64 s[4:5], 0, v4
	v_cndmask_b32_e32 v4, v14, v12, vcc
	v_cndmask_b32_e64 v10, v10, v18, s[2:3]
	v_cndmask_b32_e64 v16, v18, v15, s[2:3]
	;; [unrolled: 1-line block ×3, first 2 shown]
	v_alignbit_b32 v18, v10, v16, v17
	v_cndmask_b32_e64 v12, v15, v11, s[2:3]
	v_cndmask_b32_e64 v10, v18, v10, s[4:5]
	v_alignbit_b32 v14, v16, v12, v17
	v_cndmask_b32_e32 v3, v13, v3, vcc
	v_cndmask_b32_e64 v14, v14, v16, s[4:5]
	v_bfe_u32 v18, v10, 29, 1
	v_cndmask_b32_e64 v3, v4, v3, s[0:1]
	v_alignbit_b32 v15, v10, v14, 30
	v_sub_u32_e32 v19, 0, v18
	v_cndmask_b32_e64 v3, v11, v3, s[2:3]
	v_xor_b32_e32 v15, v15, v19
	v_alignbit_b32 v4, v12, v3, v17
	v_cndmask_b32_e64 v4, v4, v12, s[4:5]
	v_ffbh_u32_e32 v12, v15
	v_alignbit_b32 v11, v14, v4, 30
	v_min_u32_e32 v12, 32, v12
	v_alignbit_b32 v3, v4, v3, 30
	v_xor_b32_e32 v11, v11, v19
	v_sub_u32_e32 v13, 31, v12
	v_xor_b32_e32 v3, v3, v19
	v_alignbit_b32 v14, v15, v11, v13
	v_alignbit_b32 v3, v11, v3, v13
	;; [unrolled: 1-line block ×3, first 2 shown]
	v_ffbh_u32_e32 v11, v4
	v_min_u32_e32 v11, 32, v11
	v_lshrrev_b32_e32 v16, 29, v10
	v_not_b32_e32 v13, v11
	v_alignbit_b32 v3, v4, v3, v13
	v_lshlrev_b32_e32 v4, 31, v16
	v_or_b32_e32 v13, 0x33000000, v4
	v_add_lshl_u32 v11, v11, v12, 23
	v_lshrrev_b32_e32 v3, 9, v3
	v_sub_u32_e32 v11, v13, v11
	v_or_b32_e32 v4, 0.5, v4
	v_lshlrev_b32_e32 v12, 23, v12
	v_or_b32_e32 v3, v11, v3
	v_lshrrev_b32_e32 v11, 9, v14
	v_sub_u32_e32 v4, v4, v12
	v_or_b32_e32 v4, v11, v4
	s_mov_b32 s0, 0x3fc90fda
	v_mul_f32_e32 v11, 0x3fc90fda, v4
	v_fma_f32 v12, v4, s0, -v11
	v_fmac_f32_e32 v12, 0x33a22168, v4
	v_fmac_f32_e32 v12, 0x3fc90fda, v3
	v_lshrrev_b32_e32 v3, 30, v10
	v_add_f32_e32 v4, v11, v12
	v_add_u32_e32 v3, v18, v3
.LBB9_5:
	s_andn2_saveexec_b64 s[0:1], s[18:19]
	s_cbranch_execz .LBB9_7
; %bb.6:
	s_mov_b32 s2, 0x3f22f983
	v_mul_f32_e64 v3, |v5|, s2
	v_rndne_f32_e32 v10, v3
	s_mov_b32 s2, 0xbfc90fda
	v_cvt_i32_f32_e32 v3, v10
	v_fma_f32 v4, v10, s2, |v5|
	v_fmac_f32_e32 v4, 0xb3a22168, v10
	v_fmac_f32_e32 v4, 0xa7c234c4, v10
.LBB9_7:
	s_or_b64 exec, exec, s[0:1]
	v_mul_f32_e32 v10, v4, v4
	v_mov_b32_e32 v11, 0x3c0881c4
	v_fmac_f32_e32 v11, 0xb94c1982, v10
	v_mov_b32_e32 v12, 0xbe2aaa9d
	v_fmac_f32_e32 v12, v10, v11
	v_mul_f32_e32 v11, v10, v12
	v_fmac_f32_e32 v4, v4, v11
	v_mov_b32_e32 v11, 0xbab64f3b
	v_fmac_f32_e32 v11, 0x37d75334, v10
	v_mov_b32_e32 v12, 0x3d2aabf7
	;; [unrolled: 2-line block ×3, first 2 shown]
	v_fmac_f32_e32 v11, v10, v12
	v_fma_f32 v10, v10, v11, 1.0
	v_and_b32_e32 v11, 1, v3
	v_lshlrev_b32_e32 v3, 30, v3
	v_cmp_eq_u32_e32 vcc, 0, v11
	v_and_b32_e32 v3, 0x80000000, v3
	v_xor_b32_e32 v1, v1, v5
	v_cndmask_b32_e32 v4, v10, v4, vcc
	v_xor_b32_e32 v1, v1, v3
	s_movk_i32 s0, 0x1f8
	v_xor_b32_e32 v1, v1, v4
	v_mov_b32_e32 v3, 0x7fc00000
	v_cmp_class_f32_e64 vcc, v5, s0
	v_cndmask_b32_e32 v1, v3, v1, vcc
	v_div_scale_f32 v3, s[0:1], v5, v5, v1
	v_div_scale_f32 v4, vcc, v1, v5, v1
	v_rcp_f32_e32 v10, v3
	v_fma_f32 v11, -v3, v10, 1.0
	v_fmac_f32_e32 v10, v11, v10
	v_mul_f32_e32 v11, v4, v10
	v_fma_f32 v12, -v3, v11, v4
	v_fmac_f32_e32 v11, v12, v10
	v_fma_f32 v3, -v3, v11, v4
	v_div_fmas_f32 v3, v3, v10, v11
	v_div_fixup_f32 v1, v3, v5, v1
.LBB9_8:
	s_andn2_saveexec_b64 s[0:1], s[16:17]
	s_cbranch_execz .LBB9_10
; %bb.9:
	v_mul_f32_e32 v1, v5, v5
	v_mov_b32_e32 v3, 0xb2d7322b
	v_fmac_f32_e32 v3, 0x2f309231, v1
	v_mov_b32_e32 v4, 0x3638ef1d
	v_fmac_f32_e32 v4, v1, v3
	;; [unrolled: 2-line block ×5, first 2 shown]
	v_fma_f32 v1, v1, v3, 1.0
.LBB9_10:
	s_or_b64 exec, exec, s[0:1]
.LBB9_11:
	s_or_b64 exec, exec, s[14:15]
	v_cmp_neq_f32_e64 s[0:1], |v6|, s13
	s_and_saveexec_b64 s[14:15], s[0:1]
	s_cbranch_execz .LBB9_21
; %bb.12:
	v_cmp_nlt_f32_e64 s[0:1], |v6|, 0.5
	s_and_saveexec_b64 s[2:3], s[0:1]
	s_xor_b64 s[16:17], exec, s[2:3]
	s_cbranch_execz .LBB9_18
; %bb.13:
	s_brev_b32 s0, 18
	v_and_b32_e32 v2, 0x7fffffff, v6
	v_cmp_nlt_f32_e64 s[0:1], |v6|, s0
                                        ; implicit-def: $vgpr3
                                        ; implicit-def: $vgpr4
	s_and_saveexec_b64 s[2:3], s[0:1]
	s_xor_b64 s[18:19], exec, s[2:3]
	s_cbranch_execz .LBB9_15
; %bb.14:
	v_and_b32_e32 v3, 0x7fffff, v2
	v_or_b32_e32 v16, 0x800000, v3
	s_mov_b32 s0, 0xfe5163ab
	v_mad_u64_u32 v[3:4], s[0:1], v16, s0, 0
	v_mov_b32_e32 v5, 0
	s_mov_b32 s0, 0x3c439041
	v_mad_u64_u32 v[10:11], s[0:1], v16, s0, v[4:5]
	s_mov_b32 s0, 0xdb629599
	v_not_b32_e32 v15, 63
	v_mov_b32_e32 v4, v11
	v_mad_u64_u32 v[11:12], s[0:1], v16, s0, v[4:5]
	s_mov_b32 s0, 0xf534ddc0
	v_not_b32_e32 v18, 31
	v_mov_b32_e32 v4, v12
	v_mad_u64_u32 v[12:13], s[0:1], v16, s0, v[4:5]
	v_lshrrev_b32_e32 v4, 23, v2
	v_add_u32_e32 v17, 0xffffff88, v4
	v_mov_b32_e32 v4, v13
	s_mov_b32 s0, 0xfc2757d1
	v_mad_u64_u32 v[13:14], s[0:1], v16, s0, v[4:5]
	v_cmp_lt_u32_e32 vcc, 63, v17
	v_cndmask_b32_e32 v4, 0, v15, vcc
	v_add_u32_e32 v17, v4, v17
	v_mov_b32_e32 v4, v14
	s_mov_b32 s0, 0x4e441529
	v_mad_u64_u32 v[14:15], s[0:1], v16, s0, v[4:5]
	v_cmp_lt_u32_e64 s[0:1], 31, v17
	v_cndmask_b32_e64 v4, 0, v18, s[0:1]
	v_add_u32_e32 v17, v4, v17
	v_mov_b32_e32 v4, v15
	s_mov_b32 s2, 0xa2f9836e
	v_mad_u64_u32 v[4:5], s[2:3], v16, s2, v[4:5]
	v_cmp_lt_u32_e64 s[2:3], 31, v17
	v_cndmask_b32_e64 v15, 0, v18, s[2:3]
	v_cndmask_b32_e32 v16, v14, v12, vcc
	v_cndmask_b32_e32 v4, v4, v13, vcc
	;; [unrolled: 1-line block ×3, first 2 shown]
	v_add_u32_e32 v15, v15, v17
	v_cndmask_b32_e64 v17, v4, v16, s[0:1]
	v_cndmask_b32_e64 v4, v5, v4, s[0:1]
	v_cndmask_b32_e32 v5, v13, v11, vcc
	v_cndmask_b32_e64 v13, v16, v5, s[0:1]
	v_cndmask_b32_e64 v4, v4, v17, s[2:3]
	;; [unrolled: 1-line block ×3, first 2 shown]
	v_sub_u32_e32 v16, 32, v15
	v_alignbit_b32 v17, v4, v14, v16
	v_cmp_eq_u32_e64 s[4:5], 0, v15
	v_cndmask_b32_e64 v15, v17, v4, s[4:5]
	v_cndmask_b32_e32 v4, v12, v10, vcc
	v_cndmask_b32_e64 v5, v5, v4, s[0:1]
	v_cndmask_b32_e64 v10, v13, v5, s[2:3]
	v_alignbit_b32 v12, v14, v10, v16
	v_cndmask_b32_e32 v3, v11, v3, vcc
	v_cndmask_b32_e64 v12, v12, v14, s[4:5]
	v_bfe_u32 v17, v15, 29, 1
	v_cndmask_b32_e64 v3, v4, v3, s[0:1]
	v_alignbit_b32 v13, v15, v12, 30
	v_sub_u32_e32 v18, 0, v17
	v_cndmask_b32_e64 v3, v5, v3, s[2:3]
	v_xor_b32_e32 v13, v13, v18
	v_alignbit_b32 v4, v10, v3, v16
	v_cndmask_b32_e64 v4, v4, v10, s[4:5]
	v_ffbh_u32_e32 v10, v13
	v_alignbit_b32 v5, v12, v4, 30
	v_min_u32_e32 v10, 32, v10
	v_alignbit_b32 v3, v4, v3, 30
	v_xor_b32_e32 v5, v5, v18
	v_sub_u32_e32 v11, 31, v10
	v_xor_b32_e32 v3, v3, v18
	v_alignbit_b32 v12, v13, v5, v11
	v_alignbit_b32 v3, v5, v3, v11
	;; [unrolled: 1-line block ×3, first 2 shown]
	v_ffbh_u32_e32 v5, v4
	v_min_u32_e32 v5, 32, v5
	v_lshrrev_b32_e32 v14, 29, v15
	v_not_b32_e32 v11, v5
	v_alignbit_b32 v3, v4, v3, v11
	v_lshlrev_b32_e32 v4, 31, v14
	v_or_b32_e32 v11, 0x33000000, v4
	v_add_lshl_u32 v5, v5, v10, 23
	v_lshrrev_b32_e32 v3, 9, v3
	v_sub_u32_e32 v5, v11, v5
	v_or_b32_e32 v4, 0.5, v4
	v_lshlrev_b32_e32 v10, 23, v10
	v_or_b32_e32 v3, v5, v3
	v_lshrrev_b32_e32 v5, 9, v12
	v_sub_u32_e32 v4, v4, v10
	v_or_b32_e32 v4, v5, v4
	s_mov_b32 s0, 0x3fc90fda
	v_mul_f32_e32 v5, 0x3fc90fda, v4
	v_fma_f32 v10, v4, s0, -v5
	v_fmac_f32_e32 v10, 0x33a22168, v4
	v_fmac_f32_e32 v10, 0x3fc90fda, v3
	v_lshrrev_b32_e32 v3, 30, v15
	v_add_f32_e32 v4, v5, v10
	v_add_u32_e32 v3, v17, v3
.LBB9_15:
	s_andn2_saveexec_b64 s[0:1], s[18:19]
	s_cbranch_execz .LBB9_17
; %bb.16:
	s_mov_b32 s2, 0x3f22f983
	v_mul_f32_e64 v3, |v6|, s2
	v_rndne_f32_e32 v5, v3
	s_mov_b32 s2, 0xbfc90fda
	v_cvt_i32_f32_e32 v3, v5
	v_fma_f32 v4, v5, s2, |v6|
	v_fmac_f32_e32 v4, 0xb3a22168, v5
	v_fmac_f32_e32 v4, 0xa7c234c4, v5
.LBB9_17:
	s_or_b64 exec, exec, s[0:1]
	v_mul_f32_e32 v5, v4, v4
	v_mov_b32_e32 v10, 0x3c0881c4
	v_fmac_f32_e32 v10, 0xb94c1982, v5
	v_mov_b32_e32 v11, 0xbe2aaa9d
	v_fmac_f32_e32 v11, v5, v10
	v_mul_f32_e32 v10, v5, v11
	v_fmac_f32_e32 v4, v4, v10
	v_mov_b32_e32 v10, 0xbab64f3b
	v_fmac_f32_e32 v10, 0x37d75334, v5
	v_mov_b32_e32 v11, 0x3d2aabf7
	;; [unrolled: 2-line block ×3, first 2 shown]
	v_fmac_f32_e32 v10, v5, v11
	v_fma_f32 v5, v5, v10, 1.0
	v_and_b32_e32 v10, 1, v3
	v_lshlrev_b32_e32 v3, 30, v3
	v_cmp_eq_u32_e32 vcc, 0, v10
	v_and_b32_e32 v3, 0x80000000, v3
	v_xor_b32_e32 v2, v2, v6
	v_cndmask_b32_e32 v4, v5, v4, vcc
	v_xor_b32_e32 v2, v2, v3
	s_movk_i32 s0, 0x1f8
	v_xor_b32_e32 v2, v2, v4
	v_mov_b32_e32 v3, 0x7fc00000
	v_cmp_class_f32_e64 vcc, v6, s0
	v_cndmask_b32_e32 v2, v3, v2, vcc
	v_div_scale_f32 v3, s[0:1], v6, v6, v2
	v_div_scale_f32 v4, vcc, v2, v6, v2
	v_rcp_f32_e32 v5, v3
	v_fma_f32 v10, -v3, v5, 1.0
	v_fmac_f32_e32 v5, v10, v5
	v_mul_f32_e32 v10, v4, v5
	v_fma_f32 v11, -v3, v10, v4
	v_fmac_f32_e32 v10, v11, v5
	v_fma_f32 v3, -v3, v10, v4
	v_div_fmas_f32 v3, v3, v5, v10
	v_div_fixup_f32 v2, v3, v6, v2
.LBB9_18:
	s_andn2_saveexec_b64 s[0:1], s[16:17]
	s_cbranch_execz .LBB9_20
; %bb.19:
	v_mul_f32_e32 v2, v6, v6
	v_mov_b32_e32 v3, 0xb2d7322b
	v_fmac_f32_e32 v3, 0x2f309231, v2
	v_mov_b32_e32 v4, 0x3638ef1d
	v_fmac_f32_e32 v4, v2, v3
	;; [unrolled: 2-line block ×5, first 2 shown]
	v_fma_f32 v2, v2, v3, 1.0
.LBB9_20:
	s_or_b64 exec, exec, s[0:1]
.LBB9_21:
	s_or_b64 exec, exec, s[14:15]
	v_cmp_neq_f32_e64 s[0:1], |v7|, s13
	v_mov_b32_e32 v4, 0
	v_mov_b32_e32 v3, 0
	s_and_saveexec_b64 s[14:15], s[0:1]
	s_cbranch_execz .LBB9_31
; %bb.22:
	v_cmp_nlt_f32_e64 s[0:1], |v7|, 0.5
	s_and_saveexec_b64 s[2:3], s[0:1]
	s_xor_b64 s[16:17], exec, s[2:3]
	s_cbranch_execz .LBB9_28
; %bb.23:
	s_brev_b32 s0, 18
	v_and_b32_e32 v3, 0x7fffffff, v7
	v_cmp_nlt_f32_e64 s[0:1], |v7|, s0
                                        ; implicit-def: $vgpr5
                                        ; implicit-def: $vgpr6
	s_and_saveexec_b64 s[2:3], s[0:1]
	s_xor_b64 s[18:19], exec, s[2:3]
	s_cbranch_execz .LBB9_25
; %bb.24:
	v_and_b32_e32 v5, 0x7fffff, v3
	v_or_b32_e32 v18, 0x800000, v5
	s_mov_b32 s0, 0xfe5163ab
	v_mad_u64_u32 v[5:6], s[0:1], v18, s0, 0
	v_mov_b32_e32 v11, 0
	s_mov_b32 s0, 0x3c439041
	v_mov_b32_e32 v10, v6
	v_mad_u64_u32 v[12:13], s[0:1], v18, s0, v[10:11]
	s_mov_b32 s0, 0xdb629599
	v_lshrrev_b32_e32 v6, 23, v3
	v_mov_b32_e32 v10, v13
	v_mad_u64_u32 v[13:14], s[0:1], v18, s0, v[10:11]
	s_mov_b32 s0, 0xf534ddc0
	v_add_u32_e32 v6, 0xffffff88, v6
	v_mov_b32_e32 v10, v14
	v_mad_u64_u32 v[14:15], s[0:1], v18, s0, v[10:11]
	s_mov_b32 s0, 0xfc2757d1
	v_not_b32_e32 v17, 63
	v_mov_b32_e32 v10, v15
	v_mad_u64_u32 v[15:16], s[0:1], v18, s0, v[10:11]
	v_cmp_lt_u32_e32 vcc, 63, v6
	v_cndmask_b32_e32 v10, 0, v17, vcc
	v_add_u32_e32 v6, v10, v6
	v_mov_b32_e32 v10, v16
	s_mov_b32 s0, 0x4e441529
	v_mad_u64_u32 v[16:17], s[0:1], v18, s0, v[10:11]
	v_not_b32_e32 v19, 31
	v_cmp_lt_u32_e64 s[0:1], 31, v6
	v_cndmask_b32_e64 v10, 0, v19, s[0:1]
	v_add_u32_e32 v6, v10, v6
	v_mov_b32_e32 v10, v17
	s_mov_b32 s2, 0xa2f9836e
	v_mad_u64_u32 v[10:11], s[2:3], v18, s2, v[10:11]
	v_cmp_lt_u32_e64 s[2:3], 31, v6
	v_cndmask_b32_e64 v17, 0, v19, s[2:3]
	v_add_u32_e32 v6, v17, v6
	v_cndmask_b32_e32 v17, v16, v14, vcc
	v_cndmask_b32_e32 v10, v10, v15, vcc
	;; [unrolled: 1-line block ×3, first 2 shown]
	v_cndmask_b32_e64 v18, v10, v17, s[0:1]
	v_cndmask_b32_e64 v10, v11, v10, s[0:1]
	v_cndmask_b32_e32 v11, v15, v13, vcc
	v_cndmask_b32_e64 v15, v17, v11, s[0:1]
	v_sub_u32_e32 v17, 32, v6
	v_cmp_eq_u32_e64 s[4:5], 0, v6
	v_cndmask_b32_e32 v6, v14, v12, vcc
	v_cndmask_b32_e64 v10, v10, v18, s[2:3]
	v_cndmask_b32_e64 v16, v18, v15, s[2:3]
	;; [unrolled: 1-line block ×3, first 2 shown]
	v_alignbit_b32 v18, v10, v16, v17
	v_cndmask_b32_e64 v12, v15, v11, s[2:3]
	v_cndmask_b32_e64 v10, v18, v10, s[4:5]
	v_alignbit_b32 v14, v16, v12, v17
	v_cndmask_b32_e32 v5, v13, v5, vcc
	v_cndmask_b32_e64 v14, v14, v16, s[4:5]
	v_bfe_u32 v18, v10, 29, 1
	v_cndmask_b32_e64 v5, v6, v5, s[0:1]
	v_alignbit_b32 v15, v10, v14, 30
	v_sub_u32_e32 v19, 0, v18
	v_cndmask_b32_e64 v5, v11, v5, s[2:3]
	v_xor_b32_e32 v15, v15, v19
	v_alignbit_b32 v6, v12, v5, v17
	v_cndmask_b32_e64 v6, v6, v12, s[4:5]
	v_ffbh_u32_e32 v12, v15
	v_alignbit_b32 v11, v14, v6, 30
	v_min_u32_e32 v12, 32, v12
	v_alignbit_b32 v5, v6, v5, 30
	v_xor_b32_e32 v11, v11, v19
	v_sub_u32_e32 v13, 31, v12
	v_xor_b32_e32 v5, v5, v19
	v_alignbit_b32 v14, v15, v11, v13
	v_alignbit_b32 v5, v11, v5, v13
	;; [unrolled: 1-line block ×3, first 2 shown]
	v_ffbh_u32_e32 v11, v6
	v_min_u32_e32 v11, 32, v11
	v_lshrrev_b32_e32 v16, 29, v10
	v_not_b32_e32 v13, v11
	v_alignbit_b32 v5, v6, v5, v13
	v_lshlrev_b32_e32 v6, 31, v16
	v_or_b32_e32 v13, 0x33000000, v6
	v_add_lshl_u32 v11, v11, v12, 23
	v_lshrrev_b32_e32 v5, 9, v5
	v_sub_u32_e32 v11, v13, v11
	v_or_b32_e32 v6, 0.5, v6
	v_lshlrev_b32_e32 v12, 23, v12
	v_or_b32_e32 v5, v11, v5
	v_lshrrev_b32_e32 v11, 9, v14
	v_sub_u32_e32 v6, v6, v12
	v_or_b32_e32 v6, v11, v6
	s_mov_b32 s0, 0x3fc90fda
	v_mul_f32_e32 v11, 0x3fc90fda, v6
	v_fma_f32 v12, v6, s0, -v11
	v_fmac_f32_e32 v12, 0x33a22168, v6
	v_fmac_f32_e32 v12, 0x3fc90fda, v5
	v_lshrrev_b32_e32 v5, 30, v10
	v_add_f32_e32 v6, v11, v12
	v_add_u32_e32 v5, v18, v5
.LBB9_25:
	s_andn2_saveexec_b64 s[0:1], s[18:19]
	s_cbranch_execz .LBB9_27
; %bb.26:
	s_mov_b32 s2, 0x3f22f983
	v_mul_f32_e64 v5, |v7|, s2
	v_rndne_f32_e32 v10, v5
	s_mov_b32 s2, 0xbfc90fda
	v_cvt_i32_f32_e32 v5, v10
	v_fma_f32 v6, v10, s2, |v7|
	v_fmac_f32_e32 v6, 0xb3a22168, v10
	v_fmac_f32_e32 v6, 0xa7c234c4, v10
.LBB9_27:
	s_or_b64 exec, exec, s[0:1]
	v_mul_f32_e32 v10, v6, v6
	v_mov_b32_e32 v11, 0x3c0881c4
	v_fmac_f32_e32 v11, 0xb94c1982, v10
	v_mov_b32_e32 v12, 0xbe2aaa9d
	v_fmac_f32_e32 v12, v10, v11
	v_mul_f32_e32 v11, v10, v12
	v_fmac_f32_e32 v6, v6, v11
	v_mov_b32_e32 v11, 0xbab64f3b
	v_fmac_f32_e32 v11, 0x37d75334, v10
	v_mov_b32_e32 v12, 0x3d2aabf7
	;; [unrolled: 2-line block ×3, first 2 shown]
	v_fmac_f32_e32 v11, v10, v12
	v_fma_f32 v10, v10, v11, 1.0
	v_and_b32_e32 v11, 1, v5
	v_lshlrev_b32_e32 v5, 30, v5
	v_cmp_eq_u32_e32 vcc, 0, v11
	v_and_b32_e32 v5, 0x80000000, v5
	v_xor_b32_e32 v3, v3, v7
	v_cndmask_b32_e32 v6, v10, v6, vcc
	v_xor_b32_e32 v3, v3, v5
	s_movk_i32 s0, 0x1f8
	v_xor_b32_e32 v3, v3, v6
	v_mov_b32_e32 v5, 0x7fc00000
	v_cmp_class_f32_e64 vcc, v7, s0
	v_cndmask_b32_e32 v3, v5, v3, vcc
	v_div_scale_f32 v5, s[0:1], v7, v7, v3
	v_div_scale_f32 v6, vcc, v3, v7, v3
	v_rcp_f32_e32 v10, v5
	v_fma_f32 v11, -v5, v10, 1.0
	v_fmac_f32_e32 v10, v11, v10
	v_mul_f32_e32 v11, v6, v10
	v_fma_f32 v12, -v5, v11, v6
	v_fmac_f32_e32 v11, v12, v10
	v_fma_f32 v5, -v5, v11, v6
	v_div_fmas_f32 v5, v5, v10, v11
	v_div_fixup_f32 v3, v5, v7, v3
.LBB9_28:
	s_andn2_saveexec_b64 s[0:1], s[16:17]
	s_cbranch_execz .LBB9_30
; %bb.29:
	v_mul_f32_e32 v3, v7, v7
	v_mov_b32_e32 v5, 0xb2d7322b
	v_fmac_f32_e32 v5, 0x2f309231, v3
	v_mov_b32_e32 v6, 0x3638ef1d
	v_fmac_f32_e32 v6, v3, v5
	;; [unrolled: 2-line block ×5, first 2 shown]
	v_fma_f32 v3, v3, v5, 1.0
.LBB9_30:
	s_or_b64 exec, exec, s[0:1]
.LBB9_31:
	s_or_b64 exec, exec, s[14:15]
	v_cmp_neq_f32_e64 s[0:1], |v8|, s13
	s_and_saveexec_b64 s[14:15], s[0:1]
	s_cbranch_execz .LBB9_41
; %bb.32:
	v_cmp_nlt_f32_e64 s[0:1], |v8|, 0.5
	s_and_saveexec_b64 s[2:3], s[0:1]
	s_xor_b64 s[16:17], exec, s[2:3]
	s_cbranch_execz .LBB9_38
; %bb.33:
	s_brev_b32 s0, 18
	v_and_b32_e32 v4, 0x7fffffff, v8
	v_cmp_nlt_f32_e64 s[0:1], |v8|, s0
                                        ; implicit-def: $vgpr5
                                        ; implicit-def: $vgpr6
	s_and_saveexec_b64 s[2:3], s[0:1]
	s_xor_b64 s[18:19], exec, s[2:3]
	s_cbranch_execz .LBB9_35
; %bb.34:
	v_and_b32_e32 v5, 0x7fffff, v4
	v_or_b32_e32 v16, 0x800000, v5
	s_mov_b32 s0, 0xfe5163ab
	v_mad_u64_u32 v[5:6], s[0:1], v16, s0, 0
	v_mov_b32_e32 v7, 0
	s_mov_b32 s0, 0x3c439041
	v_mad_u64_u32 v[10:11], s[0:1], v16, s0, v[6:7]
	s_mov_b32 s0, 0xdb629599
	v_not_b32_e32 v15, 63
	v_mov_b32_e32 v6, v11
	v_mad_u64_u32 v[11:12], s[0:1], v16, s0, v[6:7]
	s_mov_b32 s0, 0xf534ddc0
	v_not_b32_e32 v18, 31
	v_mov_b32_e32 v6, v12
	v_mad_u64_u32 v[12:13], s[0:1], v16, s0, v[6:7]
	v_lshrrev_b32_e32 v6, 23, v4
	v_add_u32_e32 v17, 0xffffff88, v6
	v_mov_b32_e32 v6, v13
	s_mov_b32 s0, 0xfc2757d1
	v_mad_u64_u32 v[13:14], s[0:1], v16, s0, v[6:7]
	v_cmp_lt_u32_e32 vcc, 63, v17
	v_cndmask_b32_e32 v6, 0, v15, vcc
	v_add_u32_e32 v17, v6, v17
	v_mov_b32_e32 v6, v14
	s_mov_b32 s0, 0x4e441529
	v_mad_u64_u32 v[14:15], s[0:1], v16, s0, v[6:7]
	v_cmp_lt_u32_e64 s[0:1], 31, v17
	v_cndmask_b32_e64 v6, 0, v18, s[0:1]
	v_add_u32_e32 v17, v6, v17
	v_mov_b32_e32 v6, v15
	s_mov_b32 s2, 0xa2f9836e
	v_mad_u64_u32 v[6:7], s[2:3], v16, s2, v[6:7]
	v_cmp_lt_u32_e64 s[2:3], 31, v17
	v_cndmask_b32_e64 v15, 0, v18, s[2:3]
	v_cndmask_b32_e32 v16, v14, v12, vcc
	v_cndmask_b32_e32 v6, v6, v13, vcc
	v_cndmask_b32_e32 v7, v7, v14, vcc
	v_add_u32_e32 v15, v15, v17
	v_cndmask_b32_e64 v17, v6, v16, s[0:1]
	v_cndmask_b32_e64 v6, v7, v6, s[0:1]
	v_cndmask_b32_e32 v7, v13, v11, vcc
	v_cndmask_b32_e64 v13, v16, v7, s[0:1]
	v_cndmask_b32_e64 v6, v6, v17, s[2:3]
	;; [unrolled: 1-line block ×3, first 2 shown]
	v_sub_u32_e32 v16, 32, v15
	v_alignbit_b32 v17, v6, v14, v16
	v_cmp_eq_u32_e64 s[4:5], 0, v15
	v_cndmask_b32_e64 v15, v17, v6, s[4:5]
	v_cndmask_b32_e32 v6, v12, v10, vcc
	v_cndmask_b32_e64 v7, v7, v6, s[0:1]
	v_cndmask_b32_e64 v10, v13, v7, s[2:3]
	v_alignbit_b32 v12, v14, v10, v16
	v_cndmask_b32_e32 v5, v11, v5, vcc
	v_cndmask_b32_e64 v12, v12, v14, s[4:5]
	v_bfe_u32 v17, v15, 29, 1
	v_cndmask_b32_e64 v5, v6, v5, s[0:1]
	v_alignbit_b32 v13, v15, v12, 30
	v_sub_u32_e32 v18, 0, v17
	v_cndmask_b32_e64 v5, v7, v5, s[2:3]
	v_xor_b32_e32 v13, v13, v18
	v_alignbit_b32 v6, v10, v5, v16
	v_cndmask_b32_e64 v6, v6, v10, s[4:5]
	v_ffbh_u32_e32 v10, v13
	v_alignbit_b32 v7, v12, v6, 30
	v_min_u32_e32 v10, 32, v10
	v_alignbit_b32 v5, v6, v5, 30
	v_xor_b32_e32 v7, v7, v18
	v_sub_u32_e32 v11, 31, v10
	v_xor_b32_e32 v5, v5, v18
	v_alignbit_b32 v12, v13, v7, v11
	v_alignbit_b32 v5, v7, v5, v11
	;; [unrolled: 1-line block ×3, first 2 shown]
	v_ffbh_u32_e32 v7, v6
	v_min_u32_e32 v7, 32, v7
	v_lshrrev_b32_e32 v14, 29, v15
	v_not_b32_e32 v11, v7
	v_alignbit_b32 v5, v6, v5, v11
	v_lshlrev_b32_e32 v6, 31, v14
	v_or_b32_e32 v11, 0x33000000, v6
	v_add_lshl_u32 v7, v7, v10, 23
	v_lshrrev_b32_e32 v5, 9, v5
	v_sub_u32_e32 v7, v11, v7
	v_or_b32_e32 v6, 0.5, v6
	v_lshlrev_b32_e32 v10, 23, v10
	v_or_b32_e32 v5, v7, v5
	v_lshrrev_b32_e32 v7, 9, v12
	v_sub_u32_e32 v6, v6, v10
	v_or_b32_e32 v6, v7, v6
	s_mov_b32 s0, 0x3fc90fda
	v_mul_f32_e32 v7, 0x3fc90fda, v6
	v_fma_f32 v10, v6, s0, -v7
	v_fmac_f32_e32 v10, 0x33a22168, v6
	v_fmac_f32_e32 v10, 0x3fc90fda, v5
	v_lshrrev_b32_e32 v5, 30, v15
	v_add_f32_e32 v6, v7, v10
	v_add_u32_e32 v5, v17, v5
.LBB9_35:
	s_andn2_saveexec_b64 s[0:1], s[18:19]
	s_cbranch_execz .LBB9_37
; %bb.36:
	s_mov_b32 s2, 0x3f22f983
	v_mul_f32_e64 v5, |v8|, s2
	v_rndne_f32_e32 v7, v5
	s_mov_b32 s2, 0xbfc90fda
	v_cvt_i32_f32_e32 v5, v7
	v_fma_f32 v6, v7, s2, |v8|
	v_fmac_f32_e32 v6, 0xb3a22168, v7
	v_fmac_f32_e32 v6, 0xa7c234c4, v7
.LBB9_37:
	s_or_b64 exec, exec, s[0:1]
	v_mul_f32_e32 v7, v6, v6
	v_mov_b32_e32 v10, 0x3c0881c4
	v_fmac_f32_e32 v10, 0xb94c1982, v7
	v_mov_b32_e32 v11, 0xbe2aaa9d
	v_fmac_f32_e32 v11, v7, v10
	v_mul_f32_e32 v10, v7, v11
	v_fmac_f32_e32 v6, v6, v10
	v_mov_b32_e32 v10, 0xbab64f3b
	v_fmac_f32_e32 v10, 0x37d75334, v7
	v_mov_b32_e32 v11, 0x3d2aabf7
	;; [unrolled: 2-line block ×3, first 2 shown]
	v_fmac_f32_e32 v10, v7, v11
	v_fma_f32 v7, v7, v10, 1.0
	v_and_b32_e32 v10, 1, v5
	v_lshlrev_b32_e32 v5, 30, v5
	v_cmp_eq_u32_e32 vcc, 0, v10
	v_and_b32_e32 v5, 0x80000000, v5
	v_xor_b32_e32 v4, v4, v8
	v_cndmask_b32_e32 v6, v7, v6, vcc
	v_xor_b32_e32 v4, v4, v5
	s_movk_i32 s0, 0x1f8
	v_xor_b32_e32 v4, v4, v6
	v_mov_b32_e32 v5, 0x7fc00000
	v_cmp_class_f32_e64 vcc, v8, s0
	v_cndmask_b32_e32 v4, v5, v4, vcc
	v_div_scale_f32 v5, s[0:1], v8, v8, v4
	v_div_scale_f32 v6, vcc, v4, v8, v4
	v_rcp_f32_e32 v7, v5
	v_fma_f32 v10, -v5, v7, 1.0
	v_fmac_f32_e32 v7, v10, v7
	v_mul_f32_e32 v10, v6, v7
	v_fma_f32 v11, -v5, v10, v6
	v_fmac_f32_e32 v10, v11, v7
	v_fma_f32 v5, -v5, v10, v6
	v_div_fmas_f32 v5, v5, v7, v10
	v_div_fixup_f32 v4, v5, v8, v4
                                        ; implicit-def: $vgpr5_vgpr6_vgpr7_vgpr8
.LBB9_38:
	s_andn2_saveexec_b64 s[0:1], s[16:17]
	s_cbranch_execz .LBB9_40
; %bb.39:
	v_mul_f32_e32 v4, v8, v8
	v_mov_b32_e32 v5, 0xb2d7322b
	v_fmac_f32_e32 v5, 0x2f309231, v4
	v_mov_b32_e32 v6, 0x3638ef1d
	v_fmac_f32_e32 v6, v4, v5
	;; [unrolled: 2-line block ×5, first 2 shown]
	v_fma_f32 v4, v4, v5, 1.0
.LBB9_40:
	s_or_b64 exec, exec, s[0:1]
.LBB9_41:
	s_or_b64 exec, exec, s[14:15]
	s_add_u32 s0, s8, s6
	s_addc_u32 s1, s9, s7
	global_store_dwordx4 v9, v[1:4], s[0:1]
	s_mov_b64 s[0:1], 0
.LBB9_42:
	s_and_b64 vcc, exec, s[0:1]
	s_cbranch_vccz .LBB9_93
; %bb.43:
	v_cmp_gt_i32_e64 s[0:1], s20, v0
	v_mov_b32_e32 v9, 0
	v_or_b32_e32 v6, s12, v0
	v_mov_b32_e32 v5, 0
	v_mov_b32_e32 v1, v0
	s_and_saveexec_b64 s[2:3], s[0:1]
	s_cbranch_execz .LBB9_45
; %bb.44:
	v_mov_b32_e32 v7, 0
	v_lshlrev_b64 v[1:2], 2, v[6:7]
	v_mov_b32_e32 v3, s11
	v_add_co_u32_e32 v1, vcc, s10, v1
	v_addc_co_u32_e32 v2, vcc, v3, v2, vcc
	global_load_dword v5, v[1:2], off
	v_or_b32_e32 v1, 0x100, v0
.LBB9_45:
	s_or_b64 exec, exec, s[2:3]
	v_cmp_gt_i32_e32 vcc, s20, v1
	s_and_saveexec_b64 s[2:3], vcc
	s_cbranch_execz .LBB9_47
; %bb.46:
	v_add_u32_e32 v2, s12, v1
	v_mov_b32_e32 v3, 0
	v_lshlrev_b64 v[2:3], 2, v[2:3]
	v_mov_b32_e32 v4, s11
	v_add_co_u32_e32 v2, vcc, s10, v2
	v_addc_co_u32_e32 v3, vcc, v4, v3, vcc
	global_load_dword v9, v[2:3], off
	v_add_u32_e32 v1, 0x100, v1
.LBB9_47:
	s_or_b64 exec, exec, s[2:3]
	v_cmp_gt_i32_e32 vcc, s20, v1
	v_mov_b32_e32 v7, 0
	v_mov_b32_e32 v8, 0
	s_and_saveexec_b64 s[2:3], vcc
	s_cbranch_execz .LBB9_49
; %bb.48:
	v_add_u32_e32 v2, s12, v1
	v_mov_b32_e32 v3, 0
	v_lshlrev_b64 v[2:3], 2, v[2:3]
	v_mov_b32_e32 v4, s11
	v_add_co_u32_e32 v2, vcc, s10, v2
	v_addc_co_u32_e32 v3, vcc, v4, v3, vcc
	global_load_dword v8, v[2:3], off
	v_add_u32_e32 v1, 0x100, v1
.LBB9_49:
	s_or_b64 exec, exec, s[2:3]
	v_cmp_gt_i32_e32 vcc, s20, v1
	s_and_saveexec_b64 s[2:3], vcc
	s_cbranch_execz .LBB9_51
; %bb.50:
	v_add_u32_e32 v1, s12, v1
	v_mov_b32_e32 v2, 0
	v_lshlrev_b64 v[1:2], 2, v[1:2]
	v_mov_b32_e32 v3, s11
	v_add_co_u32_e32 v1, vcc, s10, v1
	v_addc_co_u32_e32 v2, vcc, v3, v2, vcc
	global_load_dword v7, v[1:2], off
.LBB9_51:
	s_or_b64 exec, exec, s[2:3]
	v_mov_b32_e32 v1, 0
	v_mov_b32_e32 v2, v1
	;; [unrolled: 1-line block ×4, first 2 shown]
	s_and_saveexec_b64 s[10:11], s[0:1]
	s_cbranch_execz .LBB9_63
; %bb.52:
	s_mov_b32 s2, 0x7f800000
	s_waitcnt vmcnt(0)
	v_cmp_neq_f32_e64 s[2:3], |v5|, s2
	v_mov_b32_e32 v2, 0
	s_and_saveexec_b64 s[14:15], s[2:3]
	s_cbranch_execz .LBB9_62
; %bb.53:
	v_cmp_nlt_f32_e64 s[2:3], |v5|, 0.5
                                        ; implicit-def: $vgpr2
	s_and_saveexec_b64 s[4:5], s[2:3]
	s_xor_b64 s[16:17], exec, s[4:5]
	s_cbranch_execz .LBB9_59
; %bb.54:
	s_brev_b32 s2, 18
	v_and_b32_e32 v2, 0x7fffffff, v5
	v_cmp_nlt_f32_e64 s[2:3], |v5|, s2
                                        ; implicit-def: $vgpr3
                                        ; implicit-def: $vgpr4
	s_and_saveexec_b64 s[4:5], s[2:3]
	s_xor_b64 s[18:19], exec, s[4:5]
	s_cbranch_execz .LBB9_56
; %bb.55:
	v_and_b32_e32 v3, 0x7fffff, v2
	v_or_b32_e32 v18, 0x800000, v3
	s_mov_b32 s2, 0xfe5163ab
	v_mad_u64_u32 v[3:4], s[2:3], v18, s2, 0
	v_mov_b32_e32 v11, 0
	s_mov_b32 s2, 0x3c439041
	v_mov_b32_e32 v10, v4
	v_mad_u64_u32 v[12:13], s[2:3], v18, s2, v[10:11]
	s_mov_b32 s2, 0xdb629599
	v_lshrrev_b32_e32 v4, 23, v2
	v_mov_b32_e32 v10, v13
	v_mad_u64_u32 v[13:14], s[2:3], v18, s2, v[10:11]
	s_mov_b32 s2, 0xf534ddc0
	v_add_u32_e32 v4, 0xffffff88, v4
	v_mov_b32_e32 v10, v14
	v_mad_u64_u32 v[14:15], s[2:3], v18, s2, v[10:11]
	s_mov_b32 s2, 0xfc2757d1
	v_not_b32_e32 v17, 63
	v_mov_b32_e32 v10, v15
	v_mad_u64_u32 v[15:16], s[2:3], v18, s2, v[10:11]
	v_cmp_lt_u32_e32 vcc, 63, v4
	v_cndmask_b32_e32 v10, 0, v17, vcc
	v_add_u32_e32 v4, v10, v4
	v_mov_b32_e32 v10, v16
	s_mov_b32 s2, 0x4e441529
	v_mad_u64_u32 v[16:17], s[2:3], v18, s2, v[10:11]
	v_not_b32_e32 v19, 31
	v_cmp_lt_u32_e64 s[2:3], 31, v4
	v_cndmask_b32_e64 v10, 0, v19, s[2:3]
	v_add_u32_e32 v4, v10, v4
	v_mov_b32_e32 v10, v17
	s_mov_b32 s4, 0xa2f9836e
	v_mad_u64_u32 v[10:11], s[4:5], v18, s4, v[10:11]
	v_cmp_lt_u32_e64 s[4:5], 31, v4
	v_cndmask_b32_e64 v17, 0, v19, s[4:5]
	v_add_u32_e32 v4, v17, v4
	v_cndmask_b32_e32 v17, v16, v14, vcc
	v_cndmask_b32_e32 v10, v10, v15, vcc
	v_cndmask_b32_e32 v11, v11, v16, vcc
	v_cndmask_b32_e64 v18, v10, v17, s[2:3]
	v_cndmask_b32_e64 v10, v11, v10, s[2:3]
	v_cndmask_b32_e32 v11, v15, v13, vcc
	v_cndmask_b32_e64 v15, v17, v11, s[2:3]
	v_sub_u32_e32 v17, 32, v4
	v_cmp_eq_u32_e64 s[6:7], 0, v4
	v_cndmask_b32_e32 v4, v14, v12, vcc
	v_cndmask_b32_e64 v10, v10, v18, s[4:5]
	v_cndmask_b32_e64 v16, v18, v15, s[4:5]
	;; [unrolled: 1-line block ×3, first 2 shown]
	v_alignbit_b32 v18, v10, v16, v17
	v_cndmask_b32_e64 v12, v15, v11, s[4:5]
	v_cndmask_b32_e64 v10, v18, v10, s[6:7]
	v_alignbit_b32 v14, v16, v12, v17
	v_cndmask_b32_e32 v3, v13, v3, vcc
	v_cndmask_b32_e64 v14, v14, v16, s[6:7]
	v_bfe_u32 v18, v10, 29, 1
	v_cndmask_b32_e64 v3, v4, v3, s[2:3]
	v_alignbit_b32 v15, v10, v14, 30
	v_sub_u32_e32 v19, 0, v18
	v_cndmask_b32_e64 v3, v11, v3, s[4:5]
	v_xor_b32_e32 v15, v15, v19
	v_alignbit_b32 v4, v12, v3, v17
	v_cndmask_b32_e64 v4, v4, v12, s[6:7]
	v_ffbh_u32_e32 v12, v15
	v_alignbit_b32 v11, v14, v4, 30
	v_min_u32_e32 v12, 32, v12
	v_alignbit_b32 v3, v4, v3, 30
	v_xor_b32_e32 v11, v11, v19
	v_sub_u32_e32 v13, 31, v12
	v_xor_b32_e32 v3, v3, v19
	v_alignbit_b32 v14, v15, v11, v13
	v_alignbit_b32 v3, v11, v3, v13
	;; [unrolled: 1-line block ×3, first 2 shown]
	v_ffbh_u32_e32 v11, v4
	v_min_u32_e32 v11, 32, v11
	v_lshrrev_b32_e32 v16, 29, v10
	v_not_b32_e32 v13, v11
	v_alignbit_b32 v3, v4, v3, v13
	v_lshlrev_b32_e32 v4, 31, v16
	v_or_b32_e32 v13, 0x33000000, v4
	v_add_lshl_u32 v11, v11, v12, 23
	v_lshrrev_b32_e32 v3, 9, v3
	v_sub_u32_e32 v11, v13, v11
	v_or_b32_e32 v4, 0.5, v4
	v_lshlrev_b32_e32 v12, 23, v12
	v_or_b32_e32 v3, v11, v3
	v_lshrrev_b32_e32 v11, 9, v14
	v_sub_u32_e32 v4, v4, v12
	v_or_b32_e32 v4, v11, v4
	s_mov_b32 s2, 0x3fc90fda
	v_mul_f32_e32 v11, 0x3fc90fda, v4
	v_fma_f32 v12, v4, s2, -v11
	v_fmac_f32_e32 v12, 0x33a22168, v4
	v_fmac_f32_e32 v12, 0x3fc90fda, v3
	v_lshrrev_b32_e32 v3, 30, v10
	v_add_f32_e32 v4, v11, v12
	v_add_u32_e32 v3, v18, v3
.LBB9_56:
	s_andn2_saveexec_b64 s[2:3], s[18:19]
	s_cbranch_execz .LBB9_58
; %bb.57:
	s_mov_b32 s4, 0x3f22f983
	v_mul_f32_e64 v3, |v5|, s4
	v_rndne_f32_e32 v10, v3
	s_mov_b32 s4, 0xbfc90fda
	v_cvt_i32_f32_e32 v3, v10
	v_fma_f32 v4, v10, s4, |v5|
	v_fmac_f32_e32 v4, 0xb3a22168, v10
	v_fmac_f32_e32 v4, 0xa7c234c4, v10
.LBB9_58:
	s_or_b64 exec, exec, s[2:3]
	v_mul_f32_e32 v10, v4, v4
	v_mov_b32_e32 v11, 0x3c0881c4
	v_fmac_f32_e32 v11, 0xb94c1982, v10
	v_mov_b32_e32 v12, 0xbe2aaa9d
	v_fmac_f32_e32 v12, v10, v11
	v_mul_f32_e32 v11, v10, v12
	v_fmac_f32_e32 v4, v4, v11
	v_mov_b32_e32 v11, 0xbab64f3b
	v_fmac_f32_e32 v11, 0x37d75334, v10
	v_mov_b32_e32 v12, 0x3d2aabf7
	;; [unrolled: 2-line block ×3, first 2 shown]
	v_fmac_f32_e32 v11, v10, v12
	v_fma_f32 v10, v10, v11, 1.0
	v_and_b32_e32 v11, 1, v3
	v_lshlrev_b32_e32 v3, 30, v3
	v_cmp_eq_u32_e32 vcc, 0, v11
	v_and_b32_e32 v3, 0x80000000, v3
	v_xor_b32_e32 v2, v2, v5
	v_cndmask_b32_e32 v4, v10, v4, vcc
	v_xor_b32_e32 v2, v2, v3
	s_movk_i32 s2, 0x1f8
	v_xor_b32_e32 v2, v2, v4
	v_mov_b32_e32 v3, 0x7fc00000
	v_cmp_class_f32_e64 vcc, v5, s2
	v_cndmask_b32_e32 v2, v3, v2, vcc
	v_div_scale_f32 v3, s[2:3], v5, v5, v2
	v_div_scale_f32 v4, vcc, v2, v5, v2
	v_rcp_f32_e32 v10, v3
	v_fma_f32 v11, -v3, v10, 1.0
	v_fmac_f32_e32 v10, v11, v10
	v_mul_f32_e32 v11, v4, v10
	v_fma_f32 v12, -v3, v11, v4
	v_fmac_f32_e32 v11, v12, v10
	v_fma_f32 v3, -v3, v11, v4
	v_div_fmas_f32 v3, v3, v10, v11
	v_div_fixup_f32 v2, v3, v5, v2
                                        ; implicit-def: $vgpr5
.LBB9_59:
	s_andn2_saveexec_b64 s[2:3], s[16:17]
	s_cbranch_execz .LBB9_61
; %bb.60:
	v_mul_f32_e32 v2, v5, v5
	v_mov_b32_e32 v3, 0xb2d7322b
	v_fmac_f32_e32 v3, 0x2f309231, v2
	v_mov_b32_e32 v4, 0x3638ef1d
	v_fmac_f32_e32 v4, v2, v3
	;; [unrolled: 2-line block ×5, first 2 shown]
	v_fma_f32 v2, v2, v3, 1.0
.LBB9_61:
	s_or_b64 exec, exec, s[2:3]
.LBB9_62:
	s_or_b64 exec, exec, s[14:15]
	v_mov_b32_e32 v3, v1
	v_mov_b32_e32 v4, v1
	;; [unrolled: 1-line block ×7, first 2 shown]
.LBB9_63:
	s_or_b64 exec, exec, s[10:11]
	s_waitcnt vmcnt(0)
	v_or_b32_e32 v5, 0x100, v0
	v_cmp_gt_i32_e32 vcc, s20, v5
	s_and_saveexec_b64 s[10:11], vcc
	s_cbranch_execz .LBB9_75
; %bb.64:
	s_mov_b32 s2, 0x7f800000
	v_cmp_neq_f32_e64 s[2:3], |v9|, s2
	v_mov_b32_e32 v2, 0
	s_and_saveexec_b64 s[14:15], s[2:3]
	s_cbranch_execz .LBB9_74
; %bb.65:
	v_cmp_nlt_f32_e64 s[2:3], |v9|, 0.5
	s_and_saveexec_b64 s[4:5], s[2:3]
	s_xor_b64 s[16:17], exec, s[4:5]
	s_cbranch_execz .LBB9_71
; %bb.66:
	s_brev_b32 s2, 18
	v_and_b32_e32 v2, 0x7fffffff, v9
	v_cmp_nlt_f32_e64 s[2:3], |v9|, s2
                                        ; implicit-def: $vgpr10
                                        ; implicit-def: $vgpr11
	s_and_saveexec_b64 s[4:5], s[2:3]
	s_xor_b64 s[18:19], exec, s[4:5]
	s_cbranch_execz .LBB9_68
; %bb.67:
	v_and_b32_e32 v10, 0x7fffff, v2
	v_or_b32_e32 v19, 0x800000, v10
	s_mov_b32 s2, 0xfe5163ab
	v_mad_u64_u32 v[10:11], s[2:3], v19, s2, 0
	v_mov_b32_e32 v12, 0
	s_mov_b32 s2, 0x3c439041
	v_mad_u64_u32 v[13:14], s[2:3], v19, s2, v[11:12]
	s_mov_b32 s2, 0xdb629599
	v_not_b32_e32 v18, 63
	v_mov_b32_e32 v11, v14
	v_mad_u64_u32 v[14:15], s[2:3], v19, s2, v[11:12]
	s_mov_b32 s2, 0xf534ddc0
	v_not_b32_e32 v21, 31
	v_mov_b32_e32 v11, v15
	v_mad_u64_u32 v[15:16], s[2:3], v19, s2, v[11:12]
	v_lshrrev_b32_e32 v11, 23, v2
	v_add_u32_e32 v20, 0xffffff88, v11
	v_mov_b32_e32 v11, v16
	s_mov_b32 s2, 0xfc2757d1
	v_mad_u64_u32 v[16:17], s[2:3], v19, s2, v[11:12]
	v_cmp_lt_u32_e32 vcc, 63, v20
	v_cndmask_b32_e32 v11, 0, v18, vcc
	v_add_u32_e32 v20, v11, v20
	v_mov_b32_e32 v11, v17
	s_mov_b32 s2, 0x4e441529
	v_mad_u64_u32 v[17:18], s[2:3], v19, s2, v[11:12]
	v_cmp_lt_u32_e64 s[2:3], 31, v20
	v_cndmask_b32_e64 v11, 0, v21, s[2:3]
	v_add_u32_e32 v20, v11, v20
	v_mov_b32_e32 v11, v18
	s_mov_b32 s4, 0xa2f9836e
	v_mad_u64_u32 v[11:12], s[4:5], v19, s4, v[11:12]
	v_cmp_lt_u32_e64 s[4:5], 31, v20
	v_cndmask_b32_e64 v18, 0, v21, s[4:5]
	v_cndmask_b32_e32 v19, v17, v15, vcc
	v_cndmask_b32_e32 v11, v11, v16, vcc
	;; [unrolled: 1-line block ×3, first 2 shown]
	v_add_u32_e32 v18, v18, v20
	v_cndmask_b32_e64 v20, v11, v19, s[2:3]
	v_cndmask_b32_e64 v11, v12, v11, s[2:3]
	v_cndmask_b32_e32 v12, v16, v14, vcc
	v_cndmask_b32_e64 v16, v19, v12, s[2:3]
	v_cndmask_b32_e64 v11, v11, v20, s[4:5]
	;; [unrolled: 1-line block ×3, first 2 shown]
	v_sub_u32_e32 v19, 32, v18
	v_alignbit_b32 v20, v11, v17, v19
	v_cmp_eq_u32_e64 s[6:7], 0, v18
	v_cndmask_b32_e64 v18, v20, v11, s[6:7]
	v_cndmask_b32_e32 v11, v15, v13, vcc
	v_cndmask_b32_e64 v12, v12, v11, s[2:3]
	v_cndmask_b32_e64 v13, v16, v12, s[4:5]
	v_alignbit_b32 v15, v17, v13, v19
	v_cndmask_b32_e32 v10, v14, v10, vcc
	v_cndmask_b32_e64 v15, v15, v17, s[6:7]
	v_bfe_u32 v20, v18, 29, 1
	v_cndmask_b32_e64 v10, v11, v10, s[2:3]
	v_alignbit_b32 v16, v18, v15, 30
	v_sub_u32_e32 v21, 0, v20
	v_cndmask_b32_e64 v10, v12, v10, s[4:5]
	v_xor_b32_e32 v16, v16, v21
	v_alignbit_b32 v11, v13, v10, v19
	v_cndmask_b32_e64 v11, v11, v13, s[6:7]
	v_ffbh_u32_e32 v13, v16
	v_alignbit_b32 v12, v15, v11, 30
	v_min_u32_e32 v13, 32, v13
	v_alignbit_b32 v10, v11, v10, 30
	v_xor_b32_e32 v12, v12, v21
	v_sub_u32_e32 v14, 31, v13
	v_xor_b32_e32 v10, v10, v21
	v_alignbit_b32 v15, v16, v12, v14
	v_alignbit_b32 v10, v12, v10, v14
	;; [unrolled: 1-line block ×3, first 2 shown]
	v_ffbh_u32_e32 v12, v11
	v_min_u32_e32 v12, 32, v12
	v_lshrrev_b32_e32 v17, 29, v18
	v_not_b32_e32 v14, v12
	v_alignbit_b32 v10, v11, v10, v14
	v_lshlrev_b32_e32 v11, 31, v17
	v_or_b32_e32 v14, 0x33000000, v11
	v_add_lshl_u32 v12, v12, v13, 23
	v_lshrrev_b32_e32 v10, 9, v10
	v_sub_u32_e32 v12, v14, v12
	v_or_b32_e32 v11, 0.5, v11
	v_lshlrev_b32_e32 v13, 23, v13
	v_or_b32_e32 v10, v12, v10
	v_lshrrev_b32_e32 v12, 9, v15
	v_sub_u32_e32 v11, v11, v13
	v_or_b32_e32 v11, v12, v11
	s_mov_b32 s2, 0x3fc90fda
	v_mul_f32_e32 v12, 0x3fc90fda, v11
	v_fma_f32 v13, v11, s2, -v12
	v_fmac_f32_e32 v13, 0x33a22168, v11
	v_fmac_f32_e32 v13, 0x3fc90fda, v10
	v_lshrrev_b32_e32 v10, 30, v18
	v_add_f32_e32 v11, v12, v13
	v_add_u32_e32 v10, v20, v10
.LBB9_68:
	s_andn2_saveexec_b64 s[2:3], s[18:19]
	s_cbranch_execz .LBB9_70
; %bb.69:
	s_mov_b32 s4, 0x3f22f983
	v_mul_f32_e64 v10, |v9|, s4
	v_rndne_f32_e32 v12, v10
	s_mov_b32 s4, 0xbfc90fda
	v_cvt_i32_f32_e32 v10, v12
	v_fma_f32 v11, v12, s4, |v9|
	v_fmac_f32_e32 v11, 0xb3a22168, v12
	v_fmac_f32_e32 v11, 0xa7c234c4, v12
.LBB9_70:
	s_or_b64 exec, exec, s[2:3]
	v_mul_f32_e32 v12, v11, v11
	v_mov_b32_e32 v13, 0x3c0881c4
	v_fmac_f32_e32 v13, 0xb94c1982, v12
	v_mov_b32_e32 v14, 0xbe2aaa9d
	v_fmac_f32_e32 v14, v12, v13
	v_mul_f32_e32 v13, v12, v14
	v_fmac_f32_e32 v11, v11, v13
	v_mov_b32_e32 v13, 0xbab64f3b
	v_fmac_f32_e32 v13, 0x37d75334, v12
	v_mov_b32_e32 v14, 0x3d2aabf7
	;; [unrolled: 2-line block ×3, first 2 shown]
	v_fmac_f32_e32 v13, v12, v14
	v_fma_f32 v12, v12, v13, 1.0
	v_and_b32_e32 v13, 1, v10
	v_lshlrev_b32_e32 v10, 30, v10
	v_cmp_eq_u32_e32 vcc, 0, v13
	v_and_b32_e32 v10, 0x80000000, v10
	v_xor_b32_e32 v2, v2, v9
	v_cndmask_b32_e32 v11, v12, v11, vcc
	v_xor_b32_e32 v2, v2, v10
	s_movk_i32 s2, 0x1f8
	v_xor_b32_e32 v2, v2, v11
	v_mov_b32_e32 v10, 0x7fc00000
	v_cmp_class_f32_e64 vcc, v9, s2
	v_cndmask_b32_e32 v2, v10, v2, vcc
	v_div_scale_f32 v10, s[2:3], v9, v9, v2
	v_div_scale_f32 v11, vcc, v2, v9, v2
	v_rcp_f32_e32 v12, v10
	v_fma_f32 v13, -v10, v12, 1.0
	v_fmac_f32_e32 v12, v13, v12
	v_mul_f32_e32 v13, v11, v12
	v_fma_f32 v14, -v10, v13, v11
	v_fmac_f32_e32 v13, v14, v12
	v_fma_f32 v10, -v10, v13, v11
	v_div_fmas_f32 v10, v10, v12, v13
	v_div_fixup_f32 v2, v10, v9, v2
                                        ; implicit-def: $vgpr9
.LBB9_71:
	s_andn2_saveexec_b64 s[2:3], s[16:17]
	s_cbranch_execz .LBB9_73
; %bb.72:
	v_mul_f32_e32 v2, v9, v9
	v_mov_b32_e32 v9, 0xb2d7322b
	v_fmac_f32_e32 v9, 0x2f309231, v2
	v_mov_b32_e32 v10, 0x3638ef1d
	v_fmac_f32_e32 v10, v2, v9
	v_mov_b32_e32 v9, 0xb9500d01
	v_fmac_f32_e32 v9, v2, v10
	v_mov_b32_e32 v10, 0x3c088889
	v_fmac_f32_e32 v10, v2, v9
	v_mov_b32_e32 v9, 0xbe2aaaab
	v_fmac_f32_e32 v9, v2, v10
	v_fma_f32 v2, v2, v9, 1.0
.LBB9_73:
	s_or_b64 exec, exec, s[2:3]
.LBB9_74:
	s_or_b64 exec, exec, s[14:15]
.LBB9_75:
	s_or_b64 exec, exec, s[10:11]
	v_or_b32_e32 v9, 0x200, v0
	v_cmp_gt_i32_e32 vcc, s20, v9
	s_and_saveexec_b64 s[10:11], vcc
	s_cbranch_execz .LBB9_87
; %bb.76:
	s_mov_b32 s2, 0x7f800000
	v_cmp_neq_f32_e64 s[2:3], |v8|, s2
	v_mov_b32_e32 v3, 0
	s_and_saveexec_b64 s[14:15], s[2:3]
	s_cbranch_execz .LBB9_86
; %bb.77:
	v_cmp_nlt_f32_e64 s[2:3], |v8|, 0.5
	s_and_saveexec_b64 s[4:5], s[2:3]
	s_xor_b64 s[16:17], exec, s[4:5]
	s_cbranch_execz .LBB9_83
; %bb.78:
	s_brev_b32 s2, 18
	v_and_b32_e32 v3, 0x7fffffff, v8
	v_cmp_nlt_f32_e64 s[2:3], |v8|, s2
                                        ; implicit-def: $vgpr9
                                        ; implicit-def: $vgpr10
	s_and_saveexec_b64 s[4:5], s[2:3]
	s_xor_b64 s[18:19], exec, s[4:5]
	s_cbranch_execz .LBB9_80
; %bb.79:
	v_and_b32_e32 v9, 0x7fffff, v3
	v_or_b32_e32 v18, 0x800000, v9
	s_mov_b32 s2, 0xfe5163ab
	v_mad_u64_u32 v[9:10], s[2:3], v18, s2, 0
	v_mov_b32_e32 v11, 0
	s_mov_b32 s2, 0x3c439041
	v_mad_u64_u32 v[12:13], s[2:3], v18, s2, v[10:11]
	s_mov_b32 s2, 0xdb629599
	v_not_b32_e32 v17, 63
	v_mov_b32_e32 v10, v13
	v_mad_u64_u32 v[13:14], s[2:3], v18, s2, v[10:11]
	s_mov_b32 s2, 0xf534ddc0
	v_not_b32_e32 v20, 31
	v_mov_b32_e32 v10, v14
	v_mad_u64_u32 v[14:15], s[2:3], v18, s2, v[10:11]
	v_lshrrev_b32_e32 v10, 23, v3
	v_add_u32_e32 v19, 0xffffff88, v10
	v_mov_b32_e32 v10, v15
	s_mov_b32 s2, 0xfc2757d1
	v_mad_u64_u32 v[15:16], s[2:3], v18, s2, v[10:11]
	v_cmp_lt_u32_e32 vcc, 63, v19
	v_cndmask_b32_e32 v10, 0, v17, vcc
	v_add_u32_e32 v19, v10, v19
	v_mov_b32_e32 v10, v16
	s_mov_b32 s2, 0x4e441529
	v_mad_u64_u32 v[16:17], s[2:3], v18, s2, v[10:11]
	v_cmp_lt_u32_e64 s[2:3], 31, v19
	v_cndmask_b32_e64 v10, 0, v20, s[2:3]
	v_add_u32_e32 v19, v10, v19
	v_mov_b32_e32 v10, v17
	s_mov_b32 s4, 0xa2f9836e
	v_mad_u64_u32 v[10:11], s[4:5], v18, s4, v[10:11]
	v_cmp_lt_u32_e64 s[4:5], 31, v19
	v_cndmask_b32_e64 v17, 0, v20, s[4:5]
	v_cndmask_b32_e32 v18, v16, v14, vcc
	v_cndmask_b32_e32 v10, v10, v15, vcc
	;; [unrolled: 1-line block ×3, first 2 shown]
	v_add_u32_e32 v17, v17, v19
	v_cndmask_b32_e64 v19, v10, v18, s[2:3]
	v_cndmask_b32_e64 v10, v11, v10, s[2:3]
	v_cndmask_b32_e32 v11, v15, v13, vcc
	v_cndmask_b32_e64 v15, v18, v11, s[2:3]
	v_cndmask_b32_e64 v10, v10, v19, s[4:5]
	;; [unrolled: 1-line block ×3, first 2 shown]
	v_sub_u32_e32 v18, 32, v17
	v_alignbit_b32 v19, v10, v16, v18
	v_cmp_eq_u32_e64 s[6:7], 0, v17
	v_cndmask_b32_e64 v17, v19, v10, s[6:7]
	v_cndmask_b32_e32 v10, v14, v12, vcc
	v_cndmask_b32_e64 v11, v11, v10, s[2:3]
	v_cndmask_b32_e64 v12, v15, v11, s[4:5]
	v_alignbit_b32 v14, v16, v12, v18
	v_cndmask_b32_e32 v9, v13, v9, vcc
	v_cndmask_b32_e64 v14, v14, v16, s[6:7]
	v_bfe_u32 v19, v17, 29, 1
	v_cndmask_b32_e64 v9, v10, v9, s[2:3]
	v_alignbit_b32 v15, v17, v14, 30
	v_sub_u32_e32 v20, 0, v19
	v_cndmask_b32_e64 v9, v11, v9, s[4:5]
	v_xor_b32_e32 v15, v15, v20
	v_alignbit_b32 v10, v12, v9, v18
	v_cndmask_b32_e64 v10, v10, v12, s[6:7]
	v_ffbh_u32_e32 v12, v15
	v_alignbit_b32 v11, v14, v10, 30
	v_min_u32_e32 v12, 32, v12
	v_alignbit_b32 v9, v10, v9, 30
	v_xor_b32_e32 v11, v11, v20
	v_sub_u32_e32 v13, 31, v12
	v_xor_b32_e32 v9, v9, v20
	v_alignbit_b32 v14, v15, v11, v13
	v_alignbit_b32 v9, v11, v9, v13
	v_alignbit_b32 v10, v14, v9, 9
	v_ffbh_u32_e32 v11, v10
	v_min_u32_e32 v11, 32, v11
	v_lshrrev_b32_e32 v16, 29, v17
	v_not_b32_e32 v13, v11
	v_alignbit_b32 v9, v10, v9, v13
	v_lshlrev_b32_e32 v10, 31, v16
	v_or_b32_e32 v13, 0x33000000, v10
	v_add_lshl_u32 v11, v11, v12, 23
	v_lshrrev_b32_e32 v9, 9, v9
	v_sub_u32_e32 v11, v13, v11
	v_or_b32_e32 v10, 0.5, v10
	v_lshlrev_b32_e32 v12, 23, v12
	v_or_b32_e32 v9, v11, v9
	v_lshrrev_b32_e32 v11, 9, v14
	v_sub_u32_e32 v10, v10, v12
	v_or_b32_e32 v10, v11, v10
	s_mov_b32 s2, 0x3fc90fda
	v_mul_f32_e32 v11, 0x3fc90fda, v10
	v_fma_f32 v12, v10, s2, -v11
	v_fmac_f32_e32 v12, 0x33a22168, v10
	v_fmac_f32_e32 v12, 0x3fc90fda, v9
	v_lshrrev_b32_e32 v9, 30, v17
	v_add_f32_e32 v10, v11, v12
	v_add_u32_e32 v9, v19, v9
.LBB9_80:
	s_andn2_saveexec_b64 s[2:3], s[18:19]
	s_cbranch_execz .LBB9_82
; %bb.81:
	s_mov_b32 s4, 0x3f22f983
	v_mul_f32_e64 v9, |v8|, s4
	v_rndne_f32_e32 v11, v9
	s_mov_b32 s4, 0xbfc90fda
	v_cvt_i32_f32_e32 v9, v11
	v_fma_f32 v10, v11, s4, |v8|
	v_fmac_f32_e32 v10, 0xb3a22168, v11
	v_fmac_f32_e32 v10, 0xa7c234c4, v11
.LBB9_82:
	s_or_b64 exec, exec, s[2:3]
	v_mul_f32_e32 v11, v10, v10
	v_mov_b32_e32 v12, 0x3c0881c4
	v_fmac_f32_e32 v12, 0xb94c1982, v11
	v_mov_b32_e32 v13, 0xbe2aaa9d
	v_fmac_f32_e32 v13, v11, v12
	v_mul_f32_e32 v12, v11, v13
	v_fmac_f32_e32 v10, v10, v12
	v_mov_b32_e32 v12, 0xbab64f3b
	v_fmac_f32_e32 v12, 0x37d75334, v11
	v_mov_b32_e32 v13, 0x3d2aabf7
	;; [unrolled: 2-line block ×3, first 2 shown]
	v_fmac_f32_e32 v12, v11, v13
	v_fma_f32 v11, v11, v12, 1.0
	v_and_b32_e32 v12, 1, v9
	v_lshlrev_b32_e32 v9, 30, v9
	v_cmp_eq_u32_e32 vcc, 0, v12
	v_and_b32_e32 v9, 0x80000000, v9
	v_xor_b32_e32 v3, v3, v8
	v_cndmask_b32_e32 v10, v11, v10, vcc
	v_xor_b32_e32 v3, v3, v9
	s_movk_i32 s2, 0x1f8
	v_xor_b32_e32 v3, v3, v10
	v_mov_b32_e32 v9, 0x7fc00000
	v_cmp_class_f32_e64 vcc, v8, s2
	v_cndmask_b32_e32 v3, v9, v3, vcc
	v_div_scale_f32 v9, s[2:3], v8, v8, v3
	v_div_scale_f32 v10, vcc, v3, v8, v3
	v_rcp_f32_e32 v11, v9
	v_fma_f32 v12, -v9, v11, 1.0
	v_fmac_f32_e32 v11, v12, v11
	v_mul_f32_e32 v12, v10, v11
	v_fma_f32 v13, -v9, v12, v10
	v_fmac_f32_e32 v12, v13, v11
	v_fma_f32 v9, -v9, v12, v10
	v_div_fmas_f32 v9, v9, v11, v12
	v_div_fixup_f32 v3, v9, v8, v3
                                        ; implicit-def: $vgpr8
.LBB9_83:
	s_andn2_saveexec_b64 s[2:3], s[16:17]
	s_cbranch_execz .LBB9_85
; %bb.84:
	v_mul_f32_e32 v3, v8, v8
	v_mov_b32_e32 v8, 0xb2d7322b
	v_fmac_f32_e32 v8, 0x2f309231, v3
	v_mov_b32_e32 v9, 0x3638ef1d
	v_fmac_f32_e32 v9, v3, v8
	;; [unrolled: 2-line block ×5, first 2 shown]
	v_fma_f32 v3, v3, v8, 1.0
.LBB9_85:
	s_or_b64 exec, exec, s[2:3]
.LBB9_86:
	s_or_b64 exec, exec, s[14:15]
.LBB9_87:
	s_or_b64 exec, exec, s[10:11]
	v_or_b32_e32 v8, 0x300, v0
	v_cmp_gt_i32_e32 vcc, s20, v8
	s_and_saveexec_b64 s[10:11], vcc
	s_cbranch_execnz .LBB9_94
; %bb.88:
	s_or_b64 exec, exec, s[10:11]
	s_and_saveexec_b64 s[2:3], s[0:1]
	s_xor_b64 s[0:1], exec, s[2:3]
	s_cbranch_execnz .LBB9_105
.LBB9_89:
	s_or_b64 exec, exec, s[0:1]
	v_cmp_gt_i32_e32 vcc, s20, v0
	s_and_saveexec_b64 s[0:1], vcc
	s_cbranch_execnz .LBB9_106
.LBB9_90:
	s_or_b64 exec, exec, s[0:1]
	v_cmp_gt_i32_e32 vcc, s20, v0
	s_and_saveexec_b64 s[0:1], vcc
	s_cbranch_execnz .LBB9_107
.LBB9_91:
	s_or_b64 exec, exec, s[0:1]
	v_cmp_gt_i32_e32 vcc, s20, v0
	s_and_saveexec_b64 s[0:1], vcc
	s_cbranch_execz .LBB9_93
.LBB9_92:
	v_add_u32_e32 v0, s12, v0
	v_mov_b32_e32 v1, 0
	v_lshlrev_b64 v[0:1], 2, v[0:1]
	v_mov_b32_e32 v2, s9
	v_add_co_u32_e32 v0, vcc, s8, v0
	v_addc_co_u32_e32 v1, vcc, v2, v1, vcc
	global_store_dword v[0:1], v4, off
.LBB9_93:
	s_endpgm
.LBB9_94:
	s_mov_b32 s2, 0x7f800000
	v_cmp_neq_f32_e64 s[2:3], |v7|, s2
	v_mov_b32_e32 v4, 0
	s_and_saveexec_b64 s[14:15], s[2:3]
	s_cbranch_execz .LBB9_104
; %bb.95:
	v_cmp_nlt_f32_e64 s[2:3], |v7|, 0.5
	s_and_saveexec_b64 s[4:5], s[2:3]
	s_xor_b64 s[16:17], exec, s[4:5]
	s_cbranch_execz .LBB9_101
; %bb.96:
	s_brev_b32 s2, 18
	v_and_b32_e32 v4, 0x7fffffff, v7
	v_cmp_nlt_f32_e64 s[2:3], |v7|, s2
                                        ; implicit-def: $vgpr8
                                        ; implicit-def: $vgpr9
	s_and_saveexec_b64 s[4:5], s[2:3]
	s_xor_b64 s[18:19], exec, s[4:5]
	s_cbranch_execz .LBB9_98
; %bb.97:
	v_and_b32_e32 v8, 0x7fffff, v4
	v_or_b32_e32 v17, 0x800000, v8
	s_mov_b32 s2, 0xfe5163ab
	v_mad_u64_u32 v[8:9], s[2:3], v17, s2, 0
	v_mov_b32_e32 v10, 0
	s_mov_b32 s2, 0x3c439041
	v_mad_u64_u32 v[11:12], s[2:3], v17, s2, v[9:10]
	s_mov_b32 s2, 0xdb629599
	v_not_b32_e32 v16, 63
	v_mov_b32_e32 v9, v12
	v_mad_u64_u32 v[12:13], s[2:3], v17, s2, v[9:10]
	s_mov_b32 s2, 0xf534ddc0
	v_not_b32_e32 v19, 31
	v_mov_b32_e32 v9, v13
	v_mad_u64_u32 v[13:14], s[2:3], v17, s2, v[9:10]
	v_lshrrev_b32_e32 v9, 23, v4
	v_add_u32_e32 v18, 0xffffff88, v9
	v_mov_b32_e32 v9, v14
	s_mov_b32 s2, 0xfc2757d1
	v_mad_u64_u32 v[14:15], s[2:3], v17, s2, v[9:10]
	v_cmp_lt_u32_e32 vcc, 63, v18
	v_cndmask_b32_e32 v9, 0, v16, vcc
	v_add_u32_e32 v18, v9, v18
	v_mov_b32_e32 v9, v15
	s_mov_b32 s2, 0x4e441529
	v_mad_u64_u32 v[15:16], s[2:3], v17, s2, v[9:10]
	v_cmp_lt_u32_e64 s[2:3], 31, v18
	v_cndmask_b32_e64 v9, 0, v19, s[2:3]
	v_add_u32_e32 v18, v9, v18
	v_mov_b32_e32 v9, v16
	s_mov_b32 s4, 0xa2f9836e
	v_mad_u64_u32 v[9:10], s[4:5], v17, s4, v[9:10]
	v_cmp_lt_u32_e64 s[4:5], 31, v18
	v_cndmask_b32_e64 v16, 0, v19, s[4:5]
	v_cndmask_b32_e32 v17, v15, v13, vcc
	v_cndmask_b32_e32 v9, v9, v14, vcc
	;; [unrolled: 1-line block ×3, first 2 shown]
	v_add_u32_e32 v16, v16, v18
	v_cndmask_b32_e64 v18, v9, v17, s[2:3]
	v_cndmask_b32_e64 v9, v10, v9, s[2:3]
	v_cndmask_b32_e32 v10, v14, v12, vcc
	v_cndmask_b32_e64 v14, v17, v10, s[2:3]
	v_cndmask_b32_e64 v9, v9, v18, s[4:5]
	;; [unrolled: 1-line block ×3, first 2 shown]
	v_sub_u32_e32 v17, 32, v16
	v_alignbit_b32 v18, v9, v15, v17
	v_cmp_eq_u32_e64 s[6:7], 0, v16
	v_cndmask_b32_e64 v16, v18, v9, s[6:7]
	v_cndmask_b32_e32 v9, v13, v11, vcc
	v_cndmask_b32_e64 v10, v10, v9, s[2:3]
	v_cndmask_b32_e64 v11, v14, v10, s[4:5]
	v_alignbit_b32 v13, v15, v11, v17
	v_cndmask_b32_e32 v8, v12, v8, vcc
	v_cndmask_b32_e64 v13, v13, v15, s[6:7]
	v_bfe_u32 v18, v16, 29, 1
	v_cndmask_b32_e64 v8, v9, v8, s[2:3]
	v_alignbit_b32 v14, v16, v13, 30
	v_sub_u32_e32 v19, 0, v18
	v_cndmask_b32_e64 v8, v10, v8, s[4:5]
	v_xor_b32_e32 v14, v14, v19
	v_alignbit_b32 v9, v11, v8, v17
	v_cndmask_b32_e64 v9, v9, v11, s[6:7]
	v_ffbh_u32_e32 v11, v14
	v_alignbit_b32 v10, v13, v9, 30
	v_min_u32_e32 v11, 32, v11
	v_alignbit_b32 v8, v9, v8, 30
	v_xor_b32_e32 v10, v10, v19
	v_sub_u32_e32 v12, 31, v11
	v_xor_b32_e32 v8, v8, v19
	v_alignbit_b32 v13, v14, v10, v12
	v_alignbit_b32 v8, v10, v8, v12
	;; [unrolled: 1-line block ×3, first 2 shown]
	v_ffbh_u32_e32 v10, v9
	v_min_u32_e32 v10, 32, v10
	v_lshrrev_b32_e32 v15, 29, v16
	v_not_b32_e32 v12, v10
	v_alignbit_b32 v8, v9, v8, v12
	v_lshlrev_b32_e32 v9, 31, v15
	v_or_b32_e32 v12, 0x33000000, v9
	v_add_lshl_u32 v10, v10, v11, 23
	v_lshrrev_b32_e32 v8, 9, v8
	v_sub_u32_e32 v10, v12, v10
	v_or_b32_e32 v9, 0.5, v9
	v_lshlrev_b32_e32 v11, 23, v11
	v_or_b32_e32 v8, v10, v8
	v_lshrrev_b32_e32 v10, 9, v13
	v_sub_u32_e32 v9, v9, v11
	v_or_b32_e32 v9, v10, v9
	s_mov_b32 s2, 0x3fc90fda
	v_mul_f32_e32 v10, 0x3fc90fda, v9
	v_fma_f32 v11, v9, s2, -v10
	v_fmac_f32_e32 v11, 0x33a22168, v9
	v_fmac_f32_e32 v11, 0x3fc90fda, v8
	v_lshrrev_b32_e32 v8, 30, v16
	v_add_f32_e32 v9, v10, v11
	v_add_u32_e32 v8, v18, v8
.LBB9_98:
	s_andn2_saveexec_b64 s[2:3], s[18:19]
	s_cbranch_execz .LBB9_100
; %bb.99:
	s_mov_b32 s4, 0x3f22f983
	v_mul_f32_e64 v8, |v7|, s4
	v_rndne_f32_e32 v10, v8
	s_mov_b32 s4, 0xbfc90fda
	v_cvt_i32_f32_e32 v8, v10
	v_fma_f32 v9, v10, s4, |v7|
	v_fmac_f32_e32 v9, 0xb3a22168, v10
	v_fmac_f32_e32 v9, 0xa7c234c4, v10
.LBB9_100:
	s_or_b64 exec, exec, s[2:3]
	v_mul_f32_e32 v10, v9, v9
	v_mov_b32_e32 v11, 0x3c0881c4
	v_fmac_f32_e32 v11, 0xb94c1982, v10
	v_mov_b32_e32 v12, 0xbe2aaa9d
	v_fmac_f32_e32 v12, v10, v11
	v_mul_f32_e32 v11, v10, v12
	v_fmac_f32_e32 v9, v9, v11
	v_mov_b32_e32 v11, 0xbab64f3b
	v_fmac_f32_e32 v11, 0x37d75334, v10
	v_mov_b32_e32 v12, 0x3d2aabf7
	;; [unrolled: 2-line block ×3, first 2 shown]
	v_fmac_f32_e32 v11, v10, v12
	v_fma_f32 v10, v10, v11, 1.0
	v_and_b32_e32 v11, 1, v8
	v_lshlrev_b32_e32 v8, 30, v8
	v_cmp_eq_u32_e32 vcc, 0, v11
	v_and_b32_e32 v8, 0x80000000, v8
	v_xor_b32_e32 v4, v4, v7
	v_cndmask_b32_e32 v9, v10, v9, vcc
	v_xor_b32_e32 v4, v4, v8
	s_movk_i32 s2, 0x1f8
	v_xor_b32_e32 v4, v4, v9
	v_mov_b32_e32 v8, 0x7fc00000
	v_cmp_class_f32_e64 vcc, v7, s2
	v_cndmask_b32_e32 v4, v8, v4, vcc
	v_div_scale_f32 v8, s[2:3], v7, v7, v4
	v_div_scale_f32 v9, vcc, v4, v7, v4
	v_rcp_f32_e32 v10, v8
	v_fma_f32 v11, -v8, v10, 1.0
	v_fmac_f32_e32 v10, v11, v10
	v_mul_f32_e32 v11, v9, v10
	v_fma_f32 v12, -v8, v11, v9
	v_fmac_f32_e32 v11, v12, v10
	v_fma_f32 v8, -v8, v11, v9
	v_div_fmas_f32 v8, v8, v10, v11
	v_div_fixup_f32 v4, v8, v7, v4
                                        ; implicit-def: $vgpr7
.LBB9_101:
	s_andn2_saveexec_b64 s[2:3], s[16:17]
	s_cbranch_execz .LBB9_103
; %bb.102:
	v_mul_f32_e32 v4, v7, v7
	v_mov_b32_e32 v7, 0xb2d7322b
	v_fmac_f32_e32 v7, 0x2f309231, v4
	v_mov_b32_e32 v8, 0x3638ef1d
	v_fmac_f32_e32 v8, v4, v7
	;; [unrolled: 2-line block ×5, first 2 shown]
	v_fma_f32 v4, v4, v7, 1.0
.LBB9_103:
	s_or_b64 exec, exec, s[2:3]
.LBB9_104:
	s_or_b64 exec, exec, s[14:15]
	s_or_b64 exec, exec, s[10:11]
	s_and_saveexec_b64 s[2:3], s[0:1]
	s_xor_b64 s[0:1], exec, s[2:3]
	s_cbranch_execz .LBB9_89
.LBB9_105:
	v_mov_b32_e32 v7, 0
	v_lshlrev_b64 v[6:7], 2, v[6:7]
	v_mov_b32_e32 v0, s9
	v_add_co_u32_e32 v6, vcc, s8, v6
	v_addc_co_u32_e32 v7, vcc, v0, v7, vcc
	v_mov_b32_e32 v0, v5
	global_store_dword v[6:7], v1, off
	s_or_b64 exec, exec, s[0:1]
	v_cmp_gt_i32_e32 vcc, s20, v0
	s_and_saveexec_b64 s[0:1], vcc
	s_cbranch_execz .LBB9_90
.LBB9_106:
	v_add_u32_e32 v5, s12, v0
	v_mov_b32_e32 v6, 0
	v_lshlrev_b64 v[5:6], 2, v[5:6]
	v_mov_b32_e32 v1, s9
	v_add_co_u32_e32 v5, vcc, s8, v5
	v_addc_co_u32_e32 v6, vcc, v1, v6, vcc
	v_add_u32_e32 v0, 0x100, v0
	global_store_dword v[5:6], v2, off
	s_or_b64 exec, exec, s[0:1]
	v_cmp_gt_i32_e32 vcc, s20, v0
	s_and_saveexec_b64 s[0:1], vcc
	s_cbranch_execz .LBB9_91
.LBB9_107:
	v_add_u32_e32 v1, s12, v0
	v_mov_b32_e32 v2, 0
	v_lshlrev_b64 v[1:2], 2, v[1:2]
	v_mov_b32_e32 v5, s9
	v_add_co_u32_e32 v1, vcc, s8, v1
	v_addc_co_u32_e32 v2, vcc, v5, v2, vcc
	v_add_u32_e32 v0, 0x100, v0
	global_store_dword v[1:2], v3, off
	s_or_b64 exec, exec, s[0:1]
	v_cmp_gt_i32_e32 vcc, s20, v0
	s_and_saveexec_b64 s[0:1], vcc
	s_cbranch_execnz .LBB9_92
	s_branch .LBB9_93
	.section	.rodata,"a",@progbits
	.p2align	6, 0x0
	.amdhsa_kernel _ZN2at6native29vectorized_elementwise_kernelILi8EZZZNS0_12_GLOBAL__N_131spherical_bessel_j0_kernel_cudaERNS_18TensorIteratorBaseEENKUlvE_clEvENKUlvE0_clEvEUlfE_St5arrayIPcLm2EEEEviT0_T1_
		.amdhsa_group_segment_fixed_size 0
		.amdhsa_private_segment_fixed_size 0
		.amdhsa_kernarg_size 24
		.amdhsa_user_sgpr_count 6
		.amdhsa_user_sgpr_private_segment_buffer 1
		.amdhsa_user_sgpr_dispatch_ptr 0
		.amdhsa_user_sgpr_queue_ptr 0
		.amdhsa_user_sgpr_kernarg_segment_ptr 1
		.amdhsa_user_sgpr_dispatch_id 0
		.amdhsa_user_sgpr_flat_scratch_init 0
		.amdhsa_user_sgpr_private_segment_size 0
		.amdhsa_uses_dynamic_stack 0
		.amdhsa_system_sgpr_private_segment_wavefront_offset 0
		.amdhsa_system_sgpr_workgroup_id_x 1
		.amdhsa_system_sgpr_workgroup_id_y 0
		.amdhsa_system_sgpr_workgroup_id_z 0
		.amdhsa_system_sgpr_workgroup_info 0
		.amdhsa_system_vgpr_workitem_id 0
		.amdhsa_next_free_vgpr 22
		.amdhsa_next_free_sgpr 21
		.amdhsa_reserve_vcc 1
		.amdhsa_reserve_flat_scratch 0
		.amdhsa_float_round_mode_32 0
		.amdhsa_float_round_mode_16_64 0
		.amdhsa_float_denorm_mode_32 3
		.amdhsa_float_denorm_mode_16_64 3
		.amdhsa_dx10_clamp 1
		.amdhsa_ieee_mode 1
		.amdhsa_fp16_overflow 0
		.amdhsa_exception_fp_ieee_invalid_op 0
		.amdhsa_exception_fp_denorm_src 0
		.amdhsa_exception_fp_ieee_div_zero 0
		.amdhsa_exception_fp_ieee_overflow 0
		.amdhsa_exception_fp_ieee_underflow 0
		.amdhsa_exception_fp_ieee_inexact 0
		.amdhsa_exception_int_div_zero 0
	.end_amdhsa_kernel
	.section	.text._ZN2at6native29vectorized_elementwise_kernelILi8EZZZNS0_12_GLOBAL__N_131spherical_bessel_j0_kernel_cudaERNS_18TensorIteratorBaseEENKUlvE_clEvENKUlvE0_clEvEUlfE_St5arrayIPcLm2EEEEviT0_T1_,"axG",@progbits,_ZN2at6native29vectorized_elementwise_kernelILi8EZZZNS0_12_GLOBAL__N_131spherical_bessel_j0_kernel_cudaERNS_18TensorIteratorBaseEENKUlvE_clEvENKUlvE0_clEvEUlfE_St5arrayIPcLm2EEEEviT0_T1_,comdat
.Lfunc_end9:
	.size	_ZN2at6native29vectorized_elementwise_kernelILi8EZZZNS0_12_GLOBAL__N_131spherical_bessel_j0_kernel_cudaERNS_18TensorIteratorBaseEENKUlvE_clEvENKUlvE0_clEvEUlfE_St5arrayIPcLm2EEEEviT0_T1_, .Lfunc_end9-_ZN2at6native29vectorized_elementwise_kernelILi8EZZZNS0_12_GLOBAL__N_131spherical_bessel_j0_kernel_cudaERNS_18TensorIteratorBaseEENKUlvE_clEvENKUlvE0_clEvEUlfE_St5arrayIPcLm2EEEEviT0_T1_
                                        ; -- End function
	.set _ZN2at6native29vectorized_elementwise_kernelILi8EZZZNS0_12_GLOBAL__N_131spherical_bessel_j0_kernel_cudaERNS_18TensorIteratorBaseEENKUlvE_clEvENKUlvE0_clEvEUlfE_St5arrayIPcLm2EEEEviT0_T1_.num_vgpr, 22
	.set _ZN2at6native29vectorized_elementwise_kernelILi8EZZZNS0_12_GLOBAL__N_131spherical_bessel_j0_kernel_cudaERNS_18TensorIteratorBaseEENKUlvE_clEvENKUlvE0_clEvEUlfE_St5arrayIPcLm2EEEEviT0_T1_.num_agpr, 0
	.set _ZN2at6native29vectorized_elementwise_kernelILi8EZZZNS0_12_GLOBAL__N_131spherical_bessel_j0_kernel_cudaERNS_18TensorIteratorBaseEENKUlvE_clEvENKUlvE0_clEvEUlfE_St5arrayIPcLm2EEEEviT0_T1_.numbered_sgpr, 21
	.set _ZN2at6native29vectorized_elementwise_kernelILi8EZZZNS0_12_GLOBAL__N_131spherical_bessel_j0_kernel_cudaERNS_18TensorIteratorBaseEENKUlvE_clEvENKUlvE0_clEvEUlfE_St5arrayIPcLm2EEEEviT0_T1_.num_named_barrier, 0
	.set _ZN2at6native29vectorized_elementwise_kernelILi8EZZZNS0_12_GLOBAL__N_131spherical_bessel_j0_kernel_cudaERNS_18TensorIteratorBaseEENKUlvE_clEvENKUlvE0_clEvEUlfE_St5arrayIPcLm2EEEEviT0_T1_.private_seg_size, 0
	.set _ZN2at6native29vectorized_elementwise_kernelILi8EZZZNS0_12_GLOBAL__N_131spherical_bessel_j0_kernel_cudaERNS_18TensorIteratorBaseEENKUlvE_clEvENKUlvE0_clEvEUlfE_St5arrayIPcLm2EEEEviT0_T1_.uses_vcc, 1
	.set _ZN2at6native29vectorized_elementwise_kernelILi8EZZZNS0_12_GLOBAL__N_131spherical_bessel_j0_kernel_cudaERNS_18TensorIteratorBaseEENKUlvE_clEvENKUlvE0_clEvEUlfE_St5arrayIPcLm2EEEEviT0_T1_.uses_flat_scratch, 0
	.set _ZN2at6native29vectorized_elementwise_kernelILi8EZZZNS0_12_GLOBAL__N_131spherical_bessel_j0_kernel_cudaERNS_18TensorIteratorBaseEENKUlvE_clEvENKUlvE0_clEvEUlfE_St5arrayIPcLm2EEEEviT0_T1_.has_dyn_sized_stack, 0
	.set _ZN2at6native29vectorized_elementwise_kernelILi8EZZZNS0_12_GLOBAL__N_131spherical_bessel_j0_kernel_cudaERNS_18TensorIteratorBaseEENKUlvE_clEvENKUlvE0_clEvEUlfE_St5arrayIPcLm2EEEEviT0_T1_.has_recursion, 0
	.set _ZN2at6native29vectorized_elementwise_kernelILi8EZZZNS0_12_GLOBAL__N_131spherical_bessel_j0_kernel_cudaERNS_18TensorIteratorBaseEENKUlvE_clEvENKUlvE0_clEvEUlfE_St5arrayIPcLm2EEEEviT0_T1_.has_indirect_call, 0
	.section	.AMDGPU.csdata,"",@progbits
; Kernel info:
; codeLenInByte = 9188
; TotalNumSgprs: 25
; NumVgprs: 22
; ScratchSize: 0
; MemoryBound: 0
; FloatMode: 240
; IeeeMode: 1
; LDSByteSize: 0 bytes/workgroup (compile time only)
; SGPRBlocks: 3
; VGPRBlocks: 5
; NumSGPRsForWavesPerEU: 25
; NumVGPRsForWavesPerEU: 22
; Occupancy: 10
; WaveLimiterHint : 0
; COMPUTE_PGM_RSRC2:SCRATCH_EN: 0
; COMPUTE_PGM_RSRC2:USER_SGPR: 6
; COMPUTE_PGM_RSRC2:TRAP_HANDLER: 0
; COMPUTE_PGM_RSRC2:TGID_X_EN: 1
; COMPUTE_PGM_RSRC2:TGID_Y_EN: 0
; COMPUTE_PGM_RSRC2:TGID_Z_EN: 0
; COMPUTE_PGM_RSRC2:TIDIG_COMP_CNT: 0
	.section	.text._ZN2at6native29vectorized_elementwise_kernelILi4EZZZNS0_12_GLOBAL__N_131spherical_bessel_j0_kernel_cudaERNS_18TensorIteratorBaseEENKUlvE_clEvENKUlvE0_clEvEUlfE_St5arrayIPcLm2EEEEviT0_T1_,"axG",@progbits,_ZN2at6native29vectorized_elementwise_kernelILi4EZZZNS0_12_GLOBAL__N_131spherical_bessel_j0_kernel_cudaERNS_18TensorIteratorBaseEENKUlvE_clEvENKUlvE0_clEvEUlfE_St5arrayIPcLm2EEEEviT0_T1_,comdat
	.globl	_ZN2at6native29vectorized_elementwise_kernelILi4EZZZNS0_12_GLOBAL__N_131spherical_bessel_j0_kernel_cudaERNS_18TensorIteratorBaseEENKUlvE_clEvENKUlvE0_clEvEUlfE_St5arrayIPcLm2EEEEviT0_T1_ ; -- Begin function _ZN2at6native29vectorized_elementwise_kernelILi4EZZZNS0_12_GLOBAL__N_131spherical_bessel_j0_kernel_cudaERNS_18TensorIteratorBaseEENKUlvE_clEvENKUlvE0_clEvEUlfE_St5arrayIPcLm2EEEEviT0_T1_
	.p2align	8
	.type	_ZN2at6native29vectorized_elementwise_kernelILi4EZZZNS0_12_GLOBAL__N_131spherical_bessel_j0_kernel_cudaERNS_18TensorIteratorBaseEENKUlvE_clEvENKUlvE0_clEvEUlfE_St5arrayIPcLm2EEEEviT0_T1_,@function
_ZN2at6native29vectorized_elementwise_kernelILi4EZZZNS0_12_GLOBAL__N_131spherical_bessel_j0_kernel_cudaERNS_18TensorIteratorBaseEENKUlvE_clEvENKUlvE0_clEvEUlfE_St5arrayIPcLm2EEEEviT0_T1_: ; @_ZN2at6native29vectorized_elementwise_kernelILi4EZZZNS0_12_GLOBAL__N_131spherical_bessel_j0_kernel_cudaERNS_18TensorIteratorBaseEENKUlvE_clEvENKUlvE0_clEvEUlfE_St5arrayIPcLm2EEEEviT0_T1_
; %bb.0:
	s_load_dword s0, s[4:5], 0x0
	s_load_dwordx4 s[8:11], s[4:5], 0x8
	s_lshl_b32 s12, s6, 10
	s_waitcnt lgkmcnt(0)
	s_sub_i32 s20, s0, s12
	s_cmpk_gt_i32 s20, 0x3ff
	s_mov_b64 s[0:1], -1
	s_cbranch_scc0 .LBB10_42
; %bb.1:
	s_ashr_i32 s13, s12, 31
	s_lshl_b64 s[6:7], s[12:13], 2
	s_add_u32 s0, s10, s6
	s_addc_u32 s1, s11, s7
	v_lshlrev_b32_e32 v9, 4, v0
	global_load_dwordx4 v[5:8], v9, s[0:1]
	s_mov_b32 s13, 0x7f800000
	v_mov_b32_e32 v2, 0
	v_mov_b32_e32 v1, 0
	s_waitcnt vmcnt(0)
	v_cmp_neq_f32_e64 s[0:1], |v5|, s13
	s_and_saveexec_b64 s[14:15], s[0:1]
	s_cbranch_execz .LBB10_11
; %bb.2:
	v_cmp_nlt_f32_e64 s[0:1], |v5|, 0.5
	s_and_saveexec_b64 s[2:3], s[0:1]
	s_xor_b64 s[16:17], exec, s[2:3]
	s_cbranch_execz .LBB10_8
; %bb.3:
	s_brev_b32 s0, 18
	v_and_b32_e32 v1, 0x7fffffff, v5
	v_cmp_nlt_f32_e64 s[0:1], |v5|, s0
                                        ; implicit-def: $vgpr3
                                        ; implicit-def: $vgpr4
	s_and_saveexec_b64 s[2:3], s[0:1]
	s_xor_b64 s[18:19], exec, s[2:3]
	s_cbranch_execz .LBB10_5
; %bb.4:
	v_and_b32_e32 v3, 0x7fffff, v1
	v_or_b32_e32 v18, 0x800000, v3
	s_mov_b32 s0, 0xfe5163ab
	v_mad_u64_u32 v[3:4], s[0:1], v18, s0, 0
	v_mov_b32_e32 v11, 0
	s_mov_b32 s0, 0x3c439041
	v_mov_b32_e32 v10, v4
	v_mad_u64_u32 v[12:13], s[0:1], v18, s0, v[10:11]
	s_mov_b32 s0, 0xdb629599
	v_lshrrev_b32_e32 v4, 23, v1
	v_mov_b32_e32 v10, v13
	v_mad_u64_u32 v[13:14], s[0:1], v18, s0, v[10:11]
	s_mov_b32 s0, 0xf534ddc0
	v_add_u32_e32 v4, 0xffffff88, v4
	v_mov_b32_e32 v10, v14
	v_mad_u64_u32 v[14:15], s[0:1], v18, s0, v[10:11]
	s_mov_b32 s0, 0xfc2757d1
	v_not_b32_e32 v17, 63
	v_mov_b32_e32 v10, v15
	v_mad_u64_u32 v[15:16], s[0:1], v18, s0, v[10:11]
	v_cmp_lt_u32_e32 vcc, 63, v4
	v_cndmask_b32_e32 v10, 0, v17, vcc
	v_add_u32_e32 v4, v10, v4
	v_mov_b32_e32 v10, v16
	s_mov_b32 s0, 0x4e441529
	v_mad_u64_u32 v[16:17], s[0:1], v18, s0, v[10:11]
	v_not_b32_e32 v19, 31
	v_cmp_lt_u32_e64 s[0:1], 31, v4
	v_cndmask_b32_e64 v10, 0, v19, s[0:1]
	v_add_u32_e32 v4, v10, v4
	v_mov_b32_e32 v10, v17
	s_mov_b32 s2, 0xa2f9836e
	v_mad_u64_u32 v[10:11], s[2:3], v18, s2, v[10:11]
	v_cmp_lt_u32_e64 s[2:3], 31, v4
	v_cndmask_b32_e64 v17, 0, v19, s[2:3]
	v_add_u32_e32 v4, v17, v4
	v_cndmask_b32_e32 v17, v16, v14, vcc
	v_cndmask_b32_e32 v10, v10, v15, vcc
	;; [unrolled: 1-line block ×3, first 2 shown]
	v_cndmask_b32_e64 v18, v10, v17, s[0:1]
	v_cndmask_b32_e64 v10, v11, v10, s[0:1]
	v_cndmask_b32_e32 v11, v15, v13, vcc
	v_cndmask_b32_e64 v15, v17, v11, s[0:1]
	v_sub_u32_e32 v17, 32, v4
	v_cmp_eq_u32_e64 s[4:5], 0, v4
	v_cndmask_b32_e32 v4, v14, v12, vcc
	v_cndmask_b32_e64 v10, v10, v18, s[2:3]
	v_cndmask_b32_e64 v16, v18, v15, s[2:3]
	;; [unrolled: 1-line block ×3, first 2 shown]
	v_alignbit_b32 v18, v10, v16, v17
	v_cndmask_b32_e64 v12, v15, v11, s[2:3]
	v_cndmask_b32_e64 v10, v18, v10, s[4:5]
	v_alignbit_b32 v14, v16, v12, v17
	v_cndmask_b32_e32 v3, v13, v3, vcc
	v_cndmask_b32_e64 v14, v14, v16, s[4:5]
	v_bfe_u32 v18, v10, 29, 1
	v_cndmask_b32_e64 v3, v4, v3, s[0:1]
	v_alignbit_b32 v15, v10, v14, 30
	v_sub_u32_e32 v19, 0, v18
	v_cndmask_b32_e64 v3, v11, v3, s[2:3]
	v_xor_b32_e32 v15, v15, v19
	v_alignbit_b32 v4, v12, v3, v17
	v_cndmask_b32_e64 v4, v4, v12, s[4:5]
	v_ffbh_u32_e32 v12, v15
	v_alignbit_b32 v11, v14, v4, 30
	v_min_u32_e32 v12, 32, v12
	v_alignbit_b32 v3, v4, v3, 30
	v_xor_b32_e32 v11, v11, v19
	v_sub_u32_e32 v13, 31, v12
	v_xor_b32_e32 v3, v3, v19
	v_alignbit_b32 v14, v15, v11, v13
	v_alignbit_b32 v3, v11, v3, v13
	;; [unrolled: 1-line block ×3, first 2 shown]
	v_ffbh_u32_e32 v11, v4
	v_min_u32_e32 v11, 32, v11
	v_lshrrev_b32_e32 v16, 29, v10
	v_not_b32_e32 v13, v11
	v_alignbit_b32 v3, v4, v3, v13
	v_lshlrev_b32_e32 v4, 31, v16
	v_or_b32_e32 v13, 0x33000000, v4
	v_add_lshl_u32 v11, v11, v12, 23
	v_lshrrev_b32_e32 v3, 9, v3
	v_sub_u32_e32 v11, v13, v11
	v_or_b32_e32 v4, 0.5, v4
	v_lshlrev_b32_e32 v12, 23, v12
	v_or_b32_e32 v3, v11, v3
	v_lshrrev_b32_e32 v11, 9, v14
	v_sub_u32_e32 v4, v4, v12
	v_or_b32_e32 v4, v11, v4
	s_mov_b32 s0, 0x3fc90fda
	v_mul_f32_e32 v11, 0x3fc90fda, v4
	v_fma_f32 v12, v4, s0, -v11
	v_fmac_f32_e32 v12, 0x33a22168, v4
	v_fmac_f32_e32 v12, 0x3fc90fda, v3
	v_lshrrev_b32_e32 v3, 30, v10
	v_add_f32_e32 v4, v11, v12
	v_add_u32_e32 v3, v18, v3
.LBB10_5:
	s_andn2_saveexec_b64 s[0:1], s[18:19]
	s_cbranch_execz .LBB10_7
; %bb.6:
	s_mov_b32 s2, 0x3f22f983
	v_mul_f32_e64 v3, |v5|, s2
	v_rndne_f32_e32 v10, v3
	s_mov_b32 s2, 0xbfc90fda
	v_cvt_i32_f32_e32 v3, v10
	v_fma_f32 v4, v10, s2, |v5|
	v_fmac_f32_e32 v4, 0xb3a22168, v10
	v_fmac_f32_e32 v4, 0xa7c234c4, v10
.LBB10_7:
	s_or_b64 exec, exec, s[0:1]
	v_mul_f32_e32 v10, v4, v4
	v_mov_b32_e32 v11, 0x3c0881c4
	v_fmac_f32_e32 v11, 0xb94c1982, v10
	v_mov_b32_e32 v12, 0xbe2aaa9d
	v_fmac_f32_e32 v12, v10, v11
	v_mul_f32_e32 v11, v10, v12
	v_fmac_f32_e32 v4, v4, v11
	v_mov_b32_e32 v11, 0xbab64f3b
	v_fmac_f32_e32 v11, 0x37d75334, v10
	v_mov_b32_e32 v12, 0x3d2aabf7
	;; [unrolled: 2-line block ×3, first 2 shown]
	v_fmac_f32_e32 v11, v10, v12
	v_fma_f32 v10, v10, v11, 1.0
	v_and_b32_e32 v11, 1, v3
	v_lshlrev_b32_e32 v3, 30, v3
	v_cmp_eq_u32_e32 vcc, 0, v11
	v_and_b32_e32 v3, 0x80000000, v3
	v_xor_b32_e32 v1, v1, v5
	v_cndmask_b32_e32 v4, v10, v4, vcc
	v_xor_b32_e32 v1, v1, v3
	s_movk_i32 s0, 0x1f8
	v_xor_b32_e32 v1, v1, v4
	v_mov_b32_e32 v3, 0x7fc00000
	v_cmp_class_f32_e64 vcc, v5, s0
	v_cndmask_b32_e32 v1, v3, v1, vcc
	v_div_scale_f32 v3, s[0:1], v5, v5, v1
	v_div_scale_f32 v4, vcc, v1, v5, v1
	v_rcp_f32_e32 v10, v3
	v_fma_f32 v11, -v3, v10, 1.0
	v_fmac_f32_e32 v10, v11, v10
	v_mul_f32_e32 v11, v4, v10
	v_fma_f32 v12, -v3, v11, v4
	v_fmac_f32_e32 v11, v12, v10
	v_fma_f32 v3, -v3, v11, v4
	v_div_fmas_f32 v3, v3, v10, v11
	v_div_fixup_f32 v1, v3, v5, v1
.LBB10_8:
	s_andn2_saveexec_b64 s[0:1], s[16:17]
	s_cbranch_execz .LBB10_10
; %bb.9:
	v_mul_f32_e32 v1, v5, v5
	v_mov_b32_e32 v3, 0xb2d7322b
	v_fmac_f32_e32 v3, 0x2f309231, v1
	v_mov_b32_e32 v4, 0x3638ef1d
	v_fmac_f32_e32 v4, v1, v3
	;; [unrolled: 2-line block ×5, first 2 shown]
	v_fma_f32 v1, v1, v3, 1.0
.LBB10_10:
	s_or_b64 exec, exec, s[0:1]
.LBB10_11:
	s_or_b64 exec, exec, s[14:15]
	v_cmp_neq_f32_e64 s[0:1], |v6|, s13
	s_and_saveexec_b64 s[14:15], s[0:1]
	s_cbranch_execz .LBB10_21
; %bb.12:
	v_cmp_nlt_f32_e64 s[0:1], |v6|, 0.5
	s_and_saveexec_b64 s[2:3], s[0:1]
	s_xor_b64 s[16:17], exec, s[2:3]
	s_cbranch_execz .LBB10_18
; %bb.13:
	s_brev_b32 s0, 18
	v_and_b32_e32 v2, 0x7fffffff, v6
	v_cmp_nlt_f32_e64 s[0:1], |v6|, s0
                                        ; implicit-def: $vgpr3
                                        ; implicit-def: $vgpr4
	s_and_saveexec_b64 s[2:3], s[0:1]
	s_xor_b64 s[18:19], exec, s[2:3]
	s_cbranch_execz .LBB10_15
; %bb.14:
	v_and_b32_e32 v3, 0x7fffff, v2
	v_or_b32_e32 v16, 0x800000, v3
	s_mov_b32 s0, 0xfe5163ab
	v_mad_u64_u32 v[3:4], s[0:1], v16, s0, 0
	v_mov_b32_e32 v5, 0
	s_mov_b32 s0, 0x3c439041
	v_mad_u64_u32 v[10:11], s[0:1], v16, s0, v[4:5]
	s_mov_b32 s0, 0xdb629599
	v_not_b32_e32 v15, 63
	v_mov_b32_e32 v4, v11
	v_mad_u64_u32 v[11:12], s[0:1], v16, s0, v[4:5]
	s_mov_b32 s0, 0xf534ddc0
	v_not_b32_e32 v18, 31
	v_mov_b32_e32 v4, v12
	v_mad_u64_u32 v[12:13], s[0:1], v16, s0, v[4:5]
	v_lshrrev_b32_e32 v4, 23, v2
	v_add_u32_e32 v17, 0xffffff88, v4
	v_mov_b32_e32 v4, v13
	s_mov_b32 s0, 0xfc2757d1
	v_mad_u64_u32 v[13:14], s[0:1], v16, s0, v[4:5]
	v_cmp_lt_u32_e32 vcc, 63, v17
	v_cndmask_b32_e32 v4, 0, v15, vcc
	v_add_u32_e32 v17, v4, v17
	v_mov_b32_e32 v4, v14
	s_mov_b32 s0, 0x4e441529
	v_mad_u64_u32 v[14:15], s[0:1], v16, s0, v[4:5]
	v_cmp_lt_u32_e64 s[0:1], 31, v17
	v_cndmask_b32_e64 v4, 0, v18, s[0:1]
	v_add_u32_e32 v17, v4, v17
	v_mov_b32_e32 v4, v15
	s_mov_b32 s2, 0xa2f9836e
	v_mad_u64_u32 v[4:5], s[2:3], v16, s2, v[4:5]
	v_cmp_lt_u32_e64 s[2:3], 31, v17
	v_cndmask_b32_e64 v15, 0, v18, s[2:3]
	v_cndmask_b32_e32 v16, v14, v12, vcc
	v_cndmask_b32_e32 v4, v4, v13, vcc
	;; [unrolled: 1-line block ×3, first 2 shown]
	v_add_u32_e32 v15, v15, v17
	v_cndmask_b32_e64 v17, v4, v16, s[0:1]
	v_cndmask_b32_e64 v4, v5, v4, s[0:1]
	v_cndmask_b32_e32 v5, v13, v11, vcc
	v_cndmask_b32_e64 v13, v16, v5, s[0:1]
	v_cndmask_b32_e64 v4, v4, v17, s[2:3]
	;; [unrolled: 1-line block ×3, first 2 shown]
	v_sub_u32_e32 v16, 32, v15
	v_alignbit_b32 v17, v4, v14, v16
	v_cmp_eq_u32_e64 s[4:5], 0, v15
	v_cndmask_b32_e64 v15, v17, v4, s[4:5]
	v_cndmask_b32_e32 v4, v12, v10, vcc
	v_cndmask_b32_e64 v5, v5, v4, s[0:1]
	v_cndmask_b32_e64 v10, v13, v5, s[2:3]
	v_alignbit_b32 v12, v14, v10, v16
	v_cndmask_b32_e32 v3, v11, v3, vcc
	v_cndmask_b32_e64 v12, v12, v14, s[4:5]
	v_bfe_u32 v17, v15, 29, 1
	v_cndmask_b32_e64 v3, v4, v3, s[0:1]
	v_alignbit_b32 v13, v15, v12, 30
	v_sub_u32_e32 v18, 0, v17
	v_cndmask_b32_e64 v3, v5, v3, s[2:3]
	v_xor_b32_e32 v13, v13, v18
	v_alignbit_b32 v4, v10, v3, v16
	v_cndmask_b32_e64 v4, v4, v10, s[4:5]
	v_ffbh_u32_e32 v10, v13
	v_alignbit_b32 v5, v12, v4, 30
	v_min_u32_e32 v10, 32, v10
	v_alignbit_b32 v3, v4, v3, 30
	v_xor_b32_e32 v5, v5, v18
	v_sub_u32_e32 v11, 31, v10
	v_xor_b32_e32 v3, v3, v18
	v_alignbit_b32 v12, v13, v5, v11
	v_alignbit_b32 v3, v5, v3, v11
	;; [unrolled: 1-line block ×3, first 2 shown]
	v_ffbh_u32_e32 v5, v4
	v_min_u32_e32 v5, 32, v5
	v_lshrrev_b32_e32 v14, 29, v15
	v_not_b32_e32 v11, v5
	v_alignbit_b32 v3, v4, v3, v11
	v_lshlrev_b32_e32 v4, 31, v14
	v_or_b32_e32 v11, 0x33000000, v4
	v_add_lshl_u32 v5, v5, v10, 23
	v_lshrrev_b32_e32 v3, 9, v3
	v_sub_u32_e32 v5, v11, v5
	v_or_b32_e32 v4, 0.5, v4
	v_lshlrev_b32_e32 v10, 23, v10
	v_or_b32_e32 v3, v5, v3
	v_lshrrev_b32_e32 v5, 9, v12
	v_sub_u32_e32 v4, v4, v10
	v_or_b32_e32 v4, v5, v4
	s_mov_b32 s0, 0x3fc90fda
	v_mul_f32_e32 v5, 0x3fc90fda, v4
	v_fma_f32 v10, v4, s0, -v5
	v_fmac_f32_e32 v10, 0x33a22168, v4
	v_fmac_f32_e32 v10, 0x3fc90fda, v3
	v_lshrrev_b32_e32 v3, 30, v15
	v_add_f32_e32 v4, v5, v10
	v_add_u32_e32 v3, v17, v3
.LBB10_15:
	s_andn2_saveexec_b64 s[0:1], s[18:19]
	s_cbranch_execz .LBB10_17
; %bb.16:
	s_mov_b32 s2, 0x3f22f983
	v_mul_f32_e64 v3, |v6|, s2
	v_rndne_f32_e32 v5, v3
	s_mov_b32 s2, 0xbfc90fda
	v_cvt_i32_f32_e32 v3, v5
	v_fma_f32 v4, v5, s2, |v6|
	v_fmac_f32_e32 v4, 0xb3a22168, v5
	v_fmac_f32_e32 v4, 0xa7c234c4, v5
.LBB10_17:
	s_or_b64 exec, exec, s[0:1]
	v_mul_f32_e32 v5, v4, v4
	v_mov_b32_e32 v10, 0x3c0881c4
	v_fmac_f32_e32 v10, 0xb94c1982, v5
	v_mov_b32_e32 v11, 0xbe2aaa9d
	v_fmac_f32_e32 v11, v5, v10
	v_mul_f32_e32 v10, v5, v11
	v_fmac_f32_e32 v4, v4, v10
	v_mov_b32_e32 v10, 0xbab64f3b
	v_fmac_f32_e32 v10, 0x37d75334, v5
	v_mov_b32_e32 v11, 0x3d2aabf7
	;; [unrolled: 2-line block ×3, first 2 shown]
	v_fmac_f32_e32 v10, v5, v11
	v_fma_f32 v5, v5, v10, 1.0
	v_and_b32_e32 v10, 1, v3
	v_lshlrev_b32_e32 v3, 30, v3
	v_cmp_eq_u32_e32 vcc, 0, v10
	v_and_b32_e32 v3, 0x80000000, v3
	v_xor_b32_e32 v2, v2, v6
	v_cndmask_b32_e32 v4, v5, v4, vcc
	v_xor_b32_e32 v2, v2, v3
	s_movk_i32 s0, 0x1f8
	v_xor_b32_e32 v2, v2, v4
	v_mov_b32_e32 v3, 0x7fc00000
	v_cmp_class_f32_e64 vcc, v6, s0
	v_cndmask_b32_e32 v2, v3, v2, vcc
	v_div_scale_f32 v3, s[0:1], v6, v6, v2
	v_div_scale_f32 v4, vcc, v2, v6, v2
	v_rcp_f32_e32 v5, v3
	v_fma_f32 v10, -v3, v5, 1.0
	v_fmac_f32_e32 v5, v10, v5
	v_mul_f32_e32 v10, v4, v5
	v_fma_f32 v11, -v3, v10, v4
	v_fmac_f32_e32 v10, v11, v5
	v_fma_f32 v3, -v3, v10, v4
	v_div_fmas_f32 v3, v3, v5, v10
	v_div_fixup_f32 v2, v3, v6, v2
.LBB10_18:
	s_andn2_saveexec_b64 s[0:1], s[16:17]
	s_cbranch_execz .LBB10_20
; %bb.19:
	v_mul_f32_e32 v2, v6, v6
	v_mov_b32_e32 v3, 0xb2d7322b
	v_fmac_f32_e32 v3, 0x2f309231, v2
	v_mov_b32_e32 v4, 0x3638ef1d
	v_fmac_f32_e32 v4, v2, v3
	;; [unrolled: 2-line block ×5, first 2 shown]
	v_fma_f32 v2, v2, v3, 1.0
.LBB10_20:
	s_or_b64 exec, exec, s[0:1]
.LBB10_21:
	s_or_b64 exec, exec, s[14:15]
	v_cmp_neq_f32_e64 s[0:1], |v7|, s13
	v_mov_b32_e32 v4, 0
	v_mov_b32_e32 v3, 0
	s_and_saveexec_b64 s[14:15], s[0:1]
	s_cbranch_execz .LBB10_31
; %bb.22:
	v_cmp_nlt_f32_e64 s[0:1], |v7|, 0.5
	s_and_saveexec_b64 s[2:3], s[0:1]
	s_xor_b64 s[16:17], exec, s[2:3]
	s_cbranch_execz .LBB10_28
; %bb.23:
	s_brev_b32 s0, 18
	v_and_b32_e32 v3, 0x7fffffff, v7
	v_cmp_nlt_f32_e64 s[0:1], |v7|, s0
                                        ; implicit-def: $vgpr5
                                        ; implicit-def: $vgpr6
	s_and_saveexec_b64 s[2:3], s[0:1]
	s_xor_b64 s[18:19], exec, s[2:3]
	s_cbranch_execz .LBB10_25
; %bb.24:
	v_and_b32_e32 v5, 0x7fffff, v3
	v_or_b32_e32 v18, 0x800000, v5
	s_mov_b32 s0, 0xfe5163ab
	v_mad_u64_u32 v[5:6], s[0:1], v18, s0, 0
	v_mov_b32_e32 v11, 0
	s_mov_b32 s0, 0x3c439041
	v_mov_b32_e32 v10, v6
	v_mad_u64_u32 v[12:13], s[0:1], v18, s0, v[10:11]
	s_mov_b32 s0, 0xdb629599
	v_lshrrev_b32_e32 v6, 23, v3
	v_mov_b32_e32 v10, v13
	v_mad_u64_u32 v[13:14], s[0:1], v18, s0, v[10:11]
	s_mov_b32 s0, 0xf534ddc0
	v_add_u32_e32 v6, 0xffffff88, v6
	v_mov_b32_e32 v10, v14
	v_mad_u64_u32 v[14:15], s[0:1], v18, s0, v[10:11]
	s_mov_b32 s0, 0xfc2757d1
	v_not_b32_e32 v17, 63
	v_mov_b32_e32 v10, v15
	v_mad_u64_u32 v[15:16], s[0:1], v18, s0, v[10:11]
	v_cmp_lt_u32_e32 vcc, 63, v6
	v_cndmask_b32_e32 v10, 0, v17, vcc
	v_add_u32_e32 v6, v10, v6
	v_mov_b32_e32 v10, v16
	s_mov_b32 s0, 0x4e441529
	v_mad_u64_u32 v[16:17], s[0:1], v18, s0, v[10:11]
	v_not_b32_e32 v19, 31
	v_cmp_lt_u32_e64 s[0:1], 31, v6
	v_cndmask_b32_e64 v10, 0, v19, s[0:1]
	v_add_u32_e32 v6, v10, v6
	v_mov_b32_e32 v10, v17
	s_mov_b32 s2, 0xa2f9836e
	v_mad_u64_u32 v[10:11], s[2:3], v18, s2, v[10:11]
	v_cmp_lt_u32_e64 s[2:3], 31, v6
	v_cndmask_b32_e64 v17, 0, v19, s[2:3]
	v_add_u32_e32 v6, v17, v6
	v_cndmask_b32_e32 v17, v16, v14, vcc
	v_cndmask_b32_e32 v10, v10, v15, vcc
	v_cndmask_b32_e32 v11, v11, v16, vcc
	v_cndmask_b32_e64 v18, v10, v17, s[0:1]
	v_cndmask_b32_e64 v10, v11, v10, s[0:1]
	v_cndmask_b32_e32 v11, v15, v13, vcc
	v_cndmask_b32_e64 v15, v17, v11, s[0:1]
	v_sub_u32_e32 v17, 32, v6
	v_cmp_eq_u32_e64 s[4:5], 0, v6
	v_cndmask_b32_e32 v6, v14, v12, vcc
	v_cndmask_b32_e64 v10, v10, v18, s[2:3]
	v_cndmask_b32_e64 v16, v18, v15, s[2:3]
	;; [unrolled: 1-line block ×3, first 2 shown]
	v_alignbit_b32 v18, v10, v16, v17
	v_cndmask_b32_e64 v12, v15, v11, s[2:3]
	v_cndmask_b32_e64 v10, v18, v10, s[4:5]
	v_alignbit_b32 v14, v16, v12, v17
	v_cndmask_b32_e32 v5, v13, v5, vcc
	v_cndmask_b32_e64 v14, v14, v16, s[4:5]
	v_bfe_u32 v18, v10, 29, 1
	v_cndmask_b32_e64 v5, v6, v5, s[0:1]
	v_alignbit_b32 v15, v10, v14, 30
	v_sub_u32_e32 v19, 0, v18
	v_cndmask_b32_e64 v5, v11, v5, s[2:3]
	v_xor_b32_e32 v15, v15, v19
	v_alignbit_b32 v6, v12, v5, v17
	v_cndmask_b32_e64 v6, v6, v12, s[4:5]
	v_ffbh_u32_e32 v12, v15
	v_alignbit_b32 v11, v14, v6, 30
	v_min_u32_e32 v12, 32, v12
	v_alignbit_b32 v5, v6, v5, 30
	v_xor_b32_e32 v11, v11, v19
	v_sub_u32_e32 v13, 31, v12
	v_xor_b32_e32 v5, v5, v19
	v_alignbit_b32 v14, v15, v11, v13
	v_alignbit_b32 v5, v11, v5, v13
	;; [unrolled: 1-line block ×3, first 2 shown]
	v_ffbh_u32_e32 v11, v6
	v_min_u32_e32 v11, 32, v11
	v_lshrrev_b32_e32 v16, 29, v10
	v_not_b32_e32 v13, v11
	v_alignbit_b32 v5, v6, v5, v13
	v_lshlrev_b32_e32 v6, 31, v16
	v_or_b32_e32 v13, 0x33000000, v6
	v_add_lshl_u32 v11, v11, v12, 23
	v_lshrrev_b32_e32 v5, 9, v5
	v_sub_u32_e32 v11, v13, v11
	v_or_b32_e32 v6, 0.5, v6
	v_lshlrev_b32_e32 v12, 23, v12
	v_or_b32_e32 v5, v11, v5
	v_lshrrev_b32_e32 v11, 9, v14
	v_sub_u32_e32 v6, v6, v12
	v_or_b32_e32 v6, v11, v6
	s_mov_b32 s0, 0x3fc90fda
	v_mul_f32_e32 v11, 0x3fc90fda, v6
	v_fma_f32 v12, v6, s0, -v11
	v_fmac_f32_e32 v12, 0x33a22168, v6
	v_fmac_f32_e32 v12, 0x3fc90fda, v5
	v_lshrrev_b32_e32 v5, 30, v10
	v_add_f32_e32 v6, v11, v12
	v_add_u32_e32 v5, v18, v5
.LBB10_25:
	s_andn2_saveexec_b64 s[0:1], s[18:19]
	s_cbranch_execz .LBB10_27
; %bb.26:
	s_mov_b32 s2, 0x3f22f983
	v_mul_f32_e64 v5, |v7|, s2
	v_rndne_f32_e32 v10, v5
	s_mov_b32 s2, 0xbfc90fda
	v_cvt_i32_f32_e32 v5, v10
	v_fma_f32 v6, v10, s2, |v7|
	v_fmac_f32_e32 v6, 0xb3a22168, v10
	v_fmac_f32_e32 v6, 0xa7c234c4, v10
.LBB10_27:
	s_or_b64 exec, exec, s[0:1]
	v_mul_f32_e32 v10, v6, v6
	v_mov_b32_e32 v11, 0x3c0881c4
	v_fmac_f32_e32 v11, 0xb94c1982, v10
	v_mov_b32_e32 v12, 0xbe2aaa9d
	v_fmac_f32_e32 v12, v10, v11
	v_mul_f32_e32 v11, v10, v12
	v_fmac_f32_e32 v6, v6, v11
	v_mov_b32_e32 v11, 0xbab64f3b
	v_fmac_f32_e32 v11, 0x37d75334, v10
	v_mov_b32_e32 v12, 0x3d2aabf7
	;; [unrolled: 2-line block ×3, first 2 shown]
	v_fmac_f32_e32 v11, v10, v12
	v_fma_f32 v10, v10, v11, 1.0
	v_and_b32_e32 v11, 1, v5
	v_lshlrev_b32_e32 v5, 30, v5
	v_cmp_eq_u32_e32 vcc, 0, v11
	v_and_b32_e32 v5, 0x80000000, v5
	v_xor_b32_e32 v3, v3, v7
	v_cndmask_b32_e32 v6, v10, v6, vcc
	v_xor_b32_e32 v3, v3, v5
	s_movk_i32 s0, 0x1f8
	v_xor_b32_e32 v3, v3, v6
	v_mov_b32_e32 v5, 0x7fc00000
	v_cmp_class_f32_e64 vcc, v7, s0
	v_cndmask_b32_e32 v3, v5, v3, vcc
	v_div_scale_f32 v5, s[0:1], v7, v7, v3
	v_div_scale_f32 v6, vcc, v3, v7, v3
	v_rcp_f32_e32 v10, v5
	v_fma_f32 v11, -v5, v10, 1.0
	v_fmac_f32_e32 v10, v11, v10
	v_mul_f32_e32 v11, v6, v10
	v_fma_f32 v12, -v5, v11, v6
	v_fmac_f32_e32 v11, v12, v10
	v_fma_f32 v5, -v5, v11, v6
	v_div_fmas_f32 v5, v5, v10, v11
	v_div_fixup_f32 v3, v5, v7, v3
.LBB10_28:
	s_andn2_saveexec_b64 s[0:1], s[16:17]
	s_cbranch_execz .LBB10_30
; %bb.29:
	v_mul_f32_e32 v3, v7, v7
	v_mov_b32_e32 v5, 0xb2d7322b
	v_fmac_f32_e32 v5, 0x2f309231, v3
	v_mov_b32_e32 v6, 0x3638ef1d
	v_fmac_f32_e32 v6, v3, v5
	;; [unrolled: 2-line block ×5, first 2 shown]
	v_fma_f32 v3, v3, v5, 1.0
.LBB10_30:
	s_or_b64 exec, exec, s[0:1]
.LBB10_31:
	s_or_b64 exec, exec, s[14:15]
	v_cmp_neq_f32_e64 s[0:1], |v8|, s13
	s_and_saveexec_b64 s[14:15], s[0:1]
	s_cbranch_execz .LBB10_41
; %bb.32:
	v_cmp_nlt_f32_e64 s[0:1], |v8|, 0.5
	s_and_saveexec_b64 s[2:3], s[0:1]
	s_xor_b64 s[16:17], exec, s[2:3]
	s_cbranch_execz .LBB10_38
; %bb.33:
	s_brev_b32 s0, 18
	v_and_b32_e32 v4, 0x7fffffff, v8
	v_cmp_nlt_f32_e64 s[0:1], |v8|, s0
                                        ; implicit-def: $vgpr5
                                        ; implicit-def: $vgpr6
	s_and_saveexec_b64 s[2:3], s[0:1]
	s_xor_b64 s[18:19], exec, s[2:3]
	s_cbranch_execz .LBB10_35
; %bb.34:
	v_and_b32_e32 v5, 0x7fffff, v4
	v_or_b32_e32 v16, 0x800000, v5
	s_mov_b32 s0, 0xfe5163ab
	v_mad_u64_u32 v[5:6], s[0:1], v16, s0, 0
	v_mov_b32_e32 v7, 0
	s_mov_b32 s0, 0x3c439041
	v_mad_u64_u32 v[10:11], s[0:1], v16, s0, v[6:7]
	s_mov_b32 s0, 0xdb629599
	v_not_b32_e32 v15, 63
	v_mov_b32_e32 v6, v11
	v_mad_u64_u32 v[11:12], s[0:1], v16, s0, v[6:7]
	s_mov_b32 s0, 0xf534ddc0
	v_not_b32_e32 v18, 31
	v_mov_b32_e32 v6, v12
	v_mad_u64_u32 v[12:13], s[0:1], v16, s0, v[6:7]
	v_lshrrev_b32_e32 v6, 23, v4
	v_add_u32_e32 v17, 0xffffff88, v6
	v_mov_b32_e32 v6, v13
	s_mov_b32 s0, 0xfc2757d1
	v_mad_u64_u32 v[13:14], s[0:1], v16, s0, v[6:7]
	v_cmp_lt_u32_e32 vcc, 63, v17
	v_cndmask_b32_e32 v6, 0, v15, vcc
	v_add_u32_e32 v17, v6, v17
	v_mov_b32_e32 v6, v14
	s_mov_b32 s0, 0x4e441529
	v_mad_u64_u32 v[14:15], s[0:1], v16, s0, v[6:7]
	v_cmp_lt_u32_e64 s[0:1], 31, v17
	v_cndmask_b32_e64 v6, 0, v18, s[0:1]
	v_add_u32_e32 v17, v6, v17
	v_mov_b32_e32 v6, v15
	s_mov_b32 s2, 0xa2f9836e
	v_mad_u64_u32 v[6:7], s[2:3], v16, s2, v[6:7]
	v_cmp_lt_u32_e64 s[2:3], 31, v17
	v_cndmask_b32_e64 v15, 0, v18, s[2:3]
	v_cndmask_b32_e32 v16, v14, v12, vcc
	v_cndmask_b32_e32 v6, v6, v13, vcc
	;; [unrolled: 1-line block ×3, first 2 shown]
	v_add_u32_e32 v15, v15, v17
	v_cndmask_b32_e64 v17, v6, v16, s[0:1]
	v_cndmask_b32_e64 v6, v7, v6, s[0:1]
	v_cndmask_b32_e32 v7, v13, v11, vcc
	v_cndmask_b32_e64 v13, v16, v7, s[0:1]
	v_cndmask_b32_e64 v6, v6, v17, s[2:3]
	;; [unrolled: 1-line block ×3, first 2 shown]
	v_sub_u32_e32 v16, 32, v15
	v_alignbit_b32 v17, v6, v14, v16
	v_cmp_eq_u32_e64 s[4:5], 0, v15
	v_cndmask_b32_e64 v15, v17, v6, s[4:5]
	v_cndmask_b32_e32 v6, v12, v10, vcc
	v_cndmask_b32_e64 v7, v7, v6, s[0:1]
	v_cndmask_b32_e64 v10, v13, v7, s[2:3]
	v_alignbit_b32 v12, v14, v10, v16
	v_cndmask_b32_e32 v5, v11, v5, vcc
	v_cndmask_b32_e64 v12, v12, v14, s[4:5]
	v_bfe_u32 v17, v15, 29, 1
	v_cndmask_b32_e64 v5, v6, v5, s[0:1]
	v_alignbit_b32 v13, v15, v12, 30
	v_sub_u32_e32 v18, 0, v17
	v_cndmask_b32_e64 v5, v7, v5, s[2:3]
	v_xor_b32_e32 v13, v13, v18
	v_alignbit_b32 v6, v10, v5, v16
	v_cndmask_b32_e64 v6, v6, v10, s[4:5]
	v_ffbh_u32_e32 v10, v13
	v_alignbit_b32 v7, v12, v6, 30
	v_min_u32_e32 v10, 32, v10
	v_alignbit_b32 v5, v6, v5, 30
	v_xor_b32_e32 v7, v7, v18
	v_sub_u32_e32 v11, 31, v10
	v_xor_b32_e32 v5, v5, v18
	v_alignbit_b32 v12, v13, v7, v11
	v_alignbit_b32 v5, v7, v5, v11
	;; [unrolled: 1-line block ×3, first 2 shown]
	v_ffbh_u32_e32 v7, v6
	v_min_u32_e32 v7, 32, v7
	v_lshrrev_b32_e32 v14, 29, v15
	v_not_b32_e32 v11, v7
	v_alignbit_b32 v5, v6, v5, v11
	v_lshlrev_b32_e32 v6, 31, v14
	v_or_b32_e32 v11, 0x33000000, v6
	v_add_lshl_u32 v7, v7, v10, 23
	v_lshrrev_b32_e32 v5, 9, v5
	v_sub_u32_e32 v7, v11, v7
	v_or_b32_e32 v6, 0.5, v6
	v_lshlrev_b32_e32 v10, 23, v10
	v_or_b32_e32 v5, v7, v5
	v_lshrrev_b32_e32 v7, 9, v12
	v_sub_u32_e32 v6, v6, v10
	v_or_b32_e32 v6, v7, v6
	s_mov_b32 s0, 0x3fc90fda
	v_mul_f32_e32 v7, 0x3fc90fda, v6
	v_fma_f32 v10, v6, s0, -v7
	v_fmac_f32_e32 v10, 0x33a22168, v6
	v_fmac_f32_e32 v10, 0x3fc90fda, v5
	v_lshrrev_b32_e32 v5, 30, v15
	v_add_f32_e32 v6, v7, v10
	v_add_u32_e32 v5, v17, v5
.LBB10_35:
	s_andn2_saveexec_b64 s[0:1], s[18:19]
	s_cbranch_execz .LBB10_37
; %bb.36:
	s_mov_b32 s2, 0x3f22f983
	v_mul_f32_e64 v5, |v8|, s2
	v_rndne_f32_e32 v7, v5
	s_mov_b32 s2, 0xbfc90fda
	v_cvt_i32_f32_e32 v5, v7
	v_fma_f32 v6, v7, s2, |v8|
	v_fmac_f32_e32 v6, 0xb3a22168, v7
	v_fmac_f32_e32 v6, 0xa7c234c4, v7
.LBB10_37:
	s_or_b64 exec, exec, s[0:1]
	v_mul_f32_e32 v7, v6, v6
	v_mov_b32_e32 v10, 0x3c0881c4
	v_fmac_f32_e32 v10, 0xb94c1982, v7
	v_mov_b32_e32 v11, 0xbe2aaa9d
	v_fmac_f32_e32 v11, v7, v10
	v_mul_f32_e32 v10, v7, v11
	v_fmac_f32_e32 v6, v6, v10
	v_mov_b32_e32 v10, 0xbab64f3b
	v_fmac_f32_e32 v10, 0x37d75334, v7
	v_mov_b32_e32 v11, 0x3d2aabf7
	;; [unrolled: 2-line block ×3, first 2 shown]
	v_fmac_f32_e32 v10, v7, v11
	v_fma_f32 v7, v7, v10, 1.0
	v_and_b32_e32 v10, 1, v5
	v_lshlrev_b32_e32 v5, 30, v5
	v_cmp_eq_u32_e32 vcc, 0, v10
	v_and_b32_e32 v5, 0x80000000, v5
	v_xor_b32_e32 v4, v4, v8
	v_cndmask_b32_e32 v6, v7, v6, vcc
	v_xor_b32_e32 v4, v4, v5
	s_movk_i32 s0, 0x1f8
	v_xor_b32_e32 v4, v4, v6
	v_mov_b32_e32 v5, 0x7fc00000
	v_cmp_class_f32_e64 vcc, v8, s0
	v_cndmask_b32_e32 v4, v5, v4, vcc
	v_div_scale_f32 v5, s[0:1], v8, v8, v4
	v_div_scale_f32 v6, vcc, v4, v8, v4
	v_rcp_f32_e32 v7, v5
	v_fma_f32 v10, -v5, v7, 1.0
	v_fmac_f32_e32 v7, v10, v7
	v_mul_f32_e32 v10, v6, v7
	v_fma_f32 v11, -v5, v10, v6
	v_fmac_f32_e32 v10, v11, v7
	v_fma_f32 v5, -v5, v10, v6
	v_div_fmas_f32 v5, v5, v7, v10
	v_div_fixup_f32 v4, v5, v8, v4
                                        ; implicit-def: $vgpr5_vgpr6_vgpr7_vgpr8
.LBB10_38:
	s_andn2_saveexec_b64 s[0:1], s[16:17]
	s_cbranch_execz .LBB10_40
; %bb.39:
	v_mul_f32_e32 v4, v8, v8
	v_mov_b32_e32 v5, 0xb2d7322b
	v_fmac_f32_e32 v5, 0x2f309231, v4
	v_mov_b32_e32 v6, 0x3638ef1d
	v_fmac_f32_e32 v6, v4, v5
	;; [unrolled: 2-line block ×5, first 2 shown]
	v_fma_f32 v4, v4, v5, 1.0
.LBB10_40:
	s_or_b64 exec, exec, s[0:1]
.LBB10_41:
	s_or_b64 exec, exec, s[14:15]
	s_add_u32 s0, s8, s6
	s_addc_u32 s1, s9, s7
	global_store_dwordx4 v9, v[1:4], s[0:1]
	s_mov_b64 s[0:1], 0
.LBB10_42:
	s_and_b64 vcc, exec, s[0:1]
	s_cbranch_vccz .LBB10_93
; %bb.43:
	v_cmp_gt_i32_e64 s[0:1], s20, v0
	v_mov_b32_e32 v9, 0
	v_or_b32_e32 v6, s12, v0
	v_mov_b32_e32 v5, 0
	v_mov_b32_e32 v1, v0
	s_and_saveexec_b64 s[2:3], s[0:1]
	s_cbranch_execz .LBB10_45
; %bb.44:
	v_mov_b32_e32 v7, 0
	v_lshlrev_b64 v[1:2], 2, v[6:7]
	v_mov_b32_e32 v3, s11
	v_add_co_u32_e32 v1, vcc, s10, v1
	v_addc_co_u32_e32 v2, vcc, v3, v2, vcc
	global_load_dword v5, v[1:2], off
	v_or_b32_e32 v1, 0x100, v0
.LBB10_45:
	s_or_b64 exec, exec, s[2:3]
	v_cmp_gt_i32_e32 vcc, s20, v1
	s_and_saveexec_b64 s[2:3], vcc
	s_cbranch_execz .LBB10_47
; %bb.46:
	v_add_u32_e32 v2, s12, v1
	v_mov_b32_e32 v3, 0
	v_lshlrev_b64 v[2:3], 2, v[2:3]
	v_mov_b32_e32 v4, s11
	v_add_co_u32_e32 v2, vcc, s10, v2
	v_addc_co_u32_e32 v3, vcc, v4, v3, vcc
	global_load_dword v9, v[2:3], off
	v_add_u32_e32 v1, 0x100, v1
.LBB10_47:
	s_or_b64 exec, exec, s[2:3]
	v_cmp_gt_i32_e32 vcc, s20, v1
	v_mov_b32_e32 v7, 0
	v_mov_b32_e32 v8, 0
	s_and_saveexec_b64 s[2:3], vcc
	s_cbranch_execz .LBB10_49
; %bb.48:
	v_add_u32_e32 v2, s12, v1
	v_mov_b32_e32 v3, 0
	v_lshlrev_b64 v[2:3], 2, v[2:3]
	v_mov_b32_e32 v4, s11
	v_add_co_u32_e32 v2, vcc, s10, v2
	v_addc_co_u32_e32 v3, vcc, v4, v3, vcc
	global_load_dword v8, v[2:3], off
	v_add_u32_e32 v1, 0x100, v1
.LBB10_49:
	s_or_b64 exec, exec, s[2:3]
	v_cmp_gt_i32_e32 vcc, s20, v1
	s_and_saveexec_b64 s[2:3], vcc
	s_cbranch_execz .LBB10_51
; %bb.50:
	v_add_u32_e32 v1, s12, v1
	v_mov_b32_e32 v2, 0
	v_lshlrev_b64 v[1:2], 2, v[1:2]
	v_mov_b32_e32 v3, s11
	v_add_co_u32_e32 v1, vcc, s10, v1
	v_addc_co_u32_e32 v2, vcc, v3, v2, vcc
	global_load_dword v7, v[1:2], off
.LBB10_51:
	s_or_b64 exec, exec, s[2:3]
	v_mov_b32_e32 v1, 0
	v_mov_b32_e32 v2, v1
	;; [unrolled: 1-line block ×4, first 2 shown]
	s_and_saveexec_b64 s[10:11], s[0:1]
	s_cbranch_execz .LBB10_63
; %bb.52:
	s_mov_b32 s2, 0x7f800000
	s_waitcnt vmcnt(0)
	v_cmp_neq_f32_e64 s[2:3], |v5|, s2
	v_mov_b32_e32 v2, 0
	s_and_saveexec_b64 s[14:15], s[2:3]
	s_cbranch_execz .LBB10_62
; %bb.53:
	v_cmp_nlt_f32_e64 s[2:3], |v5|, 0.5
                                        ; implicit-def: $vgpr2
	s_and_saveexec_b64 s[4:5], s[2:3]
	s_xor_b64 s[16:17], exec, s[4:5]
	s_cbranch_execz .LBB10_59
; %bb.54:
	s_brev_b32 s2, 18
	v_and_b32_e32 v2, 0x7fffffff, v5
	v_cmp_nlt_f32_e64 s[2:3], |v5|, s2
                                        ; implicit-def: $vgpr3
                                        ; implicit-def: $vgpr4
	s_and_saveexec_b64 s[4:5], s[2:3]
	s_xor_b64 s[18:19], exec, s[4:5]
	s_cbranch_execz .LBB10_56
; %bb.55:
	v_and_b32_e32 v3, 0x7fffff, v2
	v_or_b32_e32 v18, 0x800000, v3
	s_mov_b32 s2, 0xfe5163ab
	v_mad_u64_u32 v[3:4], s[2:3], v18, s2, 0
	v_mov_b32_e32 v11, 0
	s_mov_b32 s2, 0x3c439041
	v_mov_b32_e32 v10, v4
	v_mad_u64_u32 v[12:13], s[2:3], v18, s2, v[10:11]
	s_mov_b32 s2, 0xdb629599
	v_lshrrev_b32_e32 v4, 23, v2
	v_mov_b32_e32 v10, v13
	v_mad_u64_u32 v[13:14], s[2:3], v18, s2, v[10:11]
	s_mov_b32 s2, 0xf534ddc0
	v_add_u32_e32 v4, 0xffffff88, v4
	v_mov_b32_e32 v10, v14
	v_mad_u64_u32 v[14:15], s[2:3], v18, s2, v[10:11]
	s_mov_b32 s2, 0xfc2757d1
	v_not_b32_e32 v17, 63
	v_mov_b32_e32 v10, v15
	v_mad_u64_u32 v[15:16], s[2:3], v18, s2, v[10:11]
	v_cmp_lt_u32_e32 vcc, 63, v4
	v_cndmask_b32_e32 v10, 0, v17, vcc
	v_add_u32_e32 v4, v10, v4
	v_mov_b32_e32 v10, v16
	s_mov_b32 s2, 0x4e441529
	v_mad_u64_u32 v[16:17], s[2:3], v18, s2, v[10:11]
	v_not_b32_e32 v19, 31
	v_cmp_lt_u32_e64 s[2:3], 31, v4
	v_cndmask_b32_e64 v10, 0, v19, s[2:3]
	v_add_u32_e32 v4, v10, v4
	v_mov_b32_e32 v10, v17
	s_mov_b32 s4, 0xa2f9836e
	v_mad_u64_u32 v[10:11], s[4:5], v18, s4, v[10:11]
	v_cmp_lt_u32_e64 s[4:5], 31, v4
	v_cndmask_b32_e64 v17, 0, v19, s[4:5]
	v_add_u32_e32 v4, v17, v4
	v_cndmask_b32_e32 v17, v16, v14, vcc
	v_cndmask_b32_e32 v10, v10, v15, vcc
	;; [unrolled: 1-line block ×3, first 2 shown]
	v_cndmask_b32_e64 v18, v10, v17, s[2:3]
	v_cndmask_b32_e64 v10, v11, v10, s[2:3]
	v_cndmask_b32_e32 v11, v15, v13, vcc
	v_cndmask_b32_e64 v15, v17, v11, s[2:3]
	v_sub_u32_e32 v17, 32, v4
	v_cmp_eq_u32_e64 s[6:7], 0, v4
	v_cndmask_b32_e32 v4, v14, v12, vcc
	v_cndmask_b32_e64 v10, v10, v18, s[4:5]
	v_cndmask_b32_e64 v16, v18, v15, s[4:5]
	;; [unrolled: 1-line block ×3, first 2 shown]
	v_alignbit_b32 v18, v10, v16, v17
	v_cndmask_b32_e64 v12, v15, v11, s[4:5]
	v_cndmask_b32_e64 v10, v18, v10, s[6:7]
	v_alignbit_b32 v14, v16, v12, v17
	v_cndmask_b32_e32 v3, v13, v3, vcc
	v_cndmask_b32_e64 v14, v14, v16, s[6:7]
	v_bfe_u32 v18, v10, 29, 1
	v_cndmask_b32_e64 v3, v4, v3, s[2:3]
	v_alignbit_b32 v15, v10, v14, 30
	v_sub_u32_e32 v19, 0, v18
	v_cndmask_b32_e64 v3, v11, v3, s[4:5]
	v_xor_b32_e32 v15, v15, v19
	v_alignbit_b32 v4, v12, v3, v17
	v_cndmask_b32_e64 v4, v4, v12, s[6:7]
	v_ffbh_u32_e32 v12, v15
	v_alignbit_b32 v11, v14, v4, 30
	v_min_u32_e32 v12, 32, v12
	v_alignbit_b32 v3, v4, v3, 30
	v_xor_b32_e32 v11, v11, v19
	v_sub_u32_e32 v13, 31, v12
	v_xor_b32_e32 v3, v3, v19
	v_alignbit_b32 v14, v15, v11, v13
	v_alignbit_b32 v3, v11, v3, v13
	;; [unrolled: 1-line block ×3, first 2 shown]
	v_ffbh_u32_e32 v11, v4
	v_min_u32_e32 v11, 32, v11
	v_lshrrev_b32_e32 v16, 29, v10
	v_not_b32_e32 v13, v11
	v_alignbit_b32 v3, v4, v3, v13
	v_lshlrev_b32_e32 v4, 31, v16
	v_or_b32_e32 v13, 0x33000000, v4
	v_add_lshl_u32 v11, v11, v12, 23
	v_lshrrev_b32_e32 v3, 9, v3
	v_sub_u32_e32 v11, v13, v11
	v_or_b32_e32 v4, 0.5, v4
	v_lshlrev_b32_e32 v12, 23, v12
	v_or_b32_e32 v3, v11, v3
	v_lshrrev_b32_e32 v11, 9, v14
	v_sub_u32_e32 v4, v4, v12
	v_or_b32_e32 v4, v11, v4
	s_mov_b32 s2, 0x3fc90fda
	v_mul_f32_e32 v11, 0x3fc90fda, v4
	v_fma_f32 v12, v4, s2, -v11
	v_fmac_f32_e32 v12, 0x33a22168, v4
	v_fmac_f32_e32 v12, 0x3fc90fda, v3
	v_lshrrev_b32_e32 v3, 30, v10
	v_add_f32_e32 v4, v11, v12
	v_add_u32_e32 v3, v18, v3
.LBB10_56:
	s_andn2_saveexec_b64 s[2:3], s[18:19]
	s_cbranch_execz .LBB10_58
; %bb.57:
	s_mov_b32 s4, 0x3f22f983
	v_mul_f32_e64 v3, |v5|, s4
	v_rndne_f32_e32 v10, v3
	s_mov_b32 s4, 0xbfc90fda
	v_cvt_i32_f32_e32 v3, v10
	v_fma_f32 v4, v10, s4, |v5|
	v_fmac_f32_e32 v4, 0xb3a22168, v10
	v_fmac_f32_e32 v4, 0xa7c234c4, v10
.LBB10_58:
	s_or_b64 exec, exec, s[2:3]
	v_mul_f32_e32 v10, v4, v4
	v_mov_b32_e32 v11, 0x3c0881c4
	v_fmac_f32_e32 v11, 0xb94c1982, v10
	v_mov_b32_e32 v12, 0xbe2aaa9d
	v_fmac_f32_e32 v12, v10, v11
	v_mul_f32_e32 v11, v10, v12
	v_fmac_f32_e32 v4, v4, v11
	v_mov_b32_e32 v11, 0xbab64f3b
	v_fmac_f32_e32 v11, 0x37d75334, v10
	v_mov_b32_e32 v12, 0x3d2aabf7
	;; [unrolled: 2-line block ×3, first 2 shown]
	v_fmac_f32_e32 v11, v10, v12
	v_fma_f32 v10, v10, v11, 1.0
	v_and_b32_e32 v11, 1, v3
	v_lshlrev_b32_e32 v3, 30, v3
	v_cmp_eq_u32_e32 vcc, 0, v11
	v_and_b32_e32 v3, 0x80000000, v3
	v_xor_b32_e32 v2, v2, v5
	v_cndmask_b32_e32 v4, v10, v4, vcc
	v_xor_b32_e32 v2, v2, v3
	s_movk_i32 s2, 0x1f8
	v_xor_b32_e32 v2, v2, v4
	v_mov_b32_e32 v3, 0x7fc00000
	v_cmp_class_f32_e64 vcc, v5, s2
	v_cndmask_b32_e32 v2, v3, v2, vcc
	v_div_scale_f32 v3, s[2:3], v5, v5, v2
	v_div_scale_f32 v4, vcc, v2, v5, v2
	v_rcp_f32_e32 v10, v3
	v_fma_f32 v11, -v3, v10, 1.0
	v_fmac_f32_e32 v10, v11, v10
	v_mul_f32_e32 v11, v4, v10
	v_fma_f32 v12, -v3, v11, v4
	v_fmac_f32_e32 v11, v12, v10
	v_fma_f32 v3, -v3, v11, v4
	v_div_fmas_f32 v3, v3, v10, v11
	v_div_fixup_f32 v2, v3, v5, v2
                                        ; implicit-def: $vgpr5
.LBB10_59:
	s_andn2_saveexec_b64 s[2:3], s[16:17]
	s_cbranch_execz .LBB10_61
; %bb.60:
	v_mul_f32_e32 v2, v5, v5
	v_mov_b32_e32 v3, 0xb2d7322b
	v_fmac_f32_e32 v3, 0x2f309231, v2
	v_mov_b32_e32 v4, 0x3638ef1d
	v_fmac_f32_e32 v4, v2, v3
	;; [unrolled: 2-line block ×5, first 2 shown]
	v_fma_f32 v2, v2, v3, 1.0
.LBB10_61:
	s_or_b64 exec, exec, s[2:3]
.LBB10_62:
	s_or_b64 exec, exec, s[14:15]
	v_mov_b32_e32 v3, v1
	v_mov_b32_e32 v4, v1
	;; [unrolled: 1-line block ×7, first 2 shown]
.LBB10_63:
	s_or_b64 exec, exec, s[10:11]
	s_waitcnt vmcnt(0)
	v_or_b32_e32 v5, 0x100, v0
	v_cmp_gt_i32_e32 vcc, s20, v5
	s_and_saveexec_b64 s[10:11], vcc
	s_cbranch_execz .LBB10_75
; %bb.64:
	s_mov_b32 s2, 0x7f800000
	v_cmp_neq_f32_e64 s[2:3], |v9|, s2
	v_mov_b32_e32 v2, 0
	s_and_saveexec_b64 s[14:15], s[2:3]
	s_cbranch_execz .LBB10_74
; %bb.65:
	v_cmp_nlt_f32_e64 s[2:3], |v9|, 0.5
	s_and_saveexec_b64 s[4:5], s[2:3]
	s_xor_b64 s[16:17], exec, s[4:5]
	s_cbranch_execz .LBB10_71
; %bb.66:
	s_brev_b32 s2, 18
	v_and_b32_e32 v2, 0x7fffffff, v9
	v_cmp_nlt_f32_e64 s[2:3], |v9|, s2
                                        ; implicit-def: $vgpr10
                                        ; implicit-def: $vgpr11
	s_and_saveexec_b64 s[4:5], s[2:3]
	s_xor_b64 s[18:19], exec, s[4:5]
	s_cbranch_execz .LBB10_68
; %bb.67:
	v_and_b32_e32 v10, 0x7fffff, v2
	v_or_b32_e32 v19, 0x800000, v10
	s_mov_b32 s2, 0xfe5163ab
	v_mad_u64_u32 v[10:11], s[2:3], v19, s2, 0
	v_mov_b32_e32 v12, 0
	s_mov_b32 s2, 0x3c439041
	v_mad_u64_u32 v[13:14], s[2:3], v19, s2, v[11:12]
	s_mov_b32 s2, 0xdb629599
	v_not_b32_e32 v18, 63
	v_mov_b32_e32 v11, v14
	v_mad_u64_u32 v[14:15], s[2:3], v19, s2, v[11:12]
	s_mov_b32 s2, 0xf534ddc0
	v_not_b32_e32 v21, 31
	v_mov_b32_e32 v11, v15
	v_mad_u64_u32 v[15:16], s[2:3], v19, s2, v[11:12]
	v_lshrrev_b32_e32 v11, 23, v2
	v_add_u32_e32 v20, 0xffffff88, v11
	v_mov_b32_e32 v11, v16
	s_mov_b32 s2, 0xfc2757d1
	v_mad_u64_u32 v[16:17], s[2:3], v19, s2, v[11:12]
	v_cmp_lt_u32_e32 vcc, 63, v20
	v_cndmask_b32_e32 v11, 0, v18, vcc
	v_add_u32_e32 v20, v11, v20
	v_mov_b32_e32 v11, v17
	s_mov_b32 s2, 0x4e441529
	v_mad_u64_u32 v[17:18], s[2:3], v19, s2, v[11:12]
	v_cmp_lt_u32_e64 s[2:3], 31, v20
	v_cndmask_b32_e64 v11, 0, v21, s[2:3]
	v_add_u32_e32 v20, v11, v20
	v_mov_b32_e32 v11, v18
	s_mov_b32 s4, 0xa2f9836e
	v_mad_u64_u32 v[11:12], s[4:5], v19, s4, v[11:12]
	v_cmp_lt_u32_e64 s[4:5], 31, v20
	v_cndmask_b32_e64 v18, 0, v21, s[4:5]
	v_cndmask_b32_e32 v19, v17, v15, vcc
	v_cndmask_b32_e32 v11, v11, v16, vcc
	;; [unrolled: 1-line block ×3, first 2 shown]
	v_add_u32_e32 v18, v18, v20
	v_cndmask_b32_e64 v20, v11, v19, s[2:3]
	v_cndmask_b32_e64 v11, v12, v11, s[2:3]
	v_cndmask_b32_e32 v12, v16, v14, vcc
	v_cndmask_b32_e64 v16, v19, v12, s[2:3]
	v_cndmask_b32_e64 v11, v11, v20, s[4:5]
	;; [unrolled: 1-line block ×3, first 2 shown]
	v_sub_u32_e32 v19, 32, v18
	v_alignbit_b32 v20, v11, v17, v19
	v_cmp_eq_u32_e64 s[6:7], 0, v18
	v_cndmask_b32_e64 v18, v20, v11, s[6:7]
	v_cndmask_b32_e32 v11, v15, v13, vcc
	v_cndmask_b32_e64 v12, v12, v11, s[2:3]
	v_cndmask_b32_e64 v13, v16, v12, s[4:5]
	v_alignbit_b32 v15, v17, v13, v19
	v_cndmask_b32_e32 v10, v14, v10, vcc
	v_cndmask_b32_e64 v15, v15, v17, s[6:7]
	v_bfe_u32 v20, v18, 29, 1
	v_cndmask_b32_e64 v10, v11, v10, s[2:3]
	v_alignbit_b32 v16, v18, v15, 30
	v_sub_u32_e32 v21, 0, v20
	v_cndmask_b32_e64 v10, v12, v10, s[4:5]
	v_xor_b32_e32 v16, v16, v21
	v_alignbit_b32 v11, v13, v10, v19
	v_cndmask_b32_e64 v11, v11, v13, s[6:7]
	v_ffbh_u32_e32 v13, v16
	v_alignbit_b32 v12, v15, v11, 30
	v_min_u32_e32 v13, 32, v13
	v_alignbit_b32 v10, v11, v10, 30
	v_xor_b32_e32 v12, v12, v21
	v_sub_u32_e32 v14, 31, v13
	v_xor_b32_e32 v10, v10, v21
	v_alignbit_b32 v15, v16, v12, v14
	v_alignbit_b32 v10, v12, v10, v14
	;; [unrolled: 1-line block ×3, first 2 shown]
	v_ffbh_u32_e32 v12, v11
	v_min_u32_e32 v12, 32, v12
	v_lshrrev_b32_e32 v17, 29, v18
	v_not_b32_e32 v14, v12
	v_alignbit_b32 v10, v11, v10, v14
	v_lshlrev_b32_e32 v11, 31, v17
	v_or_b32_e32 v14, 0x33000000, v11
	v_add_lshl_u32 v12, v12, v13, 23
	v_lshrrev_b32_e32 v10, 9, v10
	v_sub_u32_e32 v12, v14, v12
	v_or_b32_e32 v11, 0.5, v11
	v_lshlrev_b32_e32 v13, 23, v13
	v_or_b32_e32 v10, v12, v10
	v_lshrrev_b32_e32 v12, 9, v15
	v_sub_u32_e32 v11, v11, v13
	v_or_b32_e32 v11, v12, v11
	s_mov_b32 s2, 0x3fc90fda
	v_mul_f32_e32 v12, 0x3fc90fda, v11
	v_fma_f32 v13, v11, s2, -v12
	v_fmac_f32_e32 v13, 0x33a22168, v11
	v_fmac_f32_e32 v13, 0x3fc90fda, v10
	v_lshrrev_b32_e32 v10, 30, v18
	v_add_f32_e32 v11, v12, v13
	v_add_u32_e32 v10, v20, v10
.LBB10_68:
	s_andn2_saveexec_b64 s[2:3], s[18:19]
	s_cbranch_execz .LBB10_70
; %bb.69:
	s_mov_b32 s4, 0x3f22f983
	v_mul_f32_e64 v10, |v9|, s4
	v_rndne_f32_e32 v12, v10
	s_mov_b32 s4, 0xbfc90fda
	v_cvt_i32_f32_e32 v10, v12
	v_fma_f32 v11, v12, s4, |v9|
	v_fmac_f32_e32 v11, 0xb3a22168, v12
	v_fmac_f32_e32 v11, 0xa7c234c4, v12
.LBB10_70:
	s_or_b64 exec, exec, s[2:3]
	v_mul_f32_e32 v12, v11, v11
	v_mov_b32_e32 v13, 0x3c0881c4
	v_fmac_f32_e32 v13, 0xb94c1982, v12
	v_mov_b32_e32 v14, 0xbe2aaa9d
	v_fmac_f32_e32 v14, v12, v13
	v_mul_f32_e32 v13, v12, v14
	v_fmac_f32_e32 v11, v11, v13
	v_mov_b32_e32 v13, 0xbab64f3b
	v_fmac_f32_e32 v13, 0x37d75334, v12
	v_mov_b32_e32 v14, 0x3d2aabf7
	;; [unrolled: 2-line block ×3, first 2 shown]
	v_fmac_f32_e32 v13, v12, v14
	v_fma_f32 v12, v12, v13, 1.0
	v_and_b32_e32 v13, 1, v10
	v_lshlrev_b32_e32 v10, 30, v10
	v_cmp_eq_u32_e32 vcc, 0, v13
	v_and_b32_e32 v10, 0x80000000, v10
	v_xor_b32_e32 v2, v2, v9
	v_cndmask_b32_e32 v11, v12, v11, vcc
	v_xor_b32_e32 v2, v2, v10
	s_movk_i32 s2, 0x1f8
	v_xor_b32_e32 v2, v2, v11
	v_mov_b32_e32 v10, 0x7fc00000
	v_cmp_class_f32_e64 vcc, v9, s2
	v_cndmask_b32_e32 v2, v10, v2, vcc
	v_div_scale_f32 v10, s[2:3], v9, v9, v2
	v_div_scale_f32 v11, vcc, v2, v9, v2
	v_rcp_f32_e32 v12, v10
	v_fma_f32 v13, -v10, v12, 1.0
	v_fmac_f32_e32 v12, v13, v12
	v_mul_f32_e32 v13, v11, v12
	v_fma_f32 v14, -v10, v13, v11
	v_fmac_f32_e32 v13, v14, v12
	v_fma_f32 v10, -v10, v13, v11
	v_div_fmas_f32 v10, v10, v12, v13
	v_div_fixup_f32 v2, v10, v9, v2
                                        ; implicit-def: $vgpr9
.LBB10_71:
	s_andn2_saveexec_b64 s[2:3], s[16:17]
	s_cbranch_execz .LBB10_73
; %bb.72:
	v_mul_f32_e32 v2, v9, v9
	v_mov_b32_e32 v9, 0xb2d7322b
	v_fmac_f32_e32 v9, 0x2f309231, v2
	v_mov_b32_e32 v10, 0x3638ef1d
	v_fmac_f32_e32 v10, v2, v9
	;; [unrolled: 2-line block ×5, first 2 shown]
	v_fma_f32 v2, v2, v9, 1.0
.LBB10_73:
	s_or_b64 exec, exec, s[2:3]
.LBB10_74:
	s_or_b64 exec, exec, s[14:15]
.LBB10_75:
	s_or_b64 exec, exec, s[10:11]
	v_or_b32_e32 v9, 0x200, v0
	v_cmp_gt_i32_e32 vcc, s20, v9
	s_and_saveexec_b64 s[10:11], vcc
	s_cbranch_execz .LBB10_87
; %bb.76:
	s_mov_b32 s2, 0x7f800000
	v_cmp_neq_f32_e64 s[2:3], |v8|, s2
	v_mov_b32_e32 v3, 0
	s_and_saveexec_b64 s[14:15], s[2:3]
	s_cbranch_execz .LBB10_86
; %bb.77:
	v_cmp_nlt_f32_e64 s[2:3], |v8|, 0.5
	s_and_saveexec_b64 s[4:5], s[2:3]
	s_xor_b64 s[16:17], exec, s[4:5]
	s_cbranch_execz .LBB10_83
; %bb.78:
	s_brev_b32 s2, 18
	v_and_b32_e32 v3, 0x7fffffff, v8
	v_cmp_nlt_f32_e64 s[2:3], |v8|, s2
                                        ; implicit-def: $vgpr9
                                        ; implicit-def: $vgpr10
	s_and_saveexec_b64 s[4:5], s[2:3]
	s_xor_b64 s[18:19], exec, s[4:5]
	s_cbranch_execz .LBB10_80
; %bb.79:
	v_and_b32_e32 v9, 0x7fffff, v3
	v_or_b32_e32 v18, 0x800000, v9
	s_mov_b32 s2, 0xfe5163ab
	v_mad_u64_u32 v[9:10], s[2:3], v18, s2, 0
	v_mov_b32_e32 v11, 0
	s_mov_b32 s2, 0x3c439041
	v_mad_u64_u32 v[12:13], s[2:3], v18, s2, v[10:11]
	s_mov_b32 s2, 0xdb629599
	v_not_b32_e32 v17, 63
	v_mov_b32_e32 v10, v13
	v_mad_u64_u32 v[13:14], s[2:3], v18, s2, v[10:11]
	s_mov_b32 s2, 0xf534ddc0
	v_not_b32_e32 v20, 31
	v_mov_b32_e32 v10, v14
	v_mad_u64_u32 v[14:15], s[2:3], v18, s2, v[10:11]
	v_lshrrev_b32_e32 v10, 23, v3
	v_add_u32_e32 v19, 0xffffff88, v10
	v_mov_b32_e32 v10, v15
	s_mov_b32 s2, 0xfc2757d1
	v_mad_u64_u32 v[15:16], s[2:3], v18, s2, v[10:11]
	v_cmp_lt_u32_e32 vcc, 63, v19
	v_cndmask_b32_e32 v10, 0, v17, vcc
	v_add_u32_e32 v19, v10, v19
	v_mov_b32_e32 v10, v16
	s_mov_b32 s2, 0x4e441529
	v_mad_u64_u32 v[16:17], s[2:3], v18, s2, v[10:11]
	v_cmp_lt_u32_e64 s[2:3], 31, v19
	v_cndmask_b32_e64 v10, 0, v20, s[2:3]
	v_add_u32_e32 v19, v10, v19
	v_mov_b32_e32 v10, v17
	s_mov_b32 s4, 0xa2f9836e
	v_mad_u64_u32 v[10:11], s[4:5], v18, s4, v[10:11]
	v_cmp_lt_u32_e64 s[4:5], 31, v19
	v_cndmask_b32_e64 v17, 0, v20, s[4:5]
	v_cndmask_b32_e32 v18, v16, v14, vcc
	v_cndmask_b32_e32 v10, v10, v15, vcc
	;; [unrolled: 1-line block ×3, first 2 shown]
	v_add_u32_e32 v17, v17, v19
	v_cndmask_b32_e64 v19, v10, v18, s[2:3]
	v_cndmask_b32_e64 v10, v11, v10, s[2:3]
	v_cndmask_b32_e32 v11, v15, v13, vcc
	v_cndmask_b32_e64 v15, v18, v11, s[2:3]
	v_cndmask_b32_e64 v10, v10, v19, s[4:5]
	;; [unrolled: 1-line block ×3, first 2 shown]
	v_sub_u32_e32 v18, 32, v17
	v_alignbit_b32 v19, v10, v16, v18
	v_cmp_eq_u32_e64 s[6:7], 0, v17
	v_cndmask_b32_e64 v17, v19, v10, s[6:7]
	v_cndmask_b32_e32 v10, v14, v12, vcc
	v_cndmask_b32_e64 v11, v11, v10, s[2:3]
	v_cndmask_b32_e64 v12, v15, v11, s[4:5]
	v_alignbit_b32 v14, v16, v12, v18
	v_cndmask_b32_e32 v9, v13, v9, vcc
	v_cndmask_b32_e64 v14, v14, v16, s[6:7]
	v_bfe_u32 v19, v17, 29, 1
	v_cndmask_b32_e64 v9, v10, v9, s[2:3]
	v_alignbit_b32 v15, v17, v14, 30
	v_sub_u32_e32 v20, 0, v19
	v_cndmask_b32_e64 v9, v11, v9, s[4:5]
	v_xor_b32_e32 v15, v15, v20
	v_alignbit_b32 v10, v12, v9, v18
	v_cndmask_b32_e64 v10, v10, v12, s[6:7]
	v_ffbh_u32_e32 v12, v15
	v_alignbit_b32 v11, v14, v10, 30
	v_min_u32_e32 v12, 32, v12
	v_alignbit_b32 v9, v10, v9, 30
	v_xor_b32_e32 v11, v11, v20
	v_sub_u32_e32 v13, 31, v12
	v_xor_b32_e32 v9, v9, v20
	v_alignbit_b32 v14, v15, v11, v13
	v_alignbit_b32 v9, v11, v9, v13
	;; [unrolled: 1-line block ×3, first 2 shown]
	v_ffbh_u32_e32 v11, v10
	v_min_u32_e32 v11, 32, v11
	v_lshrrev_b32_e32 v16, 29, v17
	v_not_b32_e32 v13, v11
	v_alignbit_b32 v9, v10, v9, v13
	v_lshlrev_b32_e32 v10, 31, v16
	v_or_b32_e32 v13, 0x33000000, v10
	v_add_lshl_u32 v11, v11, v12, 23
	v_lshrrev_b32_e32 v9, 9, v9
	v_sub_u32_e32 v11, v13, v11
	v_or_b32_e32 v10, 0.5, v10
	v_lshlrev_b32_e32 v12, 23, v12
	v_or_b32_e32 v9, v11, v9
	v_lshrrev_b32_e32 v11, 9, v14
	v_sub_u32_e32 v10, v10, v12
	v_or_b32_e32 v10, v11, v10
	s_mov_b32 s2, 0x3fc90fda
	v_mul_f32_e32 v11, 0x3fc90fda, v10
	v_fma_f32 v12, v10, s2, -v11
	v_fmac_f32_e32 v12, 0x33a22168, v10
	v_fmac_f32_e32 v12, 0x3fc90fda, v9
	v_lshrrev_b32_e32 v9, 30, v17
	v_add_f32_e32 v10, v11, v12
	v_add_u32_e32 v9, v19, v9
.LBB10_80:
	s_andn2_saveexec_b64 s[2:3], s[18:19]
	s_cbranch_execz .LBB10_82
; %bb.81:
	s_mov_b32 s4, 0x3f22f983
	v_mul_f32_e64 v9, |v8|, s4
	v_rndne_f32_e32 v11, v9
	s_mov_b32 s4, 0xbfc90fda
	v_cvt_i32_f32_e32 v9, v11
	v_fma_f32 v10, v11, s4, |v8|
	v_fmac_f32_e32 v10, 0xb3a22168, v11
	v_fmac_f32_e32 v10, 0xa7c234c4, v11
.LBB10_82:
	s_or_b64 exec, exec, s[2:3]
	v_mul_f32_e32 v11, v10, v10
	v_mov_b32_e32 v12, 0x3c0881c4
	v_fmac_f32_e32 v12, 0xb94c1982, v11
	v_mov_b32_e32 v13, 0xbe2aaa9d
	v_fmac_f32_e32 v13, v11, v12
	v_mul_f32_e32 v12, v11, v13
	v_fmac_f32_e32 v10, v10, v12
	v_mov_b32_e32 v12, 0xbab64f3b
	v_fmac_f32_e32 v12, 0x37d75334, v11
	v_mov_b32_e32 v13, 0x3d2aabf7
	;; [unrolled: 2-line block ×3, first 2 shown]
	v_fmac_f32_e32 v12, v11, v13
	v_fma_f32 v11, v11, v12, 1.0
	v_and_b32_e32 v12, 1, v9
	v_lshlrev_b32_e32 v9, 30, v9
	v_cmp_eq_u32_e32 vcc, 0, v12
	v_and_b32_e32 v9, 0x80000000, v9
	v_xor_b32_e32 v3, v3, v8
	v_cndmask_b32_e32 v10, v11, v10, vcc
	v_xor_b32_e32 v3, v3, v9
	s_movk_i32 s2, 0x1f8
	v_xor_b32_e32 v3, v3, v10
	v_mov_b32_e32 v9, 0x7fc00000
	v_cmp_class_f32_e64 vcc, v8, s2
	v_cndmask_b32_e32 v3, v9, v3, vcc
	v_div_scale_f32 v9, s[2:3], v8, v8, v3
	v_div_scale_f32 v10, vcc, v3, v8, v3
	v_rcp_f32_e32 v11, v9
	v_fma_f32 v12, -v9, v11, 1.0
	v_fmac_f32_e32 v11, v12, v11
	v_mul_f32_e32 v12, v10, v11
	v_fma_f32 v13, -v9, v12, v10
	v_fmac_f32_e32 v12, v13, v11
	v_fma_f32 v9, -v9, v12, v10
	v_div_fmas_f32 v9, v9, v11, v12
	v_div_fixup_f32 v3, v9, v8, v3
                                        ; implicit-def: $vgpr8
.LBB10_83:
	s_andn2_saveexec_b64 s[2:3], s[16:17]
	s_cbranch_execz .LBB10_85
; %bb.84:
	v_mul_f32_e32 v3, v8, v8
	v_mov_b32_e32 v8, 0xb2d7322b
	v_fmac_f32_e32 v8, 0x2f309231, v3
	v_mov_b32_e32 v9, 0x3638ef1d
	v_fmac_f32_e32 v9, v3, v8
	;; [unrolled: 2-line block ×5, first 2 shown]
	v_fma_f32 v3, v3, v8, 1.0
.LBB10_85:
	s_or_b64 exec, exec, s[2:3]
.LBB10_86:
	s_or_b64 exec, exec, s[14:15]
.LBB10_87:
	s_or_b64 exec, exec, s[10:11]
	v_or_b32_e32 v8, 0x300, v0
	v_cmp_gt_i32_e32 vcc, s20, v8
	s_and_saveexec_b64 s[10:11], vcc
	s_cbranch_execnz .LBB10_94
; %bb.88:
	s_or_b64 exec, exec, s[10:11]
	s_and_saveexec_b64 s[2:3], s[0:1]
	s_xor_b64 s[0:1], exec, s[2:3]
	s_cbranch_execnz .LBB10_105
.LBB10_89:
	s_or_b64 exec, exec, s[0:1]
	v_cmp_gt_i32_e32 vcc, s20, v0
	s_and_saveexec_b64 s[0:1], vcc
	s_cbranch_execnz .LBB10_106
.LBB10_90:
	s_or_b64 exec, exec, s[0:1]
	v_cmp_gt_i32_e32 vcc, s20, v0
	s_and_saveexec_b64 s[0:1], vcc
	s_cbranch_execnz .LBB10_107
.LBB10_91:
	s_or_b64 exec, exec, s[0:1]
	v_cmp_gt_i32_e32 vcc, s20, v0
	s_and_saveexec_b64 s[0:1], vcc
	s_cbranch_execz .LBB10_93
.LBB10_92:
	v_add_u32_e32 v0, s12, v0
	v_mov_b32_e32 v1, 0
	v_lshlrev_b64 v[0:1], 2, v[0:1]
	v_mov_b32_e32 v2, s9
	v_add_co_u32_e32 v0, vcc, s8, v0
	v_addc_co_u32_e32 v1, vcc, v2, v1, vcc
	global_store_dword v[0:1], v4, off
.LBB10_93:
	s_endpgm
.LBB10_94:
	s_mov_b32 s2, 0x7f800000
	v_cmp_neq_f32_e64 s[2:3], |v7|, s2
	v_mov_b32_e32 v4, 0
	s_and_saveexec_b64 s[14:15], s[2:3]
	s_cbranch_execz .LBB10_104
; %bb.95:
	v_cmp_nlt_f32_e64 s[2:3], |v7|, 0.5
	s_and_saveexec_b64 s[4:5], s[2:3]
	s_xor_b64 s[16:17], exec, s[4:5]
	s_cbranch_execz .LBB10_101
; %bb.96:
	s_brev_b32 s2, 18
	v_and_b32_e32 v4, 0x7fffffff, v7
	v_cmp_nlt_f32_e64 s[2:3], |v7|, s2
                                        ; implicit-def: $vgpr8
                                        ; implicit-def: $vgpr9
	s_and_saveexec_b64 s[4:5], s[2:3]
	s_xor_b64 s[18:19], exec, s[4:5]
	s_cbranch_execz .LBB10_98
; %bb.97:
	v_and_b32_e32 v8, 0x7fffff, v4
	v_or_b32_e32 v17, 0x800000, v8
	s_mov_b32 s2, 0xfe5163ab
	v_mad_u64_u32 v[8:9], s[2:3], v17, s2, 0
	v_mov_b32_e32 v10, 0
	s_mov_b32 s2, 0x3c439041
	v_mad_u64_u32 v[11:12], s[2:3], v17, s2, v[9:10]
	s_mov_b32 s2, 0xdb629599
	v_not_b32_e32 v16, 63
	v_mov_b32_e32 v9, v12
	v_mad_u64_u32 v[12:13], s[2:3], v17, s2, v[9:10]
	s_mov_b32 s2, 0xf534ddc0
	v_not_b32_e32 v19, 31
	v_mov_b32_e32 v9, v13
	v_mad_u64_u32 v[13:14], s[2:3], v17, s2, v[9:10]
	v_lshrrev_b32_e32 v9, 23, v4
	v_add_u32_e32 v18, 0xffffff88, v9
	v_mov_b32_e32 v9, v14
	s_mov_b32 s2, 0xfc2757d1
	v_mad_u64_u32 v[14:15], s[2:3], v17, s2, v[9:10]
	v_cmp_lt_u32_e32 vcc, 63, v18
	v_cndmask_b32_e32 v9, 0, v16, vcc
	v_add_u32_e32 v18, v9, v18
	v_mov_b32_e32 v9, v15
	s_mov_b32 s2, 0x4e441529
	v_mad_u64_u32 v[15:16], s[2:3], v17, s2, v[9:10]
	v_cmp_lt_u32_e64 s[2:3], 31, v18
	v_cndmask_b32_e64 v9, 0, v19, s[2:3]
	v_add_u32_e32 v18, v9, v18
	v_mov_b32_e32 v9, v16
	s_mov_b32 s4, 0xa2f9836e
	v_mad_u64_u32 v[9:10], s[4:5], v17, s4, v[9:10]
	v_cmp_lt_u32_e64 s[4:5], 31, v18
	v_cndmask_b32_e64 v16, 0, v19, s[4:5]
	v_cndmask_b32_e32 v17, v15, v13, vcc
	v_cndmask_b32_e32 v9, v9, v14, vcc
	;; [unrolled: 1-line block ×3, first 2 shown]
	v_add_u32_e32 v16, v16, v18
	v_cndmask_b32_e64 v18, v9, v17, s[2:3]
	v_cndmask_b32_e64 v9, v10, v9, s[2:3]
	v_cndmask_b32_e32 v10, v14, v12, vcc
	v_cndmask_b32_e64 v14, v17, v10, s[2:3]
	v_cndmask_b32_e64 v9, v9, v18, s[4:5]
	;; [unrolled: 1-line block ×3, first 2 shown]
	v_sub_u32_e32 v17, 32, v16
	v_alignbit_b32 v18, v9, v15, v17
	v_cmp_eq_u32_e64 s[6:7], 0, v16
	v_cndmask_b32_e64 v16, v18, v9, s[6:7]
	v_cndmask_b32_e32 v9, v13, v11, vcc
	v_cndmask_b32_e64 v10, v10, v9, s[2:3]
	v_cndmask_b32_e64 v11, v14, v10, s[4:5]
	v_alignbit_b32 v13, v15, v11, v17
	v_cndmask_b32_e32 v8, v12, v8, vcc
	v_cndmask_b32_e64 v13, v13, v15, s[6:7]
	v_bfe_u32 v18, v16, 29, 1
	v_cndmask_b32_e64 v8, v9, v8, s[2:3]
	v_alignbit_b32 v14, v16, v13, 30
	v_sub_u32_e32 v19, 0, v18
	v_cndmask_b32_e64 v8, v10, v8, s[4:5]
	v_xor_b32_e32 v14, v14, v19
	v_alignbit_b32 v9, v11, v8, v17
	v_cndmask_b32_e64 v9, v9, v11, s[6:7]
	v_ffbh_u32_e32 v11, v14
	v_alignbit_b32 v10, v13, v9, 30
	v_min_u32_e32 v11, 32, v11
	v_alignbit_b32 v8, v9, v8, 30
	v_xor_b32_e32 v10, v10, v19
	v_sub_u32_e32 v12, 31, v11
	v_xor_b32_e32 v8, v8, v19
	v_alignbit_b32 v13, v14, v10, v12
	v_alignbit_b32 v8, v10, v8, v12
	v_alignbit_b32 v9, v13, v8, 9
	v_ffbh_u32_e32 v10, v9
	v_min_u32_e32 v10, 32, v10
	v_lshrrev_b32_e32 v15, 29, v16
	v_not_b32_e32 v12, v10
	v_alignbit_b32 v8, v9, v8, v12
	v_lshlrev_b32_e32 v9, 31, v15
	v_or_b32_e32 v12, 0x33000000, v9
	v_add_lshl_u32 v10, v10, v11, 23
	v_lshrrev_b32_e32 v8, 9, v8
	v_sub_u32_e32 v10, v12, v10
	v_or_b32_e32 v9, 0.5, v9
	v_lshlrev_b32_e32 v11, 23, v11
	v_or_b32_e32 v8, v10, v8
	v_lshrrev_b32_e32 v10, 9, v13
	v_sub_u32_e32 v9, v9, v11
	v_or_b32_e32 v9, v10, v9
	s_mov_b32 s2, 0x3fc90fda
	v_mul_f32_e32 v10, 0x3fc90fda, v9
	v_fma_f32 v11, v9, s2, -v10
	v_fmac_f32_e32 v11, 0x33a22168, v9
	v_fmac_f32_e32 v11, 0x3fc90fda, v8
	v_lshrrev_b32_e32 v8, 30, v16
	v_add_f32_e32 v9, v10, v11
	v_add_u32_e32 v8, v18, v8
.LBB10_98:
	s_andn2_saveexec_b64 s[2:3], s[18:19]
	s_cbranch_execz .LBB10_100
; %bb.99:
	s_mov_b32 s4, 0x3f22f983
	v_mul_f32_e64 v8, |v7|, s4
	v_rndne_f32_e32 v10, v8
	s_mov_b32 s4, 0xbfc90fda
	v_cvt_i32_f32_e32 v8, v10
	v_fma_f32 v9, v10, s4, |v7|
	v_fmac_f32_e32 v9, 0xb3a22168, v10
	v_fmac_f32_e32 v9, 0xa7c234c4, v10
.LBB10_100:
	s_or_b64 exec, exec, s[2:3]
	v_mul_f32_e32 v10, v9, v9
	v_mov_b32_e32 v11, 0x3c0881c4
	v_fmac_f32_e32 v11, 0xb94c1982, v10
	v_mov_b32_e32 v12, 0xbe2aaa9d
	v_fmac_f32_e32 v12, v10, v11
	v_mul_f32_e32 v11, v10, v12
	v_fmac_f32_e32 v9, v9, v11
	v_mov_b32_e32 v11, 0xbab64f3b
	v_fmac_f32_e32 v11, 0x37d75334, v10
	v_mov_b32_e32 v12, 0x3d2aabf7
	;; [unrolled: 2-line block ×3, first 2 shown]
	v_fmac_f32_e32 v11, v10, v12
	v_fma_f32 v10, v10, v11, 1.0
	v_and_b32_e32 v11, 1, v8
	v_lshlrev_b32_e32 v8, 30, v8
	v_cmp_eq_u32_e32 vcc, 0, v11
	v_and_b32_e32 v8, 0x80000000, v8
	v_xor_b32_e32 v4, v4, v7
	v_cndmask_b32_e32 v9, v10, v9, vcc
	v_xor_b32_e32 v4, v4, v8
	s_movk_i32 s2, 0x1f8
	v_xor_b32_e32 v4, v4, v9
	v_mov_b32_e32 v8, 0x7fc00000
	v_cmp_class_f32_e64 vcc, v7, s2
	v_cndmask_b32_e32 v4, v8, v4, vcc
	v_div_scale_f32 v8, s[2:3], v7, v7, v4
	v_div_scale_f32 v9, vcc, v4, v7, v4
	v_rcp_f32_e32 v10, v8
	v_fma_f32 v11, -v8, v10, 1.0
	v_fmac_f32_e32 v10, v11, v10
	v_mul_f32_e32 v11, v9, v10
	v_fma_f32 v12, -v8, v11, v9
	v_fmac_f32_e32 v11, v12, v10
	v_fma_f32 v8, -v8, v11, v9
	v_div_fmas_f32 v8, v8, v10, v11
	v_div_fixup_f32 v4, v8, v7, v4
                                        ; implicit-def: $vgpr7
.LBB10_101:
	s_andn2_saveexec_b64 s[2:3], s[16:17]
	s_cbranch_execz .LBB10_103
; %bb.102:
	v_mul_f32_e32 v4, v7, v7
	v_mov_b32_e32 v7, 0xb2d7322b
	v_fmac_f32_e32 v7, 0x2f309231, v4
	v_mov_b32_e32 v8, 0x3638ef1d
	v_fmac_f32_e32 v8, v4, v7
	;; [unrolled: 2-line block ×5, first 2 shown]
	v_fma_f32 v4, v4, v7, 1.0
.LBB10_103:
	s_or_b64 exec, exec, s[2:3]
.LBB10_104:
	s_or_b64 exec, exec, s[14:15]
	s_or_b64 exec, exec, s[10:11]
	s_and_saveexec_b64 s[2:3], s[0:1]
	s_xor_b64 s[0:1], exec, s[2:3]
	s_cbranch_execz .LBB10_89
.LBB10_105:
	v_mov_b32_e32 v7, 0
	v_lshlrev_b64 v[6:7], 2, v[6:7]
	v_mov_b32_e32 v0, s9
	v_add_co_u32_e32 v6, vcc, s8, v6
	v_addc_co_u32_e32 v7, vcc, v0, v7, vcc
	v_mov_b32_e32 v0, v5
	global_store_dword v[6:7], v1, off
	s_or_b64 exec, exec, s[0:1]
	v_cmp_gt_i32_e32 vcc, s20, v0
	s_and_saveexec_b64 s[0:1], vcc
	s_cbranch_execz .LBB10_90
.LBB10_106:
	v_add_u32_e32 v5, s12, v0
	v_mov_b32_e32 v6, 0
	v_lshlrev_b64 v[5:6], 2, v[5:6]
	v_mov_b32_e32 v1, s9
	v_add_co_u32_e32 v5, vcc, s8, v5
	v_addc_co_u32_e32 v6, vcc, v1, v6, vcc
	v_add_u32_e32 v0, 0x100, v0
	global_store_dword v[5:6], v2, off
	s_or_b64 exec, exec, s[0:1]
	v_cmp_gt_i32_e32 vcc, s20, v0
	s_and_saveexec_b64 s[0:1], vcc
	s_cbranch_execz .LBB10_91
.LBB10_107:
	v_add_u32_e32 v1, s12, v0
	v_mov_b32_e32 v2, 0
	v_lshlrev_b64 v[1:2], 2, v[1:2]
	v_mov_b32_e32 v5, s9
	v_add_co_u32_e32 v1, vcc, s8, v1
	v_addc_co_u32_e32 v2, vcc, v5, v2, vcc
	v_add_u32_e32 v0, 0x100, v0
	global_store_dword v[1:2], v3, off
	s_or_b64 exec, exec, s[0:1]
	v_cmp_gt_i32_e32 vcc, s20, v0
	s_and_saveexec_b64 s[0:1], vcc
	s_cbranch_execnz .LBB10_92
	s_branch .LBB10_93
	.section	.rodata,"a",@progbits
	.p2align	6, 0x0
	.amdhsa_kernel _ZN2at6native29vectorized_elementwise_kernelILi4EZZZNS0_12_GLOBAL__N_131spherical_bessel_j0_kernel_cudaERNS_18TensorIteratorBaseEENKUlvE_clEvENKUlvE0_clEvEUlfE_St5arrayIPcLm2EEEEviT0_T1_
		.amdhsa_group_segment_fixed_size 0
		.amdhsa_private_segment_fixed_size 0
		.amdhsa_kernarg_size 24
		.amdhsa_user_sgpr_count 6
		.amdhsa_user_sgpr_private_segment_buffer 1
		.amdhsa_user_sgpr_dispatch_ptr 0
		.amdhsa_user_sgpr_queue_ptr 0
		.amdhsa_user_sgpr_kernarg_segment_ptr 1
		.amdhsa_user_sgpr_dispatch_id 0
		.amdhsa_user_sgpr_flat_scratch_init 0
		.amdhsa_user_sgpr_private_segment_size 0
		.amdhsa_uses_dynamic_stack 0
		.amdhsa_system_sgpr_private_segment_wavefront_offset 0
		.amdhsa_system_sgpr_workgroup_id_x 1
		.amdhsa_system_sgpr_workgroup_id_y 0
		.amdhsa_system_sgpr_workgroup_id_z 0
		.amdhsa_system_sgpr_workgroup_info 0
		.amdhsa_system_vgpr_workitem_id 0
		.amdhsa_next_free_vgpr 22
		.amdhsa_next_free_sgpr 21
		.amdhsa_reserve_vcc 1
		.amdhsa_reserve_flat_scratch 0
		.amdhsa_float_round_mode_32 0
		.amdhsa_float_round_mode_16_64 0
		.amdhsa_float_denorm_mode_32 3
		.amdhsa_float_denorm_mode_16_64 3
		.amdhsa_dx10_clamp 1
		.amdhsa_ieee_mode 1
		.amdhsa_fp16_overflow 0
		.amdhsa_exception_fp_ieee_invalid_op 0
		.amdhsa_exception_fp_denorm_src 0
		.amdhsa_exception_fp_ieee_div_zero 0
		.amdhsa_exception_fp_ieee_overflow 0
		.amdhsa_exception_fp_ieee_underflow 0
		.amdhsa_exception_fp_ieee_inexact 0
		.amdhsa_exception_int_div_zero 0
	.end_amdhsa_kernel
	.section	.text._ZN2at6native29vectorized_elementwise_kernelILi4EZZZNS0_12_GLOBAL__N_131spherical_bessel_j0_kernel_cudaERNS_18TensorIteratorBaseEENKUlvE_clEvENKUlvE0_clEvEUlfE_St5arrayIPcLm2EEEEviT0_T1_,"axG",@progbits,_ZN2at6native29vectorized_elementwise_kernelILi4EZZZNS0_12_GLOBAL__N_131spherical_bessel_j0_kernel_cudaERNS_18TensorIteratorBaseEENKUlvE_clEvENKUlvE0_clEvEUlfE_St5arrayIPcLm2EEEEviT0_T1_,comdat
.Lfunc_end10:
	.size	_ZN2at6native29vectorized_elementwise_kernelILi4EZZZNS0_12_GLOBAL__N_131spherical_bessel_j0_kernel_cudaERNS_18TensorIteratorBaseEENKUlvE_clEvENKUlvE0_clEvEUlfE_St5arrayIPcLm2EEEEviT0_T1_, .Lfunc_end10-_ZN2at6native29vectorized_elementwise_kernelILi4EZZZNS0_12_GLOBAL__N_131spherical_bessel_j0_kernel_cudaERNS_18TensorIteratorBaseEENKUlvE_clEvENKUlvE0_clEvEUlfE_St5arrayIPcLm2EEEEviT0_T1_
                                        ; -- End function
	.set _ZN2at6native29vectorized_elementwise_kernelILi4EZZZNS0_12_GLOBAL__N_131spherical_bessel_j0_kernel_cudaERNS_18TensorIteratorBaseEENKUlvE_clEvENKUlvE0_clEvEUlfE_St5arrayIPcLm2EEEEviT0_T1_.num_vgpr, 22
	.set _ZN2at6native29vectorized_elementwise_kernelILi4EZZZNS0_12_GLOBAL__N_131spherical_bessel_j0_kernel_cudaERNS_18TensorIteratorBaseEENKUlvE_clEvENKUlvE0_clEvEUlfE_St5arrayIPcLm2EEEEviT0_T1_.num_agpr, 0
	.set _ZN2at6native29vectorized_elementwise_kernelILi4EZZZNS0_12_GLOBAL__N_131spherical_bessel_j0_kernel_cudaERNS_18TensorIteratorBaseEENKUlvE_clEvENKUlvE0_clEvEUlfE_St5arrayIPcLm2EEEEviT0_T1_.numbered_sgpr, 21
	.set _ZN2at6native29vectorized_elementwise_kernelILi4EZZZNS0_12_GLOBAL__N_131spherical_bessel_j0_kernel_cudaERNS_18TensorIteratorBaseEENKUlvE_clEvENKUlvE0_clEvEUlfE_St5arrayIPcLm2EEEEviT0_T1_.num_named_barrier, 0
	.set _ZN2at6native29vectorized_elementwise_kernelILi4EZZZNS0_12_GLOBAL__N_131spherical_bessel_j0_kernel_cudaERNS_18TensorIteratorBaseEENKUlvE_clEvENKUlvE0_clEvEUlfE_St5arrayIPcLm2EEEEviT0_T1_.private_seg_size, 0
	.set _ZN2at6native29vectorized_elementwise_kernelILi4EZZZNS0_12_GLOBAL__N_131spherical_bessel_j0_kernel_cudaERNS_18TensorIteratorBaseEENKUlvE_clEvENKUlvE0_clEvEUlfE_St5arrayIPcLm2EEEEviT0_T1_.uses_vcc, 1
	.set _ZN2at6native29vectorized_elementwise_kernelILi4EZZZNS0_12_GLOBAL__N_131spherical_bessel_j0_kernel_cudaERNS_18TensorIteratorBaseEENKUlvE_clEvENKUlvE0_clEvEUlfE_St5arrayIPcLm2EEEEviT0_T1_.uses_flat_scratch, 0
	.set _ZN2at6native29vectorized_elementwise_kernelILi4EZZZNS0_12_GLOBAL__N_131spherical_bessel_j0_kernel_cudaERNS_18TensorIteratorBaseEENKUlvE_clEvENKUlvE0_clEvEUlfE_St5arrayIPcLm2EEEEviT0_T1_.has_dyn_sized_stack, 0
	.set _ZN2at6native29vectorized_elementwise_kernelILi4EZZZNS0_12_GLOBAL__N_131spherical_bessel_j0_kernel_cudaERNS_18TensorIteratorBaseEENKUlvE_clEvENKUlvE0_clEvEUlfE_St5arrayIPcLm2EEEEviT0_T1_.has_recursion, 0
	.set _ZN2at6native29vectorized_elementwise_kernelILi4EZZZNS0_12_GLOBAL__N_131spherical_bessel_j0_kernel_cudaERNS_18TensorIteratorBaseEENKUlvE_clEvENKUlvE0_clEvEUlfE_St5arrayIPcLm2EEEEviT0_T1_.has_indirect_call, 0
	.section	.AMDGPU.csdata,"",@progbits
; Kernel info:
; codeLenInByte = 9188
; TotalNumSgprs: 25
; NumVgprs: 22
; ScratchSize: 0
; MemoryBound: 0
; FloatMode: 240
; IeeeMode: 1
; LDSByteSize: 0 bytes/workgroup (compile time only)
; SGPRBlocks: 3
; VGPRBlocks: 5
; NumSGPRsForWavesPerEU: 25
; NumVGPRsForWavesPerEU: 22
; Occupancy: 10
; WaveLimiterHint : 0
; COMPUTE_PGM_RSRC2:SCRATCH_EN: 0
; COMPUTE_PGM_RSRC2:USER_SGPR: 6
; COMPUTE_PGM_RSRC2:TRAP_HANDLER: 0
; COMPUTE_PGM_RSRC2:TGID_X_EN: 1
; COMPUTE_PGM_RSRC2:TGID_Y_EN: 0
; COMPUTE_PGM_RSRC2:TGID_Z_EN: 0
; COMPUTE_PGM_RSRC2:TIDIG_COMP_CNT: 0
	.section	.text._ZN2at6native29vectorized_elementwise_kernelILi2EZZZNS0_12_GLOBAL__N_131spherical_bessel_j0_kernel_cudaERNS_18TensorIteratorBaseEENKUlvE_clEvENKUlvE0_clEvEUlfE_St5arrayIPcLm2EEEEviT0_T1_,"axG",@progbits,_ZN2at6native29vectorized_elementwise_kernelILi2EZZZNS0_12_GLOBAL__N_131spherical_bessel_j0_kernel_cudaERNS_18TensorIteratorBaseEENKUlvE_clEvENKUlvE0_clEvEUlfE_St5arrayIPcLm2EEEEviT0_T1_,comdat
	.globl	_ZN2at6native29vectorized_elementwise_kernelILi2EZZZNS0_12_GLOBAL__N_131spherical_bessel_j0_kernel_cudaERNS_18TensorIteratorBaseEENKUlvE_clEvENKUlvE0_clEvEUlfE_St5arrayIPcLm2EEEEviT0_T1_ ; -- Begin function _ZN2at6native29vectorized_elementwise_kernelILi2EZZZNS0_12_GLOBAL__N_131spherical_bessel_j0_kernel_cudaERNS_18TensorIteratorBaseEENKUlvE_clEvENKUlvE0_clEvEUlfE_St5arrayIPcLm2EEEEviT0_T1_
	.p2align	8
	.type	_ZN2at6native29vectorized_elementwise_kernelILi2EZZZNS0_12_GLOBAL__N_131spherical_bessel_j0_kernel_cudaERNS_18TensorIteratorBaseEENKUlvE_clEvENKUlvE0_clEvEUlfE_St5arrayIPcLm2EEEEviT0_T1_,@function
_ZN2at6native29vectorized_elementwise_kernelILi2EZZZNS0_12_GLOBAL__N_131spherical_bessel_j0_kernel_cudaERNS_18TensorIteratorBaseEENKUlvE_clEvENKUlvE0_clEvEUlfE_St5arrayIPcLm2EEEEviT0_T1_: ; @_ZN2at6native29vectorized_elementwise_kernelILi2EZZZNS0_12_GLOBAL__N_131spherical_bessel_j0_kernel_cudaERNS_18TensorIteratorBaseEENKUlvE_clEvENKUlvE0_clEvEUlfE_St5arrayIPcLm2EEEEviT0_T1_
; %bb.0:
	s_load_dword s0, s[4:5], 0x0
	s_load_dwordx4 s[8:11], s[4:5], 0x8
	s_lshl_b32 s12, s6, 10
	s_waitcnt lgkmcnt(0)
	s_sub_i32 s20, s0, s12
	s_cmpk_gt_i32 s20, 0x3ff
	s_mov_b64 s[0:1], -1
	s_cbranch_scc0 .LBB11_42
; %bb.1:
	s_ashr_i32 s13, s12, 31
	s_lshl_b64 s[6:7], s[12:13], 2
	s_add_u32 s0, s10, s6
	s_addc_u32 s1, s11, s7
	v_lshlrev_b32_e32 v7, 3, v0
	global_load_dwordx2 v[5:6], v7, s[0:1]
	global_load_dwordx2 v[3:4], v7, s[0:1] offset:2048
	s_mov_b32 s13, 0x7f800000
	v_mov_b32_e32 v2, 0
	v_mov_b32_e32 v1, 0
	s_waitcnt vmcnt(1)
	v_cmp_neq_f32_e64 s[0:1], |v5|, s13
	s_and_saveexec_b64 s[14:15], s[0:1]
	s_cbranch_execz .LBB11_11
; %bb.2:
	v_cmp_nlt_f32_e64 s[0:1], |v5|, 0.5
	s_and_saveexec_b64 s[2:3], s[0:1]
	s_xor_b64 s[16:17], exec, s[2:3]
	s_cbranch_execz .LBB11_8
; %bb.3:
	s_brev_b32 s0, 18
	v_and_b32_e32 v1, 0x7fffffff, v5
	v_cmp_nlt_f32_e64 s[0:1], |v5|, s0
                                        ; implicit-def: $vgpr8
                                        ; implicit-def: $vgpr9
	s_and_saveexec_b64 s[2:3], s[0:1]
	s_xor_b64 s[18:19], exec, s[2:3]
	s_cbranch_execz .LBB11_5
; %bb.4:
	v_and_b32_e32 v8, 0x7fffff, v1
	v_or_b32_e32 v17, 0x800000, v8
	s_mov_b32 s0, 0xfe5163ab
	v_mad_u64_u32 v[8:9], s[0:1], v17, s0, 0
	v_mov_b32_e32 v10, 0
	s_mov_b32 s0, 0x3c439041
	v_mad_u64_u32 v[11:12], s[0:1], v17, s0, v[9:10]
	s_mov_b32 s0, 0xdb629599
	v_not_b32_e32 v16, 63
	v_mov_b32_e32 v9, v12
	v_mad_u64_u32 v[12:13], s[0:1], v17, s0, v[9:10]
	s_mov_b32 s0, 0xf534ddc0
	v_not_b32_e32 v19, 31
	v_mov_b32_e32 v9, v13
	v_mad_u64_u32 v[13:14], s[0:1], v17, s0, v[9:10]
	v_lshrrev_b32_e32 v9, 23, v1
	v_add_u32_e32 v18, 0xffffff88, v9
	v_mov_b32_e32 v9, v14
	s_mov_b32 s0, 0xfc2757d1
	v_mad_u64_u32 v[14:15], s[0:1], v17, s0, v[9:10]
	v_cmp_lt_u32_e32 vcc, 63, v18
	v_cndmask_b32_e32 v9, 0, v16, vcc
	v_add_u32_e32 v18, v9, v18
	v_mov_b32_e32 v9, v15
	s_mov_b32 s0, 0x4e441529
	v_mad_u64_u32 v[15:16], s[0:1], v17, s0, v[9:10]
	v_cmp_lt_u32_e64 s[0:1], 31, v18
	v_cndmask_b32_e64 v9, 0, v19, s[0:1]
	v_add_u32_e32 v18, v9, v18
	v_mov_b32_e32 v9, v16
	s_mov_b32 s2, 0xa2f9836e
	v_mad_u64_u32 v[9:10], s[2:3], v17, s2, v[9:10]
	v_cmp_lt_u32_e64 s[2:3], 31, v18
	v_cndmask_b32_e64 v16, 0, v19, s[2:3]
	v_cndmask_b32_e32 v17, v15, v13, vcc
	v_cndmask_b32_e32 v9, v9, v14, vcc
	;; [unrolled: 1-line block ×3, first 2 shown]
	v_add_u32_e32 v16, v16, v18
	v_cndmask_b32_e64 v18, v9, v17, s[0:1]
	v_cndmask_b32_e64 v9, v10, v9, s[0:1]
	v_cndmask_b32_e32 v10, v14, v12, vcc
	v_cndmask_b32_e64 v14, v17, v10, s[0:1]
	v_cndmask_b32_e64 v9, v9, v18, s[2:3]
	;; [unrolled: 1-line block ×3, first 2 shown]
	v_sub_u32_e32 v17, 32, v16
	v_alignbit_b32 v18, v9, v15, v17
	v_cmp_eq_u32_e64 s[4:5], 0, v16
	v_cndmask_b32_e64 v16, v18, v9, s[4:5]
	v_cndmask_b32_e32 v9, v13, v11, vcc
	v_cndmask_b32_e64 v10, v10, v9, s[0:1]
	v_cndmask_b32_e64 v11, v14, v10, s[2:3]
	v_alignbit_b32 v13, v15, v11, v17
	v_cndmask_b32_e32 v8, v12, v8, vcc
	v_cndmask_b32_e64 v13, v13, v15, s[4:5]
	v_bfe_u32 v18, v16, 29, 1
	v_cndmask_b32_e64 v8, v9, v8, s[0:1]
	v_alignbit_b32 v14, v16, v13, 30
	v_sub_u32_e32 v19, 0, v18
	v_cndmask_b32_e64 v8, v10, v8, s[2:3]
	v_xor_b32_e32 v14, v14, v19
	v_alignbit_b32 v9, v11, v8, v17
	v_cndmask_b32_e64 v9, v9, v11, s[4:5]
	v_ffbh_u32_e32 v11, v14
	v_alignbit_b32 v10, v13, v9, 30
	v_min_u32_e32 v11, 32, v11
	v_alignbit_b32 v8, v9, v8, 30
	v_xor_b32_e32 v10, v10, v19
	v_sub_u32_e32 v12, 31, v11
	v_xor_b32_e32 v8, v8, v19
	v_alignbit_b32 v13, v14, v10, v12
	v_alignbit_b32 v8, v10, v8, v12
	v_alignbit_b32 v9, v13, v8, 9
	v_ffbh_u32_e32 v10, v9
	v_min_u32_e32 v10, 32, v10
	v_lshrrev_b32_e32 v15, 29, v16
	v_not_b32_e32 v12, v10
	v_alignbit_b32 v8, v9, v8, v12
	v_lshlrev_b32_e32 v9, 31, v15
	v_or_b32_e32 v12, 0x33000000, v9
	v_add_lshl_u32 v10, v10, v11, 23
	v_lshrrev_b32_e32 v8, 9, v8
	v_sub_u32_e32 v10, v12, v10
	v_or_b32_e32 v9, 0.5, v9
	v_lshlrev_b32_e32 v11, 23, v11
	v_or_b32_e32 v8, v10, v8
	v_lshrrev_b32_e32 v10, 9, v13
	v_sub_u32_e32 v9, v9, v11
	v_or_b32_e32 v9, v10, v9
	s_mov_b32 s0, 0x3fc90fda
	v_mul_f32_e32 v10, 0x3fc90fda, v9
	v_fma_f32 v11, v9, s0, -v10
	v_fmac_f32_e32 v11, 0x33a22168, v9
	v_fmac_f32_e32 v11, 0x3fc90fda, v8
	v_lshrrev_b32_e32 v8, 30, v16
	v_add_f32_e32 v9, v10, v11
	v_add_u32_e32 v8, v18, v8
.LBB11_5:
	s_andn2_saveexec_b64 s[0:1], s[18:19]
	s_cbranch_execz .LBB11_7
; %bb.6:
	s_mov_b32 s2, 0x3f22f983
	v_mul_f32_e64 v8, |v5|, s2
	v_rndne_f32_e32 v10, v8
	s_mov_b32 s2, 0xbfc90fda
	v_cvt_i32_f32_e32 v8, v10
	v_fma_f32 v9, v10, s2, |v5|
	v_fmac_f32_e32 v9, 0xb3a22168, v10
	v_fmac_f32_e32 v9, 0xa7c234c4, v10
.LBB11_7:
	s_or_b64 exec, exec, s[0:1]
	v_mul_f32_e32 v10, v9, v9
	v_mov_b32_e32 v11, 0x3c0881c4
	v_fmac_f32_e32 v11, 0xb94c1982, v10
	v_mov_b32_e32 v12, 0xbe2aaa9d
	v_fmac_f32_e32 v12, v10, v11
	v_mul_f32_e32 v11, v10, v12
	v_fmac_f32_e32 v9, v9, v11
	v_mov_b32_e32 v11, 0xbab64f3b
	v_fmac_f32_e32 v11, 0x37d75334, v10
	v_mov_b32_e32 v12, 0x3d2aabf7
	;; [unrolled: 2-line block ×3, first 2 shown]
	v_fmac_f32_e32 v11, v10, v12
	v_fma_f32 v10, v10, v11, 1.0
	v_and_b32_e32 v11, 1, v8
	v_lshlrev_b32_e32 v8, 30, v8
	v_cmp_eq_u32_e32 vcc, 0, v11
	v_and_b32_e32 v8, 0x80000000, v8
	v_xor_b32_e32 v1, v1, v5
	v_cndmask_b32_e32 v9, v10, v9, vcc
	v_xor_b32_e32 v1, v1, v8
	s_movk_i32 s0, 0x1f8
	v_xor_b32_e32 v1, v1, v9
	v_mov_b32_e32 v8, 0x7fc00000
	v_cmp_class_f32_e64 vcc, v5, s0
	v_cndmask_b32_e32 v1, v8, v1, vcc
	v_div_scale_f32 v8, s[0:1], v5, v5, v1
	v_div_scale_f32 v9, vcc, v1, v5, v1
	v_rcp_f32_e32 v10, v8
	v_fma_f32 v11, -v8, v10, 1.0
	v_fmac_f32_e32 v10, v11, v10
	v_mul_f32_e32 v11, v9, v10
	v_fma_f32 v12, -v8, v11, v9
	v_fmac_f32_e32 v11, v12, v10
	v_fma_f32 v8, -v8, v11, v9
	v_div_fmas_f32 v8, v8, v10, v11
	v_div_fixup_f32 v1, v8, v5, v1
.LBB11_8:
	s_andn2_saveexec_b64 s[0:1], s[16:17]
	s_cbranch_execz .LBB11_10
; %bb.9:
	v_mul_f32_e32 v1, v5, v5
	v_mov_b32_e32 v5, 0xb2d7322b
	v_fmac_f32_e32 v5, 0x2f309231, v1
	v_mov_b32_e32 v8, 0x3638ef1d
	v_fmac_f32_e32 v8, v1, v5
	;; [unrolled: 2-line block ×5, first 2 shown]
	v_fma_f32 v1, v1, v5, 1.0
.LBB11_10:
	s_or_b64 exec, exec, s[0:1]
.LBB11_11:
	s_or_b64 exec, exec, s[14:15]
	v_cmp_neq_f32_e64 s[0:1], |v6|, s13
	s_and_saveexec_b64 s[14:15], s[0:1]
	s_cbranch_execz .LBB11_21
; %bb.12:
	v_cmp_nlt_f32_e64 s[0:1], |v6|, 0.5
	s_and_saveexec_b64 s[2:3], s[0:1]
	s_xor_b64 s[16:17], exec, s[2:3]
	s_cbranch_execz .LBB11_18
; %bb.13:
	s_brev_b32 s0, 18
	v_and_b32_e32 v2, 0x7fffffff, v6
	v_cmp_nlt_f32_e64 s[0:1], |v6|, s0
                                        ; implicit-def: $vgpr5
                                        ; implicit-def: $vgpr8
	s_and_saveexec_b64 s[2:3], s[0:1]
	s_xor_b64 s[18:19], exec, s[2:3]
	s_cbranch_execz .LBB11_15
; %bb.14:
	v_and_b32_e32 v5, 0x7fffff, v2
	v_or_b32_e32 v5, 0x800000, v5
	s_mov_b32 s0, 0xfe5163ab
	v_mad_u64_u32 v[8:9], s[0:1], v5, s0, 0
	v_mov_b32_e32 v10, 0
	s_mov_b32 s0, 0x3c439041
	v_mad_u64_u32 v[11:12], s[0:1], v5, s0, v[9:10]
	s_mov_b32 s0, 0xdb629599
	v_not_b32_e32 v16, 63
	v_mov_b32_e32 v9, v12
	v_mad_u64_u32 v[12:13], s[0:1], v5, s0, v[9:10]
	s_mov_b32 s0, 0xf534ddc0
	v_not_b32_e32 v18, 31
	v_mov_b32_e32 v9, v13
	v_mad_u64_u32 v[13:14], s[0:1], v5, s0, v[9:10]
	v_lshrrev_b32_e32 v9, 23, v2
	v_add_u32_e32 v17, 0xffffff88, v9
	v_mov_b32_e32 v9, v14
	s_mov_b32 s0, 0xfc2757d1
	v_mad_u64_u32 v[14:15], s[0:1], v5, s0, v[9:10]
	v_cmp_lt_u32_e32 vcc, 63, v17
	v_cndmask_b32_e32 v9, 0, v16, vcc
	v_add_u32_e32 v17, v9, v17
	v_mov_b32_e32 v9, v15
	s_mov_b32 s0, 0x4e441529
	v_mad_u64_u32 v[15:16], s[0:1], v5, s0, v[9:10]
	v_cmp_lt_u32_e64 s[0:1], 31, v17
	v_cndmask_b32_e64 v9, 0, v18, s[0:1]
	v_add_u32_e32 v17, v9, v17
	v_mov_b32_e32 v9, v16
	s_mov_b32 s2, 0xa2f9836e
	v_mad_u64_u32 v[9:10], s[2:3], v5, s2, v[9:10]
	v_cmp_lt_u32_e64 s[2:3], 31, v17
	v_cndmask_b32_e64 v5, 0, v18, s[2:3]
	v_cndmask_b32_e32 v16, v15, v13, vcc
	v_cndmask_b32_e32 v9, v9, v14, vcc
	;; [unrolled: 1-line block ×3, first 2 shown]
	v_add_u32_e32 v5, v5, v17
	v_cndmask_b32_e64 v17, v9, v16, s[0:1]
	v_cndmask_b32_e64 v9, v10, v9, s[0:1]
	v_cndmask_b32_e32 v10, v14, v12, vcc
	v_cndmask_b32_e64 v14, v16, v10, s[0:1]
	v_cndmask_b32_e64 v9, v9, v17, s[2:3]
	;; [unrolled: 1-line block ×3, first 2 shown]
	v_sub_u32_e32 v16, 32, v5
	v_alignbit_b32 v17, v9, v15, v16
	v_cmp_eq_u32_e64 s[4:5], 0, v5
	v_cndmask_b32_e64 v5, v17, v9, s[4:5]
	v_cndmask_b32_e32 v9, v13, v11, vcc
	v_cndmask_b32_e64 v10, v10, v9, s[0:1]
	v_cndmask_b32_e64 v11, v14, v10, s[2:3]
	v_alignbit_b32 v13, v15, v11, v16
	v_cndmask_b32_e32 v8, v12, v8, vcc
	v_cndmask_b32_e64 v13, v13, v15, s[4:5]
	v_bfe_u32 v17, v5, 29, 1
	v_cndmask_b32_e64 v8, v9, v8, s[0:1]
	v_alignbit_b32 v14, v5, v13, 30
	v_sub_u32_e32 v18, 0, v17
	v_cndmask_b32_e64 v8, v10, v8, s[2:3]
	v_xor_b32_e32 v14, v14, v18
	v_alignbit_b32 v9, v11, v8, v16
	v_cndmask_b32_e64 v9, v9, v11, s[4:5]
	v_ffbh_u32_e32 v11, v14
	v_alignbit_b32 v10, v13, v9, 30
	v_min_u32_e32 v11, 32, v11
	v_alignbit_b32 v8, v9, v8, 30
	v_xor_b32_e32 v10, v10, v18
	v_sub_u32_e32 v12, 31, v11
	v_xor_b32_e32 v8, v8, v18
	v_alignbit_b32 v13, v14, v10, v12
	v_alignbit_b32 v8, v10, v8, v12
	;; [unrolled: 1-line block ×3, first 2 shown]
	v_ffbh_u32_e32 v10, v9
	v_min_u32_e32 v10, 32, v10
	v_lshrrev_b32_e32 v15, 29, v5
	v_not_b32_e32 v12, v10
	v_alignbit_b32 v8, v9, v8, v12
	v_lshlrev_b32_e32 v9, 31, v15
	v_or_b32_e32 v12, 0x33000000, v9
	v_add_lshl_u32 v10, v10, v11, 23
	v_lshrrev_b32_e32 v8, 9, v8
	v_sub_u32_e32 v10, v12, v10
	v_or_b32_e32 v9, 0.5, v9
	v_lshlrev_b32_e32 v11, 23, v11
	v_or_b32_e32 v8, v10, v8
	v_lshrrev_b32_e32 v10, 9, v13
	v_sub_u32_e32 v9, v9, v11
	v_or_b32_e32 v9, v10, v9
	s_mov_b32 s0, 0x3fc90fda
	v_mul_f32_e32 v10, 0x3fc90fda, v9
	v_fma_f32 v11, v9, s0, -v10
	v_fmac_f32_e32 v11, 0x33a22168, v9
	v_fmac_f32_e32 v11, 0x3fc90fda, v8
	v_lshrrev_b32_e32 v5, 30, v5
	v_add_f32_e32 v8, v10, v11
	v_add_u32_e32 v5, v17, v5
.LBB11_15:
	s_andn2_saveexec_b64 s[0:1], s[18:19]
	s_cbranch_execz .LBB11_17
; %bb.16:
	s_mov_b32 s2, 0x3f22f983
	v_mul_f32_e64 v5, |v6|, s2
	v_rndne_f32_e32 v9, v5
	s_mov_b32 s2, 0xbfc90fda
	v_cvt_i32_f32_e32 v5, v9
	v_fma_f32 v8, v9, s2, |v6|
	v_fmac_f32_e32 v8, 0xb3a22168, v9
	v_fmac_f32_e32 v8, 0xa7c234c4, v9
.LBB11_17:
	s_or_b64 exec, exec, s[0:1]
	v_mul_f32_e32 v9, v8, v8
	v_mov_b32_e32 v10, 0x3c0881c4
	v_fmac_f32_e32 v10, 0xb94c1982, v9
	v_mov_b32_e32 v11, 0xbe2aaa9d
	v_fmac_f32_e32 v11, v9, v10
	v_mul_f32_e32 v10, v9, v11
	v_fmac_f32_e32 v8, v8, v10
	v_mov_b32_e32 v10, 0xbab64f3b
	v_fmac_f32_e32 v10, 0x37d75334, v9
	v_mov_b32_e32 v11, 0x3d2aabf7
	;; [unrolled: 2-line block ×3, first 2 shown]
	v_fmac_f32_e32 v10, v9, v11
	v_fma_f32 v9, v9, v10, 1.0
	v_and_b32_e32 v10, 1, v5
	v_lshlrev_b32_e32 v5, 30, v5
	v_cmp_eq_u32_e32 vcc, 0, v10
	v_and_b32_e32 v5, 0x80000000, v5
	v_xor_b32_e32 v2, v2, v6
	v_cndmask_b32_e32 v8, v9, v8, vcc
	v_xor_b32_e32 v2, v2, v5
	s_movk_i32 s0, 0x1f8
	v_xor_b32_e32 v2, v2, v8
	v_mov_b32_e32 v5, 0x7fc00000
	v_cmp_class_f32_e64 vcc, v6, s0
	v_cndmask_b32_e32 v2, v5, v2, vcc
	v_div_scale_f32 v5, s[0:1], v6, v6, v2
	v_div_scale_f32 v8, vcc, v2, v6, v2
	v_rcp_f32_e32 v9, v5
	v_fma_f32 v10, -v5, v9, 1.0
	v_fmac_f32_e32 v9, v10, v9
	v_mul_f32_e32 v10, v8, v9
	v_fma_f32 v11, -v5, v10, v8
	v_fmac_f32_e32 v10, v11, v9
	v_fma_f32 v5, -v5, v10, v8
	v_div_fmas_f32 v5, v5, v9, v10
	v_div_fixup_f32 v2, v5, v6, v2
                                        ; implicit-def: $vgpr5_vgpr6
.LBB11_18:
	s_andn2_saveexec_b64 s[0:1], s[16:17]
	s_cbranch_execz .LBB11_20
; %bb.19:
	v_mul_f32_e32 v2, v6, v6
	v_mov_b32_e32 v5, 0xb2d7322b
	v_fmac_f32_e32 v5, 0x2f309231, v2
	v_mov_b32_e32 v6, 0x3638ef1d
	v_fmac_f32_e32 v6, v2, v5
	;; [unrolled: 2-line block ×5, first 2 shown]
	v_fma_f32 v2, v2, v5, 1.0
.LBB11_20:
	s_or_b64 exec, exec, s[0:1]
.LBB11_21:
	s_or_b64 exec, exec, s[14:15]
	s_waitcnt vmcnt(0)
	v_cmp_neq_f32_e64 s[0:1], |v3|, s13
	v_mov_b32_e32 v6, 0
	v_mov_b32_e32 v5, 0
	s_and_saveexec_b64 s[14:15], s[0:1]
	s_cbranch_execz .LBB11_31
; %bb.22:
	v_cmp_nlt_f32_e64 s[0:1], |v3|, 0.5
	s_and_saveexec_b64 s[2:3], s[0:1]
	s_xor_b64 s[16:17], exec, s[2:3]
	s_cbranch_execz .LBB11_28
; %bb.23:
	s_brev_b32 s0, 18
	v_and_b32_e32 v5, 0x7fffffff, v3
	v_cmp_nlt_f32_e64 s[0:1], |v3|, s0
                                        ; implicit-def: $vgpr8
                                        ; implicit-def: $vgpr9
	s_and_saveexec_b64 s[2:3], s[0:1]
	s_xor_b64 s[18:19], exec, s[2:3]
	s_cbranch_execz .LBB11_25
; %bb.24:
	v_and_b32_e32 v8, 0x7fffff, v5
	v_or_b32_e32 v17, 0x800000, v8
	s_mov_b32 s0, 0xfe5163ab
	v_mad_u64_u32 v[8:9], s[0:1], v17, s0, 0
	v_mov_b32_e32 v10, 0
	s_mov_b32 s0, 0x3c439041
	v_mad_u64_u32 v[11:12], s[0:1], v17, s0, v[9:10]
	s_mov_b32 s0, 0xdb629599
	v_not_b32_e32 v16, 63
	v_mov_b32_e32 v9, v12
	v_mad_u64_u32 v[12:13], s[0:1], v17, s0, v[9:10]
	s_mov_b32 s0, 0xf534ddc0
	v_not_b32_e32 v19, 31
	v_mov_b32_e32 v9, v13
	v_mad_u64_u32 v[13:14], s[0:1], v17, s0, v[9:10]
	v_lshrrev_b32_e32 v9, 23, v5
	v_add_u32_e32 v18, 0xffffff88, v9
	v_mov_b32_e32 v9, v14
	s_mov_b32 s0, 0xfc2757d1
	v_mad_u64_u32 v[14:15], s[0:1], v17, s0, v[9:10]
	v_cmp_lt_u32_e32 vcc, 63, v18
	v_cndmask_b32_e32 v9, 0, v16, vcc
	v_add_u32_e32 v18, v9, v18
	v_mov_b32_e32 v9, v15
	s_mov_b32 s0, 0x4e441529
	v_mad_u64_u32 v[15:16], s[0:1], v17, s0, v[9:10]
	v_cmp_lt_u32_e64 s[0:1], 31, v18
	v_cndmask_b32_e64 v9, 0, v19, s[0:1]
	v_add_u32_e32 v18, v9, v18
	v_mov_b32_e32 v9, v16
	s_mov_b32 s2, 0xa2f9836e
	v_mad_u64_u32 v[9:10], s[2:3], v17, s2, v[9:10]
	v_cmp_lt_u32_e64 s[2:3], 31, v18
	v_cndmask_b32_e64 v16, 0, v19, s[2:3]
	v_cndmask_b32_e32 v17, v15, v13, vcc
	v_cndmask_b32_e32 v9, v9, v14, vcc
	;; [unrolled: 1-line block ×3, first 2 shown]
	v_add_u32_e32 v16, v16, v18
	v_cndmask_b32_e64 v18, v9, v17, s[0:1]
	v_cndmask_b32_e64 v9, v10, v9, s[0:1]
	v_cndmask_b32_e32 v10, v14, v12, vcc
	v_cndmask_b32_e64 v14, v17, v10, s[0:1]
	v_cndmask_b32_e64 v9, v9, v18, s[2:3]
	v_cndmask_b32_e64 v15, v18, v14, s[2:3]
	v_sub_u32_e32 v17, 32, v16
	v_alignbit_b32 v18, v9, v15, v17
	v_cmp_eq_u32_e64 s[4:5], 0, v16
	v_cndmask_b32_e64 v16, v18, v9, s[4:5]
	v_cndmask_b32_e32 v9, v13, v11, vcc
	v_cndmask_b32_e64 v10, v10, v9, s[0:1]
	v_cndmask_b32_e64 v11, v14, v10, s[2:3]
	v_alignbit_b32 v13, v15, v11, v17
	v_cndmask_b32_e32 v8, v12, v8, vcc
	v_cndmask_b32_e64 v13, v13, v15, s[4:5]
	v_bfe_u32 v18, v16, 29, 1
	v_cndmask_b32_e64 v8, v9, v8, s[0:1]
	v_alignbit_b32 v14, v16, v13, 30
	v_sub_u32_e32 v19, 0, v18
	v_cndmask_b32_e64 v8, v10, v8, s[2:3]
	v_xor_b32_e32 v14, v14, v19
	v_alignbit_b32 v9, v11, v8, v17
	v_cndmask_b32_e64 v9, v9, v11, s[4:5]
	v_ffbh_u32_e32 v11, v14
	v_alignbit_b32 v10, v13, v9, 30
	v_min_u32_e32 v11, 32, v11
	v_alignbit_b32 v8, v9, v8, 30
	v_xor_b32_e32 v10, v10, v19
	v_sub_u32_e32 v12, 31, v11
	v_xor_b32_e32 v8, v8, v19
	v_alignbit_b32 v13, v14, v10, v12
	v_alignbit_b32 v8, v10, v8, v12
	;; [unrolled: 1-line block ×3, first 2 shown]
	v_ffbh_u32_e32 v10, v9
	v_min_u32_e32 v10, 32, v10
	v_lshrrev_b32_e32 v15, 29, v16
	v_not_b32_e32 v12, v10
	v_alignbit_b32 v8, v9, v8, v12
	v_lshlrev_b32_e32 v9, 31, v15
	v_or_b32_e32 v12, 0x33000000, v9
	v_add_lshl_u32 v10, v10, v11, 23
	v_lshrrev_b32_e32 v8, 9, v8
	v_sub_u32_e32 v10, v12, v10
	v_or_b32_e32 v9, 0.5, v9
	v_lshlrev_b32_e32 v11, 23, v11
	v_or_b32_e32 v8, v10, v8
	v_lshrrev_b32_e32 v10, 9, v13
	v_sub_u32_e32 v9, v9, v11
	v_or_b32_e32 v9, v10, v9
	s_mov_b32 s0, 0x3fc90fda
	v_mul_f32_e32 v10, 0x3fc90fda, v9
	v_fma_f32 v11, v9, s0, -v10
	v_fmac_f32_e32 v11, 0x33a22168, v9
	v_fmac_f32_e32 v11, 0x3fc90fda, v8
	v_lshrrev_b32_e32 v8, 30, v16
	v_add_f32_e32 v9, v10, v11
	v_add_u32_e32 v8, v18, v8
.LBB11_25:
	s_andn2_saveexec_b64 s[0:1], s[18:19]
	s_cbranch_execz .LBB11_27
; %bb.26:
	s_mov_b32 s2, 0x3f22f983
	v_mul_f32_e64 v8, |v3|, s2
	v_rndne_f32_e32 v10, v8
	s_mov_b32 s2, 0xbfc90fda
	v_cvt_i32_f32_e32 v8, v10
	v_fma_f32 v9, v10, s2, |v3|
	v_fmac_f32_e32 v9, 0xb3a22168, v10
	v_fmac_f32_e32 v9, 0xa7c234c4, v10
.LBB11_27:
	s_or_b64 exec, exec, s[0:1]
	v_mul_f32_e32 v10, v9, v9
	v_mov_b32_e32 v11, 0x3c0881c4
	v_fmac_f32_e32 v11, 0xb94c1982, v10
	v_mov_b32_e32 v12, 0xbe2aaa9d
	v_fmac_f32_e32 v12, v10, v11
	v_mul_f32_e32 v11, v10, v12
	v_fmac_f32_e32 v9, v9, v11
	v_mov_b32_e32 v11, 0xbab64f3b
	v_fmac_f32_e32 v11, 0x37d75334, v10
	v_mov_b32_e32 v12, 0x3d2aabf7
	;; [unrolled: 2-line block ×3, first 2 shown]
	v_fmac_f32_e32 v11, v10, v12
	v_fma_f32 v10, v10, v11, 1.0
	v_and_b32_e32 v11, 1, v8
	v_lshlrev_b32_e32 v8, 30, v8
	v_cmp_eq_u32_e32 vcc, 0, v11
	v_and_b32_e32 v8, 0x80000000, v8
	v_xor_b32_e32 v5, v5, v3
	v_cndmask_b32_e32 v9, v10, v9, vcc
	v_xor_b32_e32 v5, v5, v8
	s_movk_i32 s0, 0x1f8
	v_xor_b32_e32 v5, v5, v9
	v_mov_b32_e32 v8, 0x7fc00000
	v_cmp_class_f32_e64 vcc, v3, s0
	v_cndmask_b32_e32 v5, v8, v5, vcc
	v_div_scale_f32 v8, s[0:1], v3, v3, v5
	v_div_scale_f32 v9, vcc, v5, v3, v5
	v_rcp_f32_e32 v10, v8
	v_fma_f32 v11, -v8, v10, 1.0
	v_fmac_f32_e32 v10, v11, v10
	v_mul_f32_e32 v11, v9, v10
	v_fma_f32 v12, -v8, v11, v9
	v_fmac_f32_e32 v11, v12, v10
	v_fma_f32 v8, -v8, v11, v9
	v_div_fmas_f32 v8, v8, v10, v11
	v_div_fixup_f32 v5, v8, v3, v5
.LBB11_28:
	s_andn2_saveexec_b64 s[0:1], s[16:17]
	s_cbranch_execz .LBB11_30
; %bb.29:
	v_mul_f32_e32 v3, v3, v3
	v_mov_b32_e32 v5, 0xb2d7322b
	v_fmac_f32_e32 v5, 0x2f309231, v3
	v_mov_b32_e32 v8, 0x3638ef1d
	v_fmac_f32_e32 v8, v3, v5
	;; [unrolled: 2-line block ×5, first 2 shown]
	v_fma_f32 v5, v3, v5, 1.0
.LBB11_30:
	s_or_b64 exec, exec, s[0:1]
.LBB11_31:
	s_or_b64 exec, exec, s[14:15]
	v_cmp_neq_f32_e64 s[0:1], |v4|, s13
	s_and_saveexec_b64 s[14:15], s[0:1]
	s_cbranch_execz .LBB11_41
; %bb.32:
	v_cmp_nlt_f32_e64 s[0:1], |v4|, 0.5
	s_and_saveexec_b64 s[2:3], s[0:1]
	s_xor_b64 s[16:17], exec, s[2:3]
	s_cbranch_execz .LBB11_38
; %bb.33:
	s_brev_b32 s0, 18
	v_and_b32_e32 v3, 0x7fffffff, v4
	v_cmp_nlt_f32_e64 s[0:1], |v4|, s0
                                        ; implicit-def: $vgpr6
                                        ; implicit-def: $vgpr8
	s_and_saveexec_b64 s[2:3], s[0:1]
	s_xor_b64 s[18:19], exec, s[2:3]
	s_cbranch_execz .LBB11_35
; %bb.34:
	v_and_b32_e32 v6, 0x7fffff, v3
	v_or_b32_e32 v6, 0x800000, v6
	s_mov_b32 s0, 0xfe5163ab
	v_mad_u64_u32 v[8:9], s[0:1], v6, s0, 0
	v_mov_b32_e32 v10, 0
	s_mov_b32 s0, 0x3c439041
	v_mad_u64_u32 v[11:12], s[0:1], v6, s0, v[9:10]
	s_mov_b32 s0, 0xdb629599
	v_not_b32_e32 v16, 63
	v_mov_b32_e32 v9, v12
	v_mad_u64_u32 v[12:13], s[0:1], v6, s0, v[9:10]
	s_mov_b32 s0, 0xf534ddc0
	v_not_b32_e32 v18, 31
	v_mov_b32_e32 v9, v13
	v_mad_u64_u32 v[13:14], s[0:1], v6, s0, v[9:10]
	v_lshrrev_b32_e32 v9, 23, v3
	v_add_u32_e32 v17, 0xffffff88, v9
	v_mov_b32_e32 v9, v14
	s_mov_b32 s0, 0xfc2757d1
	v_mad_u64_u32 v[14:15], s[0:1], v6, s0, v[9:10]
	v_cmp_lt_u32_e32 vcc, 63, v17
	v_cndmask_b32_e32 v9, 0, v16, vcc
	v_add_u32_e32 v17, v9, v17
	v_mov_b32_e32 v9, v15
	s_mov_b32 s0, 0x4e441529
	v_mad_u64_u32 v[15:16], s[0:1], v6, s0, v[9:10]
	v_cmp_lt_u32_e64 s[0:1], 31, v17
	v_cndmask_b32_e64 v9, 0, v18, s[0:1]
	v_add_u32_e32 v17, v9, v17
	v_mov_b32_e32 v9, v16
	s_mov_b32 s2, 0xa2f9836e
	v_mad_u64_u32 v[9:10], s[2:3], v6, s2, v[9:10]
	v_cmp_lt_u32_e64 s[2:3], 31, v17
	v_cndmask_b32_e64 v6, 0, v18, s[2:3]
	v_cndmask_b32_e32 v16, v15, v13, vcc
	v_cndmask_b32_e32 v9, v9, v14, vcc
	;; [unrolled: 1-line block ×3, first 2 shown]
	v_add_u32_e32 v6, v6, v17
	v_cndmask_b32_e64 v17, v9, v16, s[0:1]
	v_cndmask_b32_e64 v9, v10, v9, s[0:1]
	v_cndmask_b32_e32 v10, v14, v12, vcc
	v_cndmask_b32_e64 v14, v16, v10, s[0:1]
	v_cndmask_b32_e64 v9, v9, v17, s[2:3]
	;; [unrolled: 1-line block ×3, first 2 shown]
	v_sub_u32_e32 v16, 32, v6
	v_alignbit_b32 v17, v9, v15, v16
	v_cmp_eq_u32_e64 s[4:5], 0, v6
	v_cndmask_b32_e64 v6, v17, v9, s[4:5]
	v_cndmask_b32_e32 v9, v13, v11, vcc
	v_cndmask_b32_e64 v10, v10, v9, s[0:1]
	v_cndmask_b32_e64 v11, v14, v10, s[2:3]
	v_alignbit_b32 v13, v15, v11, v16
	v_cndmask_b32_e32 v8, v12, v8, vcc
	v_cndmask_b32_e64 v13, v13, v15, s[4:5]
	v_bfe_u32 v17, v6, 29, 1
	v_cndmask_b32_e64 v8, v9, v8, s[0:1]
	v_alignbit_b32 v14, v6, v13, 30
	v_sub_u32_e32 v18, 0, v17
	v_cndmask_b32_e64 v8, v10, v8, s[2:3]
	v_xor_b32_e32 v14, v14, v18
	v_alignbit_b32 v9, v11, v8, v16
	v_cndmask_b32_e64 v9, v9, v11, s[4:5]
	v_ffbh_u32_e32 v11, v14
	v_alignbit_b32 v10, v13, v9, 30
	v_min_u32_e32 v11, 32, v11
	v_alignbit_b32 v8, v9, v8, 30
	v_xor_b32_e32 v10, v10, v18
	v_sub_u32_e32 v12, 31, v11
	v_xor_b32_e32 v8, v8, v18
	v_alignbit_b32 v13, v14, v10, v12
	v_alignbit_b32 v8, v10, v8, v12
	;; [unrolled: 1-line block ×3, first 2 shown]
	v_ffbh_u32_e32 v10, v9
	v_min_u32_e32 v10, 32, v10
	v_lshrrev_b32_e32 v15, 29, v6
	v_not_b32_e32 v12, v10
	v_alignbit_b32 v8, v9, v8, v12
	v_lshlrev_b32_e32 v9, 31, v15
	v_or_b32_e32 v12, 0x33000000, v9
	v_add_lshl_u32 v10, v10, v11, 23
	v_lshrrev_b32_e32 v8, 9, v8
	v_sub_u32_e32 v10, v12, v10
	v_or_b32_e32 v9, 0.5, v9
	v_lshlrev_b32_e32 v11, 23, v11
	v_or_b32_e32 v8, v10, v8
	v_lshrrev_b32_e32 v10, 9, v13
	v_sub_u32_e32 v9, v9, v11
	v_or_b32_e32 v9, v10, v9
	s_mov_b32 s0, 0x3fc90fda
	v_mul_f32_e32 v10, 0x3fc90fda, v9
	v_fma_f32 v11, v9, s0, -v10
	v_fmac_f32_e32 v11, 0x33a22168, v9
	v_fmac_f32_e32 v11, 0x3fc90fda, v8
	v_lshrrev_b32_e32 v6, 30, v6
	v_add_f32_e32 v8, v10, v11
	v_add_u32_e32 v6, v17, v6
.LBB11_35:
	s_andn2_saveexec_b64 s[0:1], s[18:19]
	s_cbranch_execz .LBB11_37
; %bb.36:
	s_mov_b32 s2, 0x3f22f983
	v_mul_f32_e64 v6, |v4|, s2
	v_rndne_f32_e32 v9, v6
	s_mov_b32 s2, 0xbfc90fda
	v_cvt_i32_f32_e32 v6, v9
	v_fma_f32 v8, v9, s2, |v4|
	v_fmac_f32_e32 v8, 0xb3a22168, v9
	v_fmac_f32_e32 v8, 0xa7c234c4, v9
.LBB11_37:
	s_or_b64 exec, exec, s[0:1]
	v_mul_f32_e32 v9, v8, v8
	v_mov_b32_e32 v10, 0x3c0881c4
	v_fmac_f32_e32 v10, 0xb94c1982, v9
	v_mov_b32_e32 v11, 0xbe2aaa9d
	v_fmac_f32_e32 v11, v9, v10
	v_mul_f32_e32 v10, v9, v11
	v_fmac_f32_e32 v8, v8, v10
	v_mov_b32_e32 v10, 0xbab64f3b
	v_fmac_f32_e32 v10, 0x37d75334, v9
	v_mov_b32_e32 v11, 0x3d2aabf7
	;; [unrolled: 2-line block ×3, first 2 shown]
	v_fmac_f32_e32 v10, v9, v11
	v_fma_f32 v9, v9, v10, 1.0
	v_and_b32_e32 v10, 1, v6
	v_lshlrev_b32_e32 v6, 30, v6
	v_cmp_eq_u32_e32 vcc, 0, v10
	v_and_b32_e32 v6, 0x80000000, v6
	v_xor_b32_e32 v3, v3, v4
	v_cndmask_b32_e32 v8, v9, v8, vcc
	v_xor_b32_e32 v3, v3, v6
	s_movk_i32 s0, 0x1f8
	v_xor_b32_e32 v3, v3, v8
	v_mov_b32_e32 v6, 0x7fc00000
	v_cmp_class_f32_e64 vcc, v4, s0
	v_cndmask_b32_e32 v3, v6, v3, vcc
	v_div_scale_f32 v6, s[0:1], v4, v4, v3
	v_div_scale_f32 v8, vcc, v3, v4, v3
	v_rcp_f32_e32 v9, v6
	v_fma_f32 v10, -v6, v9, 1.0
	v_fmac_f32_e32 v9, v10, v9
	v_mul_f32_e32 v10, v8, v9
	v_fma_f32 v11, -v6, v10, v8
	v_fmac_f32_e32 v10, v11, v9
	v_fma_f32 v6, -v6, v10, v8
	v_div_fmas_f32 v6, v6, v9, v10
	v_div_fixup_f32 v6, v6, v4, v3
                                        ; implicit-def: $vgpr3_vgpr4
.LBB11_38:
	s_andn2_saveexec_b64 s[0:1], s[16:17]
	s_cbranch_execz .LBB11_40
; %bb.39:
	v_mul_f32_e32 v3, v4, v4
	v_mov_b32_e32 v4, 0xb2d7322b
	v_fmac_f32_e32 v4, 0x2f309231, v3
	v_mov_b32_e32 v6, 0x3638ef1d
	v_fmac_f32_e32 v6, v3, v4
	;; [unrolled: 2-line block ×5, first 2 shown]
	v_fma_f32 v6, v3, v4, 1.0
.LBB11_40:
	s_or_b64 exec, exec, s[0:1]
.LBB11_41:
	s_or_b64 exec, exec, s[14:15]
	s_add_u32 s0, s8, s6
	s_addc_u32 s1, s9, s7
	global_store_dwordx2 v7, v[1:2], s[0:1]
	global_store_dwordx2 v7, v[5:6], s[0:1] offset:2048
	s_mov_b64 s[0:1], 0
.LBB11_42:
	s_and_b64 vcc, exec, s[0:1]
	s_cbranch_vccz .LBB11_93
; %bb.43:
	v_cmp_gt_i32_e64 s[0:1], s20, v0
	v_mov_b32_e32 v9, 0
	v_or_b32_e32 v6, s12, v0
	v_mov_b32_e32 v5, 0
	v_mov_b32_e32 v1, v0
	s_and_saveexec_b64 s[2:3], s[0:1]
	s_cbranch_execz .LBB11_45
; %bb.44:
	v_mov_b32_e32 v7, 0
	v_lshlrev_b64 v[1:2], 2, v[6:7]
	v_mov_b32_e32 v3, s11
	v_add_co_u32_e32 v1, vcc, s10, v1
	v_addc_co_u32_e32 v2, vcc, v3, v2, vcc
	global_load_dword v5, v[1:2], off
	v_or_b32_e32 v1, 0x100, v0
.LBB11_45:
	s_or_b64 exec, exec, s[2:3]
	v_cmp_gt_i32_e32 vcc, s20, v1
	s_and_saveexec_b64 s[2:3], vcc
	s_cbranch_execz .LBB11_47
; %bb.46:
	v_add_u32_e32 v2, s12, v1
	v_mov_b32_e32 v3, 0
	v_lshlrev_b64 v[2:3], 2, v[2:3]
	v_mov_b32_e32 v4, s11
	v_add_co_u32_e32 v2, vcc, s10, v2
	v_addc_co_u32_e32 v3, vcc, v4, v3, vcc
	global_load_dword v9, v[2:3], off
	v_add_u32_e32 v1, 0x100, v1
.LBB11_47:
	s_or_b64 exec, exec, s[2:3]
	v_cmp_gt_i32_e32 vcc, s20, v1
	v_mov_b32_e32 v7, 0
	v_mov_b32_e32 v8, 0
	s_and_saveexec_b64 s[2:3], vcc
	s_cbranch_execz .LBB11_49
; %bb.48:
	v_add_u32_e32 v2, s12, v1
	v_mov_b32_e32 v3, 0
	v_lshlrev_b64 v[2:3], 2, v[2:3]
	v_mov_b32_e32 v4, s11
	v_add_co_u32_e32 v2, vcc, s10, v2
	v_addc_co_u32_e32 v3, vcc, v4, v3, vcc
	global_load_dword v8, v[2:3], off
	v_add_u32_e32 v1, 0x100, v1
.LBB11_49:
	s_or_b64 exec, exec, s[2:3]
	v_cmp_gt_i32_e32 vcc, s20, v1
	s_and_saveexec_b64 s[2:3], vcc
	s_cbranch_execz .LBB11_51
; %bb.50:
	v_add_u32_e32 v1, s12, v1
	v_mov_b32_e32 v2, 0
	v_lshlrev_b64 v[1:2], 2, v[1:2]
	v_mov_b32_e32 v3, s11
	v_add_co_u32_e32 v1, vcc, s10, v1
	v_addc_co_u32_e32 v2, vcc, v3, v2, vcc
	global_load_dword v7, v[1:2], off
.LBB11_51:
	s_or_b64 exec, exec, s[2:3]
	v_mov_b32_e32 v1, 0
	v_mov_b32_e32 v2, v1
	;; [unrolled: 1-line block ×4, first 2 shown]
	s_and_saveexec_b64 s[10:11], s[0:1]
	s_cbranch_execz .LBB11_63
; %bb.52:
	s_mov_b32 s2, 0x7f800000
	s_waitcnt vmcnt(0)
	v_cmp_neq_f32_e64 s[2:3], |v5|, s2
	v_mov_b32_e32 v2, 0
	s_and_saveexec_b64 s[14:15], s[2:3]
	s_cbranch_execz .LBB11_62
; %bb.53:
	v_cmp_nlt_f32_e64 s[2:3], |v5|, 0.5
                                        ; implicit-def: $vgpr2
	s_and_saveexec_b64 s[4:5], s[2:3]
	s_xor_b64 s[16:17], exec, s[4:5]
	s_cbranch_execz .LBB11_59
; %bb.54:
	s_brev_b32 s2, 18
	v_and_b32_e32 v2, 0x7fffffff, v5
	v_cmp_nlt_f32_e64 s[2:3], |v5|, s2
                                        ; implicit-def: $vgpr3
                                        ; implicit-def: $vgpr4
	s_and_saveexec_b64 s[4:5], s[2:3]
	s_xor_b64 s[18:19], exec, s[4:5]
	s_cbranch_execz .LBB11_56
; %bb.55:
	v_and_b32_e32 v3, 0x7fffff, v2
	v_or_b32_e32 v18, 0x800000, v3
	s_mov_b32 s2, 0xfe5163ab
	v_mad_u64_u32 v[3:4], s[2:3], v18, s2, 0
	v_mov_b32_e32 v11, 0
	s_mov_b32 s2, 0x3c439041
	v_mov_b32_e32 v10, v4
	v_mad_u64_u32 v[12:13], s[2:3], v18, s2, v[10:11]
	s_mov_b32 s2, 0xdb629599
	v_lshrrev_b32_e32 v4, 23, v2
	v_mov_b32_e32 v10, v13
	v_mad_u64_u32 v[13:14], s[2:3], v18, s2, v[10:11]
	s_mov_b32 s2, 0xf534ddc0
	v_add_u32_e32 v4, 0xffffff88, v4
	v_mov_b32_e32 v10, v14
	v_mad_u64_u32 v[14:15], s[2:3], v18, s2, v[10:11]
	s_mov_b32 s2, 0xfc2757d1
	v_not_b32_e32 v17, 63
	v_mov_b32_e32 v10, v15
	v_mad_u64_u32 v[15:16], s[2:3], v18, s2, v[10:11]
	v_cmp_lt_u32_e32 vcc, 63, v4
	v_cndmask_b32_e32 v10, 0, v17, vcc
	v_add_u32_e32 v4, v10, v4
	v_mov_b32_e32 v10, v16
	s_mov_b32 s2, 0x4e441529
	v_mad_u64_u32 v[16:17], s[2:3], v18, s2, v[10:11]
	v_not_b32_e32 v19, 31
	v_cmp_lt_u32_e64 s[2:3], 31, v4
	v_cndmask_b32_e64 v10, 0, v19, s[2:3]
	v_add_u32_e32 v4, v10, v4
	v_mov_b32_e32 v10, v17
	s_mov_b32 s4, 0xa2f9836e
	v_mad_u64_u32 v[10:11], s[4:5], v18, s4, v[10:11]
	v_cmp_lt_u32_e64 s[4:5], 31, v4
	v_cndmask_b32_e64 v17, 0, v19, s[4:5]
	v_add_u32_e32 v4, v17, v4
	v_cndmask_b32_e32 v17, v16, v14, vcc
	v_cndmask_b32_e32 v10, v10, v15, vcc
	;; [unrolled: 1-line block ×3, first 2 shown]
	v_cndmask_b32_e64 v18, v10, v17, s[2:3]
	v_cndmask_b32_e64 v10, v11, v10, s[2:3]
	v_cndmask_b32_e32 v11, v15, v13, vcc
	v_cndmask_b32_e64 v15, v17, v11, s[2:3]
	v_sub_u32_e32 v17, 32, v4
	v_cmp_eq_u32_e64 s[6:7], 0, v4
	v_cndmask_b32_e32 v4, v14, v12, vcc
	v_cndmask_b32_e64 v10, v10, v18, s[4:5]
	v_cndmask_b32_e64 v16, v18, v15, s[4:5]
	;; [unrolled: 1-line block ×3, first 2 shown]
	v_alignbit_b32 v18, v10, v16, v17
	v_cndmask_b32_e64 v12, v15, v11, s[4:5]
	v_cndmask_b32_e64 v10, v18, v10, s[6:7]
	v_alignbit_b32 v14, v16, v12, v17
	v_cndmask_b32_e32 v3, v13, v3, vcc
	v_cndmask_b32_e64 v14, v14, v16, s[6:7]
	v_bfe_u32 v18, v10, 29, 1
	v_cndmask_b32_e64 v3, v4, v3, s[2:3]
	v_alignbit_b32 v15, v10, v14, 30
	v_sub_u32_e32 v19, 0, v18
	v_cndmask_b32_e64 v3, v11, v3, s[4:5]
	v_xor_b32_e32 v15, v15, v19
	v_alignbit_b32 v4, v12, v3, v17
	v_cndmask_b32_e64 v4, v4, v12, s[6:7]
	v_ffbh_u32_e32 v12, v15
	v_alignbit_b32 v11, v14, v4, 30
	v_min_u32_e32 v12, 32, v12
	v_alignbit_b32 v3, v4, v3, 30
	v_xor_b32_e32 v11, v11, v19
	v_sub_u32_e32 v13, 31, v12
	v_xor_b32_e32 v3, v3, v19
	v_alignbit_b32 v14, v15, v11, v13
	v_alignbit_b32 v3, v11, v3, v13
	;; [unrolled: 1-line block ×3, first 2 shown]
	v_ffbh_u32_e32 v11, v4
	v_min_u32_e32 v11, 32, v11
	v_lshrrev_b32_e32 v16, 29, v10
	v_not_b32_e32 v13, v11
	v_alignbit_b32 v3, v4, v3, v13
	v_lshlrev_b32_e32 v4, 31, v16
	v_or_b32_e32 v13, 0x33000000, v4
	v_add_lshl_u32 v11, v11, v12, 23
	v_lshrrev_b32_e32 v3, 9, v3
	v_sub_u32_e32 v11, v13, v11
	v_or_b32_e32 v4, 0.5, v4
	v_lshlrev_b32_e32 v12, 23, v12
	v_or_b32_e32 v3, v11, v3
	v_lshrrev_b32_e32 v11, 9, v14
	v_sub_u32_e32 v4, v4, v12
	v_or_b32_e32 v4, v11, v4
	s_mov_b32 s2, 0x3fc90fda
	v_mul_f32_e32 v11, 0x3fc90fda, v4
	v_fma_f32 v12, v4, s2, -v11
	v_fmac_f32_e32 v12, 0x33a22168, v4
	v_fmac_f32_e32 v12, 0x3fc90fda, v3
	v_lshrrev_b32_e32 v3, 30, v10
	v_add_f32_e32 v4, v11, v12
	v_add_u32_e32 v3, v18, v3
.LBB11_56:
	s_andn2_saveexec_b64 s[2:3], s[18:19]
	s_cbranch_execz .LBB11_58
; %bb.57:
	s_mov_b32 s4, 0x3f22f983
	v_mul_f32_e64 v3, |v5|, s4
	v_rndne_f32_e32 v10, v3
	s_mov_b32 s4, 0xbfc90fda
	v_cvt_i32_f32_e32 v3, v10
	v_fma_f32 v4, v10, s4, |v5|
	v_fmac_f32_e32 v4, 0xb3a22168, v10
	v_fmac_f32_e32 v4, 0xa7c234c4, v10
.LBB11_58:
	s_or_b64 exec, exec, s[2:3]
	v_mul_f32_e32 v10, v4, v4
	v_mov_b32_e32 v11, 0x3c0881c4
	v_fmac_f32_e32 v11, 0xb94c1982, v10
	v_mov_b32_e32 v12, 0xbe2aaa9d
	v_fmac_f32_e32 v12, v10, v11
	v_mul_f32_e32 v11, v10, v12
	v_fmac_f32_e32 v4, v4, v11
	v_mov_b32_e32 v11, 0xbab64f3b
	v_fmac_f32_e32 v11, 0x37d75334, v10
	v_mov_b32_e32 v12, 0x3d2aabf7
	;; [unrolled: 2-line block ×3, first 2 shown]
	v_fmac_f32_e32 v11, v10, v12
	v_fma_f32 v10, v10, v11, 1.0
	v_and_b32_e32 v11, 1, v3
	v_lshlrev_b32_e32 v3, 30, v3
	v_cmp_eq_u32_e32 vcc, 0, v11
	v_and_b32_e32 v3, 0x80000000, v3
	v_xor_b32_e32 v2, v2, v5
	v_cndmask_b32_e32 v4, v10, v4, vcc
	v_xor_b32_e32 v2, v2, v3
	s_movk_i32 s2, 0x1f8
	v_xor_b32_e32 v2, v2, v4
	v_mov_b32_e32 v3, 0x7fc00000
	v_cmp_class_f32_e64 vcc, v5, s2
	v_cndmask_b32_e32 v2, v3, v2, vcc
	v_div_scale_f32 v3, s[2:3], v5, v5, v2
	v_div_scale_f32 v4, vcc, v2, v5, v2
	v_rcp_f32_e32 v10, v3
	v_fma_f32 v11, -v3, v10, 1.0
	v_fmac_f32_e32 v10, v11, v10
	v_mul_f32_e32 v11, v4, v10
	v_fma_f32 v12, -v3, v11, v4
	v_fmac_f32_e32 v11, v12, v10
	v_fma_f32 v3, -v3, v11, v4
	v_div_fmas_f32 v3, v3, v10, v11
	v_div_fixup_f32 v2, v3, v5, v2
                                        ; implicit-def: $vgpr5
.LBB11_59:
	s_andn2_saveexec_b64 s[2:3], s[16:17]
	s_cbranch_execz .LBB11_61
; %bb.60:
	v_mul_f32_e32 v2, v5, v5
	v_mov_b32_e32 v3, 0xb2d7322b
	v_fmac_f32_e32 v3, 0x2f309231, v2
	v_mov_b32_e32 v4, 0x3638ef1d
	v_fmac_f32_e32 v4, v2, v3
	;; [unrolled: 2-line block ×5, first 2 shown]
	v_fma_f32 v2, v2, v3, 1.0
.LBB11_61:
	s_or_b64 exec, exec, s[2:3]
.LBB11_62:
	s_or_b64 exec, exec, s[14:15]
	v_mov_b32_e32 v3, v1
	v_mov_b32_e32 v4, v1
	;; [unrolled: 1-line block ×7, first 2 shown]
.LBB11_63:
	s_or_b64 exec, exec, s[10:11]
	s_waitcnt vmcnt(0)
	v_or_b32_e32 v5, 0x100, v0
	v_cmp_gt_i32_e32 vcc, s20, v5
	s_and_saveexec_b64 s[10:11], vcc
	s_cbranch_execz .LBB11_75
; %bb.64:
	s_mov_b32 s2, 0x7f800000
	v_cmp_neq_f32_e64 s[2:3], |v9|, s2
	v_mov_b32_e32 v2, 0
	s_and_saveexec_b64 s[14:15], s[2:3]
	s_cbranch_execz .LBB11_74
; %bb.65:
	v_cmp_nlt_f32_e64 s[2:3], |v9|, 0.5
	s_and_saveexec_b64 s[4:5], s[2:3]
	s_xor_b64 s[16:17], exec, s[4:5]
	s_cbranch_execz .LBB11_71
; %bb.66:
	s_brev_b32 s2, 18
	v_and_b32_e32 v2, 0x7fffffff, v9
	v_cmp_nlt_f32_e64 s[2:3], |v9|, s2
                                        ; implicit-def: $vgpr10
                                        ; implicit-def: $vgpr11
	s_and_saveexec_b64 s[4:5], s[2:3]
	s_xor_b64 s[18:19], exec, s[4:5]
	s_cbranch_execz .LBB11_68
; %bb.67:
	v_and_b32_e32 v10, 0x7fffff, v2
	v_or_b32_e32 v19, 0x800000, v10
	s_mov_b32 s2, 0xfe5163ab
	v_mad_u64_u32 v[10:11], s[2:3], v19, s2, 0
	v_mov_b32_e32 v12, 0
	s_mov_b32 s2, 0x3c439041
	v_mad_u64_u32 v[13:14], s[2:3], v19, s2, v[11:12]
	s_mov_b32 s2, 0xdb629599
	v_not_b32_e32 v18, 63
	v_mov_b32_e32 v11, v14
	v_mad_u64_u32 v[14:15], s[2:3], v19, s2, v[11:12]
	s_mov_b32 s2, 0xf534ddc0
	v_not_b32_e32 v21, 31
	v_mov_b32_e32 v11, v15
	v_mad_u64_u32 v[15:16], s[2:3], v19, s2, v[11:12]
	v_lshrrev_b32_e32 v11, 23, v2
	v_add_u32_e32 v20, 0xffffff88, v11
	v_mov_b32_e32 v11, v16
	s_mov_b32 s2, 0xfc2757d1
	v_mad_u64_u32 v[16:17], s[2:3], v19, s2, v[11:12]
	v_cmp_lt_u32_e32 vcc, 63, v20
	v_cndmask_b32_e32 v11, 0, v18, vcc
	v_add_u32_e32 v20, v11, v20
	v_mov_b32_e32 v11, v17
	s_mov_b32 s2, 0x4e441529
	v_mad_u64_u32 v[17:18], s[2:3], v19, s2, v[11:12]
	v_cmp_lt_u32_e64 s[2:3], 31, v20
	v_cndmask_b32_e64 v11, 0, v21, s[2:3]
	v_add_u32_e32 v20, v11, v20
	v_mov_b32_e32 v11, v18
	s_mov_b32 s4, 0xa2f9836e
	v_mad_u64_u32 v[11:12], s[4:5], v19, s4, v[11:12]
	v_cmp_lt_u32_e64 s[4:5], 31, v20
	v_cndmask_b32_e64 v18, 0, v21, s[4:5]
	v_cndmask_b32_e32 v19, v17, v15, vcc
	v_cndmask_b32_e32 v11, v11, v16, vcc
	;; [unrolled: 1-line block ×3, first 2 shown]
	v_add_u32_e32 v18, v18, v20
	v_cndmask_b32_e64 v20, v11, v19, s[2:3]
	v_cndmask_b32_e64 v11, v12, v11, s[2:3]
	v_cndmask_b32_e32 v12, v16, v14, vcc
	v_cndmask_b32_e64 v16, v19, v12, s[2:3]
	v_cndmask_b32_e64 v11, v11, v20, s[4:5]
	;; [unrolled: 1-line block ×3, first 2 shown]
	v_sub_u32_e32 v19, 32, v18
	v_alignbit_b32 v20, v11, v17, v19
	v_cmp_eq_u32_e64 s[6:7], 0, v18
	v_cndmask_b32_e64 v18, v20, v11, s[6:7]
	v_cndmask_b32_e32 v11, v15, v13, vcc
	v_cndmask_b32_e64 v12, v12, v11, s[2:3]
	v_cndmask_b32_e64 v13, v16, v12, s[4:5]
	v_alignbit_b32 v15, v17, v13, v19
	v_cndmask_b32_e32 v10, v14, v10, vcc
	v_cndmask_b32_e64 v15, v15, v17, s[6:7]
	v_bfe_u32 v20, v18, 29, 1
	v_cndmask_b32_e64 v10, v11, v10, s[2:3]
	v_alignbit_b32 v16, v18, v15, 30
	v_sub_u32_e32 v21, 0, v20
	v_cndmask_b32_e64 v10, v12, v10, s[4:5]
	v_xor_b32_e32 v16, v16, v21
	v_alignbit_b32 v11, v13, v10, v19
	v_cndmask_b32_e64 v11, v11, v13, s[6:7]
	v_ffbh_u32_e32 v13, v16
	v_alignbit_b32 v12, v15, v11, 30
	v_min_u32_e32 v13, 32, v13
	v_alignbit_b32 v10, v11, v10, 30
	v_xor_b32_e32 v12, v12, v21
	v_sub_u32_e32 v14, 31, v13
	v_xor_b32_e32 v10, v10, v21
	v_alignbit_b32 v15, v16, v12, v14
	v_alignbit_b32 v10, v12, v10, v14
	v_alignbit_b32 v11, v15, v10, 9
	v_ffbh_u32_e32 v12, v11
	v_min_u32_e32 v12, 32, v12
	v_lshrrev_b32_e32 v17, 29, v18
	v_not_b32_e32 v14, v12
	v_alignbit_b32 v10, v11, v10, v14
	v_lshlrev_b32_e32 v11, 31, v17
	v_or_b32_e32 v14, 0x33000000, v11
	v_add_lshl_u32 v12, v12, v13, 23
	v_lshrrev_b32_e32 v10, 9, v10
	v_sub_u32_e32 v12, v14, v12
	v_or_b32_e32 v11, 0.5, v11
	v_lshlrev_b32_e32 v13, 23, v13
	v_or_b32_e32 v10, v12, v10
	v_lshrrev_b32_e32 v12, 9, v15
	v_sub_u32_e32 v11, v11, v13
	v_or_b32_e32 v11, v12, v11
	s_mov_b32 s2, 0x3fc90fda
	v_mul_f32_e32 v12, 0x3fc90fda, v11
	v_fma_f32 v13, v11, s2, -v12
	v_fmac_f32_e32 v13, 0x33a22168, v11
	v_fmac_f32_e32 v13, 0x3fc90fda, v10
	v_lshrrev_b32_e32 v10, 30, v18
	v_add_f32_e32 v11, v12, v13
	v_add_u32_e32 v10, v20, v10
.LBB11_68:
	s_andn2_saveexec_b64 s[2:3], s[18:19]
	s_cbranch_execz .LBB11_70
; %bb.69:
	s_mov_b32 s4, 0x3f22f983
	v_mul_f32_e64 v10, |v9|, s4
	v_rndne_f32_e32 v12, v10
	s_mov_b32 s4, 0xbfc90fda
	v_cvt_i32_f32_e32 v10, v12
	v_fma_f32 v11, v12, s4, |v9|
	v_fmac_f32_e32 v11, 0xb3a22168, v12
	v_fmac_f32_e32 v11, 0xa7c234c4, v12
.LBB11_70:
	s_or_b64 exec, exec, s[2:3]
	v_mul_f32_e32 v12, v11, v11
	v_mov_b32_e32 v13, 0x3c0881c4
	v_fmac_f32_e32 v13, 0xb94c1982, v12
	v_mov_b32_e32 v14, 0xbe2aaa9d
	v_fmac_f32_e32 v14, v12, v13
	v_mul_f32_e32 v13, v12, v14
	v_fmac_f32_e32 v11, v11, v13
	v_mov_b32_e32 v13, 0xbab64f3b
	v_fmac_f32_e32 v13, 0x37d75334, v12
	v_mov_b32_e32 v14, 0x3d2aabf7
	;; [unrolled: 2-line block ×3, first 2 shown]
	v_fmac_f32_e32 v13, v12, v14
	v_fma_f32 v12, v12, v13, 1.0
	v_and_b32_e32 v13, 1, v10
	v_lshlrev_b32_e32 v10, 30, v10
	v_cmp_eq_u32_e32 vcc, 0, v13
	v_and_b32_e32 v10, 0x80000000, v10
	v_xor_b32_e32 v2, v2, v9
	v_cndmask_b32_e32 v11, v12, v11, vcc
	v_xor_b32_e32 v2, v2, v10
	s_movk_i32 s2, 0x1f8
	v_xor_b32_e32 v2, v2, v11
	v_mov_b32_e32 v10, 0x7fc00000
	v_cmp_class_f32_e64 vcc, v9, s2
	v_cndmask_b32_e32 v2, v10, v2, vcc
	v_div_scale_f32 v10, s[2:3], v9, v9, v2
	v_div_scale_f32 v11, vcc, v2, v9, v2
	v_rcp_f32_e32 v12, v10
	v_fma_f32 v13, -v10, v12, 1.0
	v_fmac_f32_e32 v12, v13, v12
	v_mul_f32_e32 v13, v11, v12
	v_fma_f32 v14, -v10, v13, v11
	v_fmac_f32_e32 v13, v14, v12
	v_fma_f32 v10, -v10, v13, v11
	v_div_fmas_f32 v10, v10, v12, v13
	v_div_fixup_f32 v2, v10, v9, v2
                                        ; implicit-def: $vgpr9
.LBB11_71:
	s_andn2_saveexec_b64 s[2:3], s[16:17]
	s_cbranch_execz .LBB11_73
; %bb.72:
	v_mul_f32_e32 v2, v9, v9
	v_mov_b32_e32 v9, 0xb2d7322b
	v_fmac_f32_e32 v9, 0x2f309231, v2
	v_mov_b32_e32 v10, 0x3638ef1d
	v_fmac_f32_e32 v10, v2, v9
	;; [unrolled: 2-line block ×5, first 2 shown]
	v_fma_f32 v2, v2, v9, 1.0
.LBB11_73:
	s_or_b64 exec, exec, s[2:3]
.LBB11_74:
	s_or_b64 exec, exec, s[14:15]
.LBB11_75:
	s_or_b64 exec, exec, s[10:11]
	v_or_b32_e32 v9, 0x200, v0
	v_cmp_gt_i32_e32 vcc, s20, v9
	s_and_saveexec_b64 s[10:11], vcc
	s_cbranch_execz .LBB11_87
; %bb.76:
	s_mov_b32 s2, 0x7f800000
	v_cmp_neq_f32_e64 s[2:3], |v8|, s2
	v_mov_b32_e32 v3, 0
	s_and_saveexec_b64 s[14:15], s[2:3]
	s_cbranch_execz .LBB11_86
; %bb.77:
	v_cmp_nlt_f32_e64 s[2:3], |v8|, 0.5
	s_and_saveexec_b64 s[4:5], s[2:3]
	s_xor_b64 s[16:17], exec, s[4:5]
	s_cbranch_execz .LBB11_83
; %bb.78:
	s_brev_b32 s2, 18
	v_and_b32_e32 v3, 0x7fffffff, v8
	v_cmp_nlt_f32_e64 s[2:3], |v8|, s2
                                        ; implicit-def: $vgpr9
                                        ; implicit-def: $vgpr10
	s_and_saveexec_b64 s[4:5], s[2:3]
	s_xor_b64 s[18:19], exec, s[4:5]
	s_cbranch_execz .LBB11_80
; %bb.79:
	v_and_b32_e32 v9, 0x7fffff, v3
	v_or_b32_e32 v18, 0x800000, v9
	s_mov_b32 s2, 0xfe5163ab
	v_mad_u64_u32 v[9:10], s[2:3], v18, s2, 0
	v_mov_b32_e32 v11, 0
	s_mov_b32 s2, 0x3c439041
	v_mad_u64_u32 v[12:13], s[2:3], v18, s2, v[10:11]
	s_mov_b32 s2, 0xdb629599
	v_not_b32_e32 v17, 63
	v_mov_b32_e32 v10, v13
	v_mad_u64_u32 v[13:14], s[2:3], v18, s2, v[10:11]
	s_mov_b32 s2, 0xf534ddc0
	v_not_b32_e32 v20, 31
	v_mov_b32_e32 v10, v14
	v_mad_u64_u32 v[14:15], s[2:3], v18, s2, v[10:11]
	v_lshrrev_b32_e32 v10, 23, v3
	v_add_u32_e32 v19, 0xffffff88, v10
	v_mov_b32_e32 v10, v15
	s_mov_b32 s2, 0xfc2757d1
	v_mad_u64_u32 v[15:16], s[2:3], v18, s2, v[10:11]
	v_cmp_lt_u32_e32 vcc, 63, v19
	v_cndmask_b32_e32 v10, 0, v17, vcc
	v_add_u32_e32 v19, v10, v19
	v_mov_b32_e32 v10, v16
	s_mov_b32 s2, 0x4e441529
	v_mad_u64_u32 v[16:17], s[2:3], v18, s2, v[10:11]
	v_cmp_lt_u32_e64 s[2:3], 31, v19
	v_cndmask_b32_e64 v10, 0, v20, s[2:3]
	v_add_u32_e32 v19, v10, v19
	v_mov_b32_e32 v10, v17
	s_mov_b32 s4, 0xa2f9836e
	v_mad_u64_u32 v[10:11], s[4:5], v18, s4, v[10:11]
	v_cmp_lt_u32_e64 s[4:5], 31, v19
	v_cndmask_b32_e64 v17, 0, v20, s[4:5]
	v_cndmask_b32_e32 v18, v16, v14, vcc
	v_cndmask_b32_e32 v10, v10, v15, vcc
	;; [unrolled: 1-line block ×3, first 2 shown]
	v_add_u32_e32 v17, v17, v19
	v_cndmask_b32_e64 v19, v10, v18, s[2:3]
	v_cndmask_b32_e64 v10, v11, v10, s[2:3]
	v_cndmask_b32_e32 v11, v15, v13, vcc
	v_cndmask_b32_e64 v15, v18, v11, s[2:3]
	v_cndmask_b32_e64 v10, v10, v19, s[4:5]
	;; [unrolled: 1-line block ×3, first 2 shown]
	v_sub_u32_e32 v18, 32, v17
	v_alignbit_b32 v19, v10, v16, v18
	v_cmp_eq_u32_e64 s[6:7], 0, v17
	v_cndmask_b32_e64 v17, v19, v10, s[6:7]
	v_cndmask_b32_e32 v10, v14, v12, vcc
	v_cndmask_b32_e64 v11, v11, v10, s[2:3]
	v_cndmask_b32_e64 v12, v15, v11, s[4:5]
	v_alignbit_b32 v14, v16, v12, v18
	v_cndmask_b32_e32 v9, v13, v9, vcc
	v_cndmask_b32_e64 v14, v14, v16, s[6:7]
	v_bfe_u32 v19, v17, 29, 1
	v_cndmask_b32_e64 v9, v10, v9, s[2:3]
	v_alignbit_b32 v15, v17, v14, 30
	v_sub_u32_e32 v20, 0, v19
	v_cndmask_b32_e64 v9, v11, v9, s[4:5]
	v_xor_b32_e32 v15, v15, v20
	v_alignbit_b32 v10, v12, v9, v18
	v_cndmask_b32_e64 v10, v10, v12, s[6:7]
	v_ffbh_u32_e32 v12, v15
	v_alignbit_b32 v11, v14, v10, 30
	v_min_u32_e32 v12, 32, v12
	v_alignbit_b32 v9, v10, v9, 30
	v_xor_b32_e32 v11, v11, v20
	v_sub_u32_e32 v13, 31, v12
	v_xor_b32_e32 v9, v9, v20
	v_alignbit_b32 v14, v15, v11, v13
	v_alignbit_b32 v9, v11, v9, v13
	;; [unrolled: 1-line block ×3, first 2 shown]
	v_ffbh_u32_e32 v11, v10
	v_min_u32_e32 v11, 32, v11
	v_lshrrev_b32_e32 v16, 29, v17
	v_not_b32_e32 v13, v11
	v_alignbit_b32 v9, v10, v9, v13
	v_lshlrev_b32_e32 v10, 31, v16
	v_or_b32_e32 v13, 0x33000000, v10
	v_add_lshl_u32 v11, v11, v12, 23
	v_lshrrev_b32_e32 v9, 9, v9
	v_sub_u32_e32 v11, v13, v11
	v_or_b32_e32 v10, 0.5, v10
	v_lshlrev_b32_e32 v12, 23, v12
	v_or_b32_e32 v9, v11, v9
	v_lshrrev_b32_e32 v11, 9, v14
	v_sub_u32_e32 v10, v10, v12
	v_or_b32_e32 v10, v11, v10
	s_mov_b32 s2, 0x3fc90fda
	v_mul_f32_e32 v11, 0x3fc90fda, v10
	v_fma_f32 v12, v10, s2, -v11
	v_fmac_f32_e32 v12, 0x33a22168, v10
	v_fmac_f32_e32 v12, 0x3fc90fda, v9
	v_lshrrev_b32_e32 v9, 30, v17
	v_add_f32_e32 v10, v11, v12
	v_add_u32_e32 v9, v19, v9
.LBB11_80:
	s_andn2_saveexec_b64 s[2:3], s[18:19]
	s_cbranch_execz .LBB11_82
; %bb.81:
	s_mov_b32 s4, 0x3f22f983
	v_mul_f32_e64 v9, |v8|, s4
	v_rndne_f32_e32 v11, v9
	s_mov_b32 s4, 0xbfc90fda
	v_cvt_i32_f32_e32 v9, v11
	v_fma_f32 v10, v11, s4, |v8|
	v_fmac_f32_e32 v10, 0xb3a22168, v11
	v_fmac_f32_e32 v10, 0xa7c234c4, v11
.LBB11_82:
	s_or_b64 exec, exec, s[2:3]
	v_mul_f32_e32 v11, v10, v10
	v_mov_b32_e32 v12, 0x3c0881c4
	v_fmac_f32_e32 v12, 0xb94c1982, v11
	v_mov_b32_e32 v13, 0xbe2aaa9d
	v_fmac_f32_e32 v13, v11, v12
	v_mul_f32_e32 v12, v11, v13
	v_fmac_f32_e32 v10, v10, v12
	v_mov_b32_e32 v12, 0xbab64f3b
	v_fmac_f32_e32 v12, 0x37d75334, v11
	v_mov_b32_e32 v13, 0x3d2aabf7
	;; [unrolled: 2-line block ×3, first 2 shown]
	v_fmac_f32_e32 v12, v11, v13
	v_fma_f32 v11, v11, v12, 1.0
	v_and_b32_e32 v12, 1, v9
	v_lshlrev_b32_e32 v9, 30, v9
	v_cmp_eq_u32_e32 vcc, 0, v12
	v_and_b32_e32 v9, 0x80000000, v9
	v_xor_b32_e32 v3, v3, v8
	v_cndmask_b32_e32 v10, v11, v10, vcc
	v_xor_b32_e32 v3, v3, v9
	s_movk_i32 s2, 0x1f8
	v_xor_b32_e32 v3, v3, v10
	v_mov_b32_e32 v9, 0x7fc00000
	v_cmp_class_f32_e64 vcc, v8, s2
	v_cndmask_b32_e32 v3, v9, v3, vcc
	v_div_scale_f32 v9, s[2:3], v8, v8, v3
	v_div_scale_f32 v10, vcc, v3, v8, v3
	v_rcp_f32_e32 v11, v9
	v_fma_f32 v12, -v9, v11, 1.0
	v_fmac_f32_e32 v11, v12, v11
	v_mul_f32_e32 v12, v10, v11
	v_fma_f32 v13, -v9, v12, v10
	v_fmac_f32_e32 v12, v13, v11
	v_fma_f32 v9, -v9, v12, v10
	v_div_fmas_f32 v9, v9, v11, v12
	v_div_fixup_f32 v3, v9, v8, v3
                                        ; implicit-def: $vgpr8
.LBB11_83:
	s_andn2_saveexec_b64 s[2:3], s[16:17]
	s_cbranch_execz .LBB11_85
; %bb.84:
	v_mul_f32_e32 v3, v8, v8
	v_mov_b32_e32 v8, 0xb2d7322b
	v_fmac_f32_e32 v8, 0x2f309231, v3
	v_mov_b32_e32 v9, 0x3638ef1d
	v_fmac_f32_e32 v9, v3, v8
	;; [unrolled: 2-line block ×5, first 2 shown]
	v_fma_f32 v3, v3, v8, 1.0
.LBB11_85:
	s_or_b64 exec, exec, s[2:3]
.LBB11_86:
	s_or_b64 exec, exec, s[14:15]
.LBB11_87:
	s_or_b64 exec, exec, s[10:11]
	v_or_b32_e32 v8, 0x300, v0
	v_cmp_gt_i32_e32 vcc, s20, v8
	s_and_saveexec_b64 s[10:11], vcc
	s_cbranch_execnz .LBB11_94
; %bb.88:
	s_or_b64 exec, exec, s[10:11]
	s_and_saveexec_b64 s[2:3], s[0:1]
	s_xor_b64 s[0:1], exec, s[2:3]
	s_cbranch_execnz .LBB11_105
.LBB11_89:
	s_or_b64 exec, exec, s[0:1]
	v_cmp_gt_i32_e32 vcc, s20, v0
	s_and_saveexec_b64 s[0:1], vcc
	s_cbranch_execnz .LBB11_106
.LBB11_90:
	s_or_b64 exec, exec, s[0:1]
	v_cmp_gt_i32_e32 vcc, s20, v0
	s_and_saveexec_b64 s[0:1], vcc
	s_cbranch_execnz .LBB11_107
.LBB11_91:
	s_or_b64 exec, exec, s[0:1]
	v_cmp_gt_i32_e32 vcc, s20, v0
	s_and_saveexec_b64 s[0:1], vcc
	s_cbranch_execz .LBB11_93
.LBB11_92:
	v_add_u32_e32 v0, s12, v0
	v_mov_b32_e32 v1, 0
	v_lshlrev_b64 v[0:1], 2, v[0:1]
	v_mov_b32_e32 v2, s9
	v_add_co_u32_e32 v0, vcc, s8, v0
	v_addc_co_u32_e32 v1, vcc, v2, v1, vcc
	global_store_dword v[0:1], v4, off
.LBB11_93:
	s_endpgm
.LBB11_94:
	s_mov_b32 s2, 0x7f800000
	v_cmp_neq_f32_e64 s[2:3], |v7|, s2
	v_mov_b32_e32 v4, 0
	s_and_saveexec_b64 s[14:15], s[2:3]
	s_cbranch_execz .LBB11_104
; %bb.95:
	v_cmp_nlt_f32_e64 s[2:3], |v7|, 0.5
	s_and_saveexec_b64 s[4:5], s[2:3]
	s_xor_b64 s[16:17], exec, s[4:5]
	s_cbranch_execz .LBB11_101
; %bb.96:
	s_brev_b32 s2, 18
	v_and_b32_e32 v4, 0x7fffffff, v7
	v_cmp_nlt_f32_e64 s[2:3], |v7|, s2
                                        ; implicit-def: $vgpr8
                                        ; implicit-def: $vgpr9
	s_and_saveexec_b64 s[4:5], s[2:3]
	s_xor_b64 s[18:19], exec, s[4:5]
	s_cbranch_execz .LBB11_98
; %bb.97:
	v_and_b32_e32 v8, 0x7fffff, v4
	v_or_b32_e32 v17, 0x800000, v8
	s_mov_b32 s2, 0xfe5163ab
	v_mad_u64_u32 v[8:9], s[2:3], v17, s2, 0
	v_mov_b32_e32 v10, 0
	s_mov_b32 s2, 0x3c439041
	v_mad_u64_u32 v[11:12], s[2:3], v17, s2, v[9:10]
	s_mov_b32 s2, 0xdb629599
	v_not_b32_e32 v16, 63
	v_mov_b32_e32 v9, v12
	v_mad_u64_u32 v[12:13], s[2:3], v17, s2, v[9:10]
	s_mov_b32 s2, 0xf534ddc0
	v_not_b32_e32 v19, 31
	v_mov_b32_e32 v9, v13
	v_mad_u64_u32 v[13:14], s[2:3], v17, s2, v[9:10]
	v_lshrrev_b32_e32 v9, 23, v4
	v_add_u32_e32 v18, 0xffffff88, v9
	v_mov_b32_e32 v9, v14
	s_mov_b32 s2, 0xfc2757d1
	v_mad_u64_u32 v[14:15], s[2:3], v17, s2, v[9:10]
	v_cmp_lt_u32_e32 vcc, 63, v18
	v_cndmask_b32_e32 v9, 0, v16, vcc
	v_add_u32_e32 v18, v9, v18
	v_mov_b32_e32 v9, v15
	s_mov_b32 s2, 0x4e441529
	v_mad_u64_u32 v[15:16], s[2:3], v17, s2, v[9:10]
	v_cmp_lt_u32_e64 s[2:3], 31, v18
	v_cndmask_b32_e64 v9, 0, v19, s[2:3]
	v_add_u32_e32 v18, v9, v18
	v_mov_b32_e32 v9, v16
	s_mov_b32 s4, 0xa2f9836e
	v_mad_u64_u32 v[9:10], s[4:5], v17, s4, v[9:10]
	v_cmp_lt_u32_e64 s[4:5], 31, v18
	v_cndmask_b32_e64 v16, 0, v19, s[4:5]
	v_cndmask_b32_e32 v17, v15, v13, vcc
	v_cndmask_b32_e32 v9, v9, v14, vcc
	;; [unrolled: 1-line block ×3, first 2 shown]
	v_add_u32_e32 v16, v16, v18
	v_cndmask_b32_e64 v18, v9, v17, s[2:3]
	v_cndmask_b32_e64 v9, v10, v9, s[2:3]
	v_cndmask_b32_e32 v10, v14, v12, vcc
	v_cndmask_b32_e64 v14, v17, v10, s[2:3]
	v_cndmask_b32_e64 v9, v9, v18, s[4:5]
	;; [unrolled: 1-line block ×3, first 2 shown]
	v_sub_u32_e32 v17, 32, v16
	v_alignbit_b32 v18, v9, v15, v17
	v_cmp_eq_u32_e64 s[6:7], 0, v16
	v_cndmask_b32_e64 v16, v18, v9, s[6:7]
	v_cndmask_b32_e32 v9, v13, v11, vcc
	v_cndmask_b32_e64 v10, v10, v9, s[2:3]
	v_cndmask_b32_e64 v11, v14, v10, s[4:5]
	v_alignbit_b32 v13, v15, v11, v17
	v_cndmask_b32_e32 v8, v12, v8, vcc
	v_cndmask_b32_e64 v13, v13, v15, s[6:7]
	v_bfe_u32 v18, v16, 29, 1
	v_cndmask_b32_e64 v8, v9, v8, s[2:3]
	v_alignbit_b32 v14, v16, v13, 30
	v_sub_u32_e32 v19, 0, v18
	v_cndmask_b32_e64 v8, v10, v8, s[4:5]
	v_xor_b32_e32 v14, v14, v19
	v_alignbit_b32 v9, v11, v8, v17
	v_cndmask_b32_e64 v9, v9, v11, s[6:7]
	v_ffbh_u32_e32 v11, v14
	v_alignbit_b32 v10, v13, v9, 30
	v_min_u32_e32 v11, 32, v11
	v_alignbit_b32 v8, v9, v8, 30
	v_xor_b32_e32 v10, v10, v19
	v_sub_u32_e32 v12, 31, v11
	v_xor_b32_e32 v8, v8, v19
	v_alignbit_b32 v13, v14, v10, v12
	v_alignbit_b32 v8, v10, v8, v12
	;; [unrolled: 1-line block ×3, first 2 shown]
	v_ffbh_u32_e32 v10, v9
	v_min_u32_e32 v10, 32, v10
	v_lshrrev_b32_e32 v15, 29, v16
	v_not_b32_e32 v12, v10
	v_alignbit_b32 v8, v9, v8, v12
	v_lshlrev_b32_e32 v9, 31, v15
	v_or_b32_e32 v12, 0x33000000, v9
	v_add_lshl_u32 v10, v10, v11, 23
	v_lshrrev_b32_e32 v8, 9, v8
	v_sub_u32_e32 v10, v12, v10
	v_or_b32_e32 v9, 0.5, v9
	v_lshlrev_b32_e32 v11, 23, v11
	v_or_b32_e32 v8, v10, v8
	v_lshrrev_b32_e32 v10, 9, v13
	v_sub_u32_e32 v9, v9, v11
	v_or_b32_e32 v9, v10, v9
	s_mov_b32 s2, 0x3fc90fda
	v_mul_f32_e32 v10, 0x3fc90fda, v9
	v_fma_f32 v11, v9, s2, -v10
	v_fmac_f32_e32 v11, 0x33a22168, v9
	v_fmac_f32_e32 v11, 0x3fc90fda, v8
	v_lshrrev_b32_e32 v8, 30, v16
	v_add_f32_e32 v9, v10, v11
	v_add_u32_e32 v8, v18, v8
.LBB11_98:
	s_andn2_saveexec_b64 s[2:3], s[18:19]
	s_cbranch_execz .LBB11_100
; %bb.99:
	s_mov_b32 s4, 0x3f22f983
	v_mul_f32_e64 v8, |v7|, s4
	v_rndne_f32_e32 v10, v8
	s_mov_b32 s4, 0xbfc90fda
	v_cvt_i32_f32_e32 v8, v10
	v_fma_f32 v9, v10, s4, |v7|
	v_fmac_f32_e32 v9, 0xb3a22168, v10
	v_fmac_f32_e32 v9, 0xa7c234c4, v10
.LBB11_100:
	s_or_b64 exec, exec, s[2:3]
	v_mul_f32_e32 v10, v9, v9
	v_mov_b32_e32 v11, 0x3c0881c4
	v_fmac_f32_e32 v11, 0xb94c1982, v10
	v_mov_b32_e32 v12, 0xbe2aaa9d
	v_fmac_f32_e32 v12, v10, v11
	v_mul_f32_e32 v11, v10, v12
	v_fmac_f32_e32 v9, v9, v11
	v_mov_b32_e32 v11, 0xbab64f3b
	v_fmac_f32_e32 v11, 0x37d75334, v10
	v_mov_b32_e32 v12, 0x3d2aabf7
	;; [unrolled: 2-line block ×3, first 2 shown]
	v_fmac_f32_e32 v11, v10, v12
	v_fma_f32 v10, v10, v11, 1.0
	v_and_b32_e32 v11, 1, v8
	v_lshlrev_b32_e32 v8, 30, v8
	v_cmp_eq_u32_e32 vcc, 0, v11
	v_and_b32_e32 v8, 0x80000000, v8
	v_xor_b32_e32 v4, v4, v7
	v_cndmask_b32_e32 v9, v10, v9, vcc
	v_xor_b32_e32 v4, v4, v8
	s_movk_i32 s2, 0x1f8
	v_xor_b32_e32 v4, v4, v9
	v_mov_b32_e32 v8, 0x7fc00000
	v_cmp_class_f32_e64 vcc, v7, s2
	v_cndmask_b32_e32 v4, v8, v4, vcc
	v_div_scale_f32 v8, s[2:3], v7, v7, v4
	v_div_scale_f32 v9, vcc, v4, v7, v4
	v_rcp_f32_e32 v10, v8
	v_fma_f32 v11, -v8, v10, 1.0
	v_fmac_f32_e32 v10, v11, v10
	v_mul_f32_e32 v11, v9, v10
	v_fma_f32 v12, -v8, v11, v9
	v_fmac_f32_e32 v11, v12, v10
	v_fma_f32 v8, -v8, v11, v9
	v_div_fmas_f32 v8, v8, v10, v11
	v_div_fixup_f32 v4, v8, v7, v4
                                        ; implicit-def: $vgpr7
.LBB11_101:
	s_andn2_saveexec_b64 s[2:3], s[16:17]
	s_cbranch_execz .LBB11_103
; %bb.102:
	v_mul_f32_e32 v4, v7, v7
	v_mov_b32_e32 v7, 0xb2d7322b
	v_fmac_f32_e32 v7, 0x2f309231, v4
	v_mov_b32_e32 v8, 0x3638ef1d
	v_fmac_f32_e32 v8, v4, v7
	;; [unrolled: 2-line block ×5, first 2 shown]
	v_fma_f32 v4, v4, v7, 1.0
.LBB11_103:
	s_or_b64 exec, exec, s[2:3]
.LBB11_104:
	s_or_b64 exec, exec, s[14:15]
	s_or_b64 exec, exec, s[10:11]
	s_and_saveexec_b64 s[2:3], s[0:1]
	s_xor_b64 s[0:1], exec, s[2:3]
	s_cbranch_execz .LBB11_89
.LBB11_105:
	v_mov_b32_e32 v7, 0
	v_lshlrev_b64 v[6:7], 2, v[6:7]
	v_mov_b32_e32 v0, s9
	v_add_co_u32_e32 v6, vcc, s8, v6
	v_addc_co_u32_e32 v7, vcc, v0, v7, vcc
	v_mov_b32_e32 v0, v5
	global_store_dword v[6:7], v1, off
	s_or_b64 exec, exec, s[0:1]
	v_cmp_gt_i32_e32 vcc, s20, v0
	s_and_saveexec_b64 s[0:1], vcc
	s_cbranch_execz .LBB11_90
.LBB11_106:
	v_add_u32_e32 v5, s12, v0
	v_mov_b32_e32 v6, 0
	v_lshlrev_b64 v[5:6], 2, v[5:6]
	v_mov_b32_e32 v1, s9
	v_add_co_u32_e32 v5, vcc, s8, v5
	v_addc_co_u32_e32 v6, vcc, v1, v6, vcc
	v_add_u32_e32 v0, 0x100, v0
	global_store_dword v[5:6], v2, off
	s_or_b64 exec, exec, s[0:1]
	v_cmp_gt_i32_e32 vcc, s20, v0
	s_and_saveexec_b64 s[0:1], vcc
	s_cbranch_execz .LBB11_91
.LBB11_107:
	v_add_u32_e32 v1, s12, v0
	v_mov_b32_e32 v2, 0
	v_lshlrev_b64 v[1:2], 2, v[1:2]
	v_mov_b32_e32 v5, s9
	v_add_co_u32_e32 v1, vcc, s8, v1
	v_addc_co_u32_e32 v2, vcc, v5, v2, vcc
	v_add_u32_e32 v0, 0x100, v0
	global_store_dword v[1:2], v3, off
	s_or_b64 exec, exec, s[0:1]
	v_cmp_gt_i32_e32 vcc, s20, v0
	s_and_saveexec_b64 s[0:1], vcc
	s_cbranch_execnz .LBB11_92
	s_branch .LBB11_93
	.section	.rodata,"a",@progbits
	.p2align	6, 0x0
	.amdhsa_kernel _ZN2at6native29vectorized_elementwise_kernelILi2EZZZNS0_12_GLOBAL__N_131spherical_bessel_j0_kernel_cudaERNS_18TensorIteratorBaseEENKUlvE_clEvENKUlvE0_clEvEUlfE_St5arrayIPcLm2EEEEviT0_T1_
		.amdhsa_group_segment_fixed_size 0
		.amdhsa_private_segment_fixed_size 0
		.amdhsa_kernarg_size 24
		.amdhsa_user_sgpr_count 6
		.amdhsa_user_sgpr_private_segment_buffer 1
		.amdhsa_user_sgpr_dispatch_ptr 0
		.amdhsa_user_sgpr_queue_ptr 0
		.amdhsa_user_sgpr_kernarg_segment_ptr 1
		.amdhsa_user_sgpr_dispatch_id 0
		.amdhsa_user_sgpr_flat_scratch_init 0
		.amdhsa_user_sgpr_private_segment_size 0
		.amdhsa_uses_dynamic_stack 0
		.amdhsa_system_sgpr_private_segment_wavefront_offset 0
		.amdhsa_system_sgpr_workgroup_id_x 1
		.amdhsa_system_sgpr_workgroup_id_y 0
		.amdhsa_system_sgpr_workgroup_id_z 0
		.amdhsa_system_sgpr_workgroup_info 0
		.amdhsa_system_vgpr_workitem_id 0
		.amdhsa_next_free_vgpr 22
		.amdhsa_next_free_sgpr 21
		.amdhsa_reserve_vcc 1
		.amdhsa_reserve_flat_scratch 0
		.amdhsa_float_round_mode_32 0
		.amdhsa_float_round_mode_16_64 0
		.amdhsa_float_denorm_mode_32 3
		.amdhsa_float_denorm_mode_16_64 3
		.amdhsa_dx10_clamp 1
		.amdhsa_ieee_mode 1
		.amdhsa_fp16_overflow 0
		.amdhsa_exception_fp_ieee_invalid_op 0
		.amdhsa_exception_fp_denorm_src 0
		.amdhsa_exception_fp_ieee_div_zero 0
		.amdhsa_exception_fp_ieee_overflow 0
		.amdhsa_exception_fp_ieee_underflow 0
		.amdhsa_exception_fp_ieee_inexact 0
		.amdhsa_exception_int_div_zero 0
	.end_amdhsa_kernel
	.section	.text._ZN2at6native29vectorized_elementwise_kernelILi2EZZZNS0_12_GLOBAL__N_131spherical_bessel_j0_kernel_cudaERNS_18TensorIteratorBaseEENKUlvE_clEvENKUlvE0_clEvEUlfE_St5arrayIPcLm2EEEEviT0_T1_,"axG",@progbits,_ZN2at6native29vectorized_elementwise_kernelILi2EZZZNS0_12_GLOBAL__N_131spherical_bessel_j0_kernel_cudaERNS_18TensorIteratorBaseEENKUlvE_clEvENKUlvE0_clEvEUlfE_St5arrayIPcLm2EEEEviT0_T1_,comdat
.Lfunc_end11:
	.size	_ZN2at6native29vectorized_elementwise_kernelILi2EZZZNS0_12_GLOBAL__N_131spherical_bessel_j0_kernel_cudaERNS_18TensorIteratorBaseEENKUlvE_clEvENKUlvE0_clEvEUlfE_St5arrayIPcLm2EEEEviT0_T1_, .Lfunc_end11-_ZN2at6native29vectorized_elementwise_kernelILi2EZZZNS0_12_GLOBAL__N_131spherical_bessel_j0_kernel_cudaERNS_18TensorIteratorBaseEENKUlvE_clEvENKUlvE0_clEvEUlfE_St5arrayIPcLm2EEEEviT0_T1_
                                        ; -- End function
	.set _ZN2at6native29vectorized_elementwise_kernelILi2EZZZNS0_12_GLOBAL__N_131spherical_bessel_j0_kernel_cudaERNS_18TensorIteratorBaseEENKUlvE_clEvENKUlvE0_clEvEUlfE_St5arrayIPcLm2EEEEviT0_T1_.num_vgpr, 22
	.set _ZN2at6native29vectorized_elementwise_kernelILi2EZZZNS0_12_GLOBAL__N_131spherical_bessel_j0_kernel_cudaERNS_18TensorIteratorBaseEENKUlvE_clEvENKUlvE0_clEvEUlfE_St5arrayIPcLm2EEEEviT0_T1_.num_agpr, 0
	.set _ZN2at6native29vectorized_elementwise_kernelILi2EZZZNS0_12_GLOBAL__N_131spherical_bessel_j0_kernel_cudaERNS_18TensorIteratorBaseEENKUlvE_clEvENKUlvE0_clEvEUlfE_St5arrayIPcLm2EEEEviT0_T1_.numbered_sgpr, 21
	.set _ZN2at6native29vectorized_elementwise_kernelILi2EZZZNS0_12_GLOBAL__N_131spherical_bessel_j0_kernel_cudaERNS_18TensorIteratorBaseEENKUlvE_clEvENKUlvE0_clEvEUlfE_St5arrayIPcLm2EEEEviT0_T1_.num_named_barrier, 0
	.set _ZN2at6native29vectorized_elementwise_kernelILi2EZZZNS0_12_GLOBAL__N_131spherical_bessel_j0_kernel_cudaERNS_18TensorIteratorBaseEENKUlvE_clEvENKUlvE0_clEvEUlfE_St5arrayIPcLm2EEEEviT0_T1_.private_seg_size, 0
	.set _ZN2at6native29vectorized_elementwise_kernelILi2EZZZNS0_12_GLOBAL__N_131spherical_bessel_j0_kernel_cudaERNS_18TensorIteratorBaseEENKUlvE_clEvENKUlvE0_clEvEUlfE_St5arrayIPcLm2EEEEviT0_T1_.uses_vcc, 1
	.set _ZN2at6native29vectorized_elementwise_kernelILi2EZZZNS0_12_GLOBAL__N_131spherical_bessel_j0_kernel_cudaERNS_18TensorIteratorBaseEENKUlvE_clEvENKUlvE0_clEvEUlfE_St5arrayIPcLm2EEEEviT0_T1_.uses_flat_scratch, 0
	.set _ZN2at6native29vectorized_elementwise_kernelILi2EZZZNS0_12_GLOBAL__N_131spherical_bessel_j0_kernel_cudaERNS_18TensorIteratorBaseEENKUlvE_clEvENKUlvE0_clEvEUlfE_St5arrayIPcLm2EEEEviT0_T1_.has_dyn_sized_stack, 0
	.set _ZN2at6native29vectorized_elementwise_kernelILi2EZZZNS0_12_GLOBAL__N_131spherical_bessel_j0_kernel_cudaERNS_18TensorIteratorBaseEENKUlvE_clEvENKUlvE0_clEvEUlfE_St5arrayIPcLm2EEEEviT0_T1_.has_recursion, 0
	.set _ZN2at6native29vectorized_elementwise_kernelILi2EZZZNS0_12_GLOBAL__N_131spherical_bessel_j0_kernel_cudaERNS_18TensorIteratorBaseEENKUlvE_clEvENKUlvE0_clEvEUlfE_St5arrayIPcLm2EEEEviT0_T1_.has_indirect_call, 0
	.section	.AMDGPU.csdata,"",@progbits
; Kernel info:
; codeLenInByte = 9200
; TotalNumSgprs: 25
; NumVgprs: 22
; ScratchSize: 0
; MemoryBound: 0
; FloatMode: 240
; IeeeMode: 1
; LDSByteSize: 0 bytes/workgroup (compile time only)
; SGPRBlocks: 3
; VGPRBlocks: 5
; NumSGPRsForWavesPerEU: 25
; NumVGPRsForWavesPerEU: 22
; Occupancy: 10
; WaveLimiterHint : 1
; COMPUTE_PGM_RSRC2:SCRATCH_EN: 0
; COMPUTE_PGM_RSRC2:USER_SGPR: 6
; COMPUTE_PGM_RSRC2:TRAP_HANDLER: 0
; COMPUTE_PGM_RSRC2:TGID_X_EN: 1
; COMPUTE_PGM_RSRC2:TGID_Y_EN: 0
; COMPUTE_PGM_RSRC2:TGID_Z_EN: 0
; COMPUTE_PGM_RSRC2:TIDIG_COMP_CNT: 0
	.section	.text._ZN2at6native27unrolled_elementwise_kernelIZZZNS0_12_GLOBAL__N_131spherical_bessel_j0_kernel_cudaERNS_18TensorIteratorBaseEENKUlvE_clEvENKUlvE0_clEvEUlfE_St5arrayIPcLm2EELi4E23TrivialOffsetCalculatorILi1EjESC_NS0_6memory15LoadWithoutCastENSD_16StoreWithoutCastEEEviT_T0_T2_T3_T4_T5_,"axG",@progbits,_ZN2at6native27unrolled_elementwise_kernelIZZZNS0_12_GLOBAL__N_131spherical_bessel_j0_kernel_cudaERNS_18TensorIteratorBaseEENKUlvE_clEvENKUlvE0_clEvEUlfE_St5arrayIPcLm2EELi4E23TrivialOffsetCalculatorILi1EjESC_NS0_6memory15LoadWithoutCastENSD_16StoreWithoutCastEEEviT_T0_T2_T3_T4_T5_,comdat
	.globl	_ZN2at6native27unrolled_elementwise_kernelIZZZNS0_12_GLOBAL__N_131spherical_bessel_j0_kernel_cudaERNS_18TensorIteratorBaseEENKUlvE_clEvENKUlvE0_clEvEUlfE_St5arrayIPcLm2EELi4E23TrivialOffsetCalculatorILi1EjESC_NS0_6memory15LoadWithoutCastENSD_16StoreWithoutCastEEEviT_T0_T2_T3_T4_T5_ ; -- Begin function _ZN2at6native27unrolled_elementwise_kernelIZZZNS0_12_GLOBAL__N_131spherical_bessel_j0_kernel_cudaERNS_18TensorIteratorBaseEENKUlvE_clEvENKUlvE0_clEvEUlfE_St5arrayIPcLm2EELi4E23TrivialOffsetCalculatorILi1EjESC_NS0_6memory15LoadWithoutCastENSD_16StoreWithoutCastEEEviT_T0_T2_T3_T4_T5_
	.p2align	8
	.type	_ZN2at6native27unrolled_elementwise_kernelIZZZNS0_12_GLOBAL__N_131spherical_bessel_j0_kernel_cudaERNS_18TensorIteratorBaseEENKUlvE_clEvENKUlvE0_clEvEUlfE_St5arrayIPcLm2EELi4E23TrivialOffsetCalculatorILi1EjESC_NS0_6memory15LoadWithoutCastENSD_16StoreWithoutCastEEEviT_T0_T2_T3_T4_T5_,@function
_ZN2at6native27unrolled_elementwise_kernelIZZZNS0_12_GLOBAL__N_131spherical_bessel_j0_kernel_cudaERNS_18TensorIteratorBaseEENKUlvE_clEvENKUlvE0_clEvEUlfE_St5arrayIPcLm2EELi4E23TrivialOffsetCalculatorILi1EjESC_NS0_6memory15LoadWithoutCastENSD_16StoreWithoutCastEEEviT_T0_T2_T3_T4_T5_: ; @_ZN2at6native27unrolled_elementwise_kernelIZZZNS0_12_GLOBAL__N_131spherical_bessel_j0_kernel_cudaERNS_18TensorIteratorBaseEENKUlvE_clEvENKUlvE0_clEvEUlfE_St5arrayIPcLm2EELi4E23TrivialOffsetCalculatorILi1EjESC_NS0_6memory15LoadWithoutCastENSD_16StoreWithoutCastEEEviT_T0_T2_T3_T4_T5_
; %bb.0:
	s_load_dword s0, s[4:5], 0x0
	s_load_dwordx4 s[8:11], s[4:5], 0x8
	s_lshl_b32 s18, s6, 10
	v_mov_b32_e32 v9, 0
	v_or_b32_e32 v6, s18, v0
	s_waitcnt lgkmcnt(0)
	s_sub_i32 s19, s0, s18
	v_cmp_gt_i32_e64 s[0:1], s19, v0
	v_mov_b32_e32 v5, 0
	v_mov_b32_e32 v1, v0
	s_and_saveexec_b64 s[2:3], s[0:1]
	s_cbranch_execz .LBB12_2
; %bb.1:
	v_mov_b32_e32 v7, 0
	v_lshlrev_b64 v[1:2], 2, v[6:7]
	v_mov_b32_e32 v3, s11
	v_add_co_u32_e32 v1, vcc, s10, v1
	v_addc_co_u32_e32 v2, vcc, v3, v2, vcc
	global_load_dword v5, v[1:2], off
	v_or_b32_e32 v1, 0x100, v0
.LBB12_2:
	s_or_b64 exec, exec, s[2:3]
	v_cmp_gt_i32_e32 vcc, s19, v1
	s_and_saveexec_b64 s[2:3], vcc
	s_cbranch_execz .LBB12_4
; %bb.3:
	v_add_u32_e32 v2, s18, v1
	v_mov_b32_e32 v3, 0
	v_lshlrev_b64 v[2:3], 2, v[2:3]
	v_mov_b32_e32 v4, s11
	v_add_co_u32_e32 v2, vcc, s10, v2
	v_addc_co_u32_e32 v3, vcc, v4, v3, vcc
	global_load_dword v9, v[2:3], off
	v_add_u32_e32 v1, 0x100, v1
.LBB12_4:
	s_or_b64 exec, exec, s[2:3]
	v_cmp_gt_i32_e32 vcc, s19, v1
	v_mov_b32_e32 v7, 0
	v_mov_b32_e32 v8, 0
	s_and_saveexec_b64 s[2:3], vcc
	s_cbranch_execz .LBB12_6
; %bb.5:
	v_add_u32_e32 v2, s18, v1
	v_mov_b32_e32 v3, 0
	v_lshlrev_b64 v[2:3], 2, v[2:3]
	v_mov_b32_e32 v4, s11
	v_add_co_u32_e32 v2, vcc, s10, v2
	v_addc_co_u32_e32 v3, vcc, v4, v3, vcc
	global_load_dword v8, v[2:3], off
	v_add_u32_e32 v1, 0x100, v1
.LBB12_6:
	s_or_b64 exec, exec, s[2:3]
	v_cmp_gt_i32_e32 vcc, s19, v1
	s_and_saveexec_b64 s[2:3], vcc
	s_cbranch_execz .LBB12_8
; %bb.7:
	v_add_u32_e32 v1, s18, v1
	v_mov_b32_e32 v2, 0
	v_lshlrev_b64 v[1:2], 2, v[1:2]
	v_mov_b32_e32 v3, s11
	v_add_co_u32_e32 v1, vcc, s10, v1
	v_addc_co_u32_e32 v2, vcc, v3, v2, vcc
	global_load_dword v7, v[1:2], off
.LBB12_8:
	s_or_b64 exec, exec, s[2:3]
	v_mov_b32_e32 v1, 0
	v_mov_b32_e32 v2, v1
	;; [unrolled: 1-line block ×4, first 2 shown]
	s_and_saveexec_b64 s[10:11], s[0:1]
	s_cbranch_execz .LBB12_20
; %bb.9:
	s_mov_b32 s2, 0x7f800000
	s_waitcnt vmcnt(0)
	v_cmp_neq_f32_e64 s[2:3], |v5|, s2
	v_mov_b32_e32 v2, 0
	s_and_saveexec_b64 s[12:13], s[2:3]
	s_cbranch_execz .LBB12_19
; %bb.10:
	v_cmp_nlt_f32_e64 s[2:3], |v5|, 0.5
                                        ; implicit-def: $vgpr2
	s_and_saveexec_b64 s[4:5], s[2:3]
	s_xor_b64 s[14:15], exec, s[4:5]
	s_cbranch_execz .LBB12_16
; %bb.11:
	s_brev_b32 s2, 18
	v_and_b32_e32 v2, 0x7fffffff, v5
	v_cmp_nlt_f32_e64 s[2:3], |v5|, s2
                                        ; implicit-def: $vgpr3
                                        ; implicit-def: $vgpr4
	s_and_saveexec_b64 s[4:5], s[2:3]
	s_xor_b64 s[16:17], exec, s[4:5]
	s_cbranch_execz .LBB12_13
; %bb.12:
	v_and_b32_e32 v3, 0x7fffff, v2
	v_or_b32_e32 v18, 0x800000, v3
	s_mov_b32 s2, 0xfe5163ab
	v_mad_u64_u32 v[3:4], s[2:3], v18, s2, 0
	v_mov_b32_e32 v11, 0
	s_mov_b32 s2, 0x3c439041
	v_mov_b32_e32 v10, v4
	v_mad_u64_u32 v[12:13], s[2:3], v18, s2, v[10:11]
	s_mov_b32 s2, 0xdb629599
	v_lshrrev_b32_e32 v4, 23, v2
	v_mov_b32_e32 v10, v13
	v_mad_u64_u32 v[13:14], s[2:3], v18, s2, v[10:11]
	s_mov_b32 s2, 0xf534ddc0
	v_add_u32_e32 v4, 0xffffff88, v4
	v_mov_b32_e32 v10, v14
	v_mad_u64_u32 v[14:15], s[2:3], v18, s2, v[10:11]
	s_mov_b32 s2, 0xfc2757d1
	v_not_b32_e32 v17, 63
	v_mov_b32_e32 v10, v15
	v_mad_u64_u32 v[15:16], s[2:3], v18, s2, v[10:11]
	v_cmp_lt_u32_e32 vcc, 63, v4
	v_cndmask_b32_e32 v10, 0, v17, vcc
	v_add_u32_e32 v4, v10, v4
	v_mov_b32_e32 v10, v16
	s_mov_b32 s2, 0x4e441529
	v_mad_u64_u32 v[16:17], s[2:3], v18, s2, v[10:11]
	v_not_b32_e32 v19, 31
	v_cmp_lt_u32_e64 s[2:3], 31, v4
	v_cndmask_b32_e64 v10, 0, v19, s[2:3]
	v_add_u32_e32 v4, v10, v4
	v_mov_b32_e32 v10, v17
	s_mov_b32 s4, 0xa2f9836e
	v_mad_u64_u32 v[10:11], s[4:5], v18, s4, v[10:11]
	v_cmp_lt_u32_e64 s[4:5], 31, v4
	v_cndmask_b32_e64 v17, 0, v19, s[4:5]
	v_add_u32_e32 v4, v17, v4
	v_cndmask_b32_e32 v17, v16, v14, vcc
	v_cndmask_b32_e32 v10, v10, v15, vcc
	;; [unrolled: 1-line block ×3, first 2 shown]
	v_cndmask_b32_e64 v18, v10, v17, s[2:3]
	v_cndmask_b32_e64 v10, v11, v10, s[2:3]
	v_cndmask_b32_e32 v11, v15, v13, vcc
	v_cndmask_b32_e64 v15, v17, v11, s[2:3]
	v_sub_u32_e32 v17, 32, v4
	v_cmp_eq_u32_e64 s[6:7], 0, v4
	v_cndmask_b32_e32 v4, v14, v12, vcc
	v_cndmask_b32_e64 v10, v10, v18, s[4:5]
	v_cndmask_b32_e64 v16, v18, v15, s[4:5]
	;; [unrolled: 1-line block ×3, first 2 shown]
	v_alignbit_b32 v18, v10, v16, v17
	v_cndmask_b32_e64 v12, v15, v11, s[4:5]
	v_cndmask_b32_e64 v10, v18, v10, s[6:7]
	v_alignbit_b32 v14, v16, v12, v17
	v_cndmask_b32_e32 v3, v13, v3, vcc
	v_cndmask_b32_e64 v14, v14, v16, s[6:7]
	v_bfe_u32 v18, v10, 29, 1
	v_cndmask_b32_e64 v3, v4, v3, s[2:3]
	v_alignbit_b32 v15, v10, v14, 30
	v_sub_u32_e32 v19, 0, v18
	v_cndmask_b32_e64 v3, v11, v3, s[4:5]
	v_xor_b32_e32 v15, v15, v19
	v_alignbit_b32 v4, v12, v3, v17
	v_cndmask_b32_e64 v4, v4, v12, s[6:7]
	v_ffbh_u32_e32 v12, v15
	v_alignbit_b32 v11, v14, v4, 30
	v_min_u32_e32 v12, 32, v12
	v_alignbit_b32 v3, v4, v3, 30
	v_xor_b32_e32 v11, v11, v19
	v_sub_u32_e32 v13, 31, v12
	v_xor_b32_e32 v3, v3, v19
	v_alignbit_b32 v14, v15, v11, v13
	v_alignbit_b32 v3, v11, v3, v13
	;; [unrolled: 1-line block ×3, first 2 shown]
	v_ffbh_u32_e32 v11, v4
	v_min_u32_e32 v11, 32, v11
	v_lshrrev_b32_e32 v16, 29, v10
	v_not_b32_e32 v13, v11
	v_alignbit_b32 v3, v4, v3, v13
	v_lshlrev_b32_e32 v4, 31, v16
	v_or_b32_e32 v13, 0x33000000, v4
	v_add_lshl_u32 v11, v11, v12, 23
	v_lshrrev_b32_e32 v3, 9, v3
	v_sub_u32_e32 v11, v13, v11
	v_or_b32_e32 v4, 0.5, v4
	v_lshlrev_b32_e32 v12, 23, v12
	v_or_b32_e32 v3, v11, v3
	v_lshrrev_b32_e32 v11, 9, v14
	v_sub_u32_e32 v4, v4, v12
	v_or_b32_e32 v4, v11, v4
	s_mov_b32 s2, 0x3fc90fda
	v_mul_f32_e32 v11, 0x3fc90fda, v4
	v_fma_f32 v12, v4, s2, -v11
	v_fmac_f32_e32 v12, 0x33a22168, v4
	v_fmac_f32_e32 v12, 0x3fc90fda, v3
	v_lshrrev_b32_e32 v3, 30, v10
	v_add_f32_e32 v4, v11, v12
	v_add_u32_e32 v3, v18, v3
.LBB12_13:
	s_andn2_saveexec_b64 s[2:3], s[16:17]
	s_cbranch_execz .LBB12_15
; %bb.14:
	s_mov_b32 s4, 0x3f22f983
	v_mul_f32_e64 v3, |v5|, s4
	v_rndne_f32_e32 v10, v3
	s_mov_b32 s4, 0xbfc90fda
	v_cvt_i32_f32_e32 v3, v10
	v_fma_f32 v4, v10, s4, |v5|
	v_fmac_f32_e32 v4, 0xb3a22168, v10
	v_fmac_f32_e32 v4, 0xa7c234c4, v10
.LBB12_15:
	s_or_b64 exec, exec, s[2:3]
	v_mul_f32_e32 v10, v4, v4
	v_mov_b32_e32 v11, 0x3c0881c4
	v_fmac_f32_e32 v11, 0xb94c1982, v10
	v_mov_b32_e32 v12, 0xbe2aaa9d
	v_fmac_f32_e32 v12, v10, v11
	v_mul_f32_e32 v11, v10, v12
	v_fmac_f32_e32 v4, v4, v11
	v_mov_b32_e32 v11, 0xbab64f3b
	v_fmac_f32_e32 v11, 0x37d75334, v10
	v_mov_b32_e32 v12, 0x3d2aabf7
	;; [unrolled: 2-line block ×3, first 2 shown]
	v_fmac_f32_e32 v11, v10, v12
	v_fma_f32 v10, v10, v11, 1.0
	v_and_b32_e32 v11, 1, v3
	v_lshlrev_b32_e32 v3, 30, v3
	v_cmp_eq_u32_e32 vcc, 0, v11
	v_and_b32_e32 v3, 0x80000000, v3
	v_xor_b32_e32 v2, v2, v5
	v_cndmask_b32_e32 v4, v10, v4, vcc
	v_xor_b32_e32 v2, v2, v3
	s_movk_i32 s2, 0x1f8
	v_xor_b32_e32 v2, v2, v4
	v_mov_b32_e32 v3, 0x7fc00000
	v_cmp_class_f32_e64 vcc, v5, s2
	v_cndmask_b32_e32 v2, v3, v2, vcc
	v_div_scale_f32 v3, s[2:3], v5, v5, v2
	v_div_scale_f32 v4, vcc, v2, v5, v2
	v_rcp_f32_e32 v10, v3
	v_fma_f32 v11, -v3, v10, 1.0
	v_fmac_f32_e32 v10, v11, v10
	v_mul_f32_e32 v11, v4, v10
	v_fma_f32 v12, -v3, v11, v4
	v_fmac_f32_e32 v11, v12, v10
	v_fma_f32 v3, -v3, v11, v4
	v_div_fmas_f32 v3, v3, v10, v11
	v_div_fixup_f32 v2, v3, v5, v2
                                        ; implicit-def: $vgpr5
.LBB12_16:
	s_andn2_saveexec_b64 s[2:3], s[14:15]
	s_cbranch_execz .LBB12_18
; %bb.17:
	v_mul_f32_e32 v2, v5, v5
	v_mov_b32_e32 v3, 0xb2d7322b
	v_fmac_f32_e32 v3, 0x2f309231, v2
	v_mov_b32_e32 v4, 0x3638ef1d
	v_fmac_f32_e32 v4, v2, v3
	;; [unrolled: 2-line block ×5, first 2 shown]
	v_fma_f32 v2, v2, v3, 1.0
.LBB12_18:
	s_or_b64 exec, exec, s[2:3]
.LBB12_19:
	s_or_b64 exec, exec, s[12:13]
	v_mov_b32_e32 v3, v1
	v_mov_b32_e32 v4, v1
	v_mov_b32_e32 v5, v1
	v_mov_b32_e32 v1, v2
	v_mov_b32_e32 v2, v3
	v_mov_b32_e32 v3, v4
	v_mov_b32_e32 v4, v5
.LBB12_20:
	s_or_b64 exec, exec, s[10:11]
	s_waitcnt vmcnt(0)
	v_or_b32_e32 v5, 0x100, v0
	v_cmp_gt_i32_e32 vcc, s19, v5
	s_and_saveexec_b64 s[10:11], vcc
	s_cbranch_execz .LBB12_32
; %bb.21:
	s_mov_b32 s2, 0x7f800000
	v_cmp_neq_f32_e64 s[2:3], |v9|, s2
	v_mov_b32_e32 v2, 0
	s_and_saveexec_b64 s[12:13], s[2:3]
	s_cbranch_execz .LBB12_31
; %bb.22:
	v_cmp_nlt_f32_e64 s[2:3], |v9|, 0.5
	s_and_saveexec_b64 s[4:5], s[2:3]
	s_xor_b64 s[14:15], exec, s[4:5]
	s_cbranch_execz .LBB12_28
; %bb.23:
	s_brev_b32 s2, 18
	v_and_b32_e32 v2, 0x7fffffff, v9
	v_cmp_nlt_f32_e64 s[2:3], |v9|, s2
                                        ; implicit-def: $vgpr10
                                        ; implicit-def: $vgpr11
	s_and_saveexec_b64 s[4:5], s[2:3]
	s_xor_b64 s[16:17], exec, s[4:5]
	s_cbranch_execz .LBB12_25
; %bb.24:
	v_and_b32_e32 v10, 0x7fffff, v2
	v_or_b32_e32 v19, 0x800000, v10
	s_mov_b32 s2, 0xfe5163ab
	v_mad_u64_u32 v[10:11], s[2:3], v19, s2, 0
	v_mov_b32_e32 v12, 0
	s_mov_b32 s2, 0x3c439041
	v_mad_u64_u32 v[13:14], s[2:3], v19, s2, v[11:12]
	s_mov_b32 s2, 0xdb629599
	v_not_b32_e32 v18, 63
	v_mov_b32_e32 v11, v14
	v_mad_u64_u32 v[14:15], s[2:3], v19, s2, v[11:12]
	s_mov_b32 s2, 0xf534ddc0
	v_not_b32_e32 v21, 31
	v_mov_b32_e32 v11, v15
	v_mad_u64_u32 v[15:16], s[2:3], v19, s2, v[11:12]
	v_lshrrev_b32_e32 v11, 23, v2
	v_add_u32_e32 v20, 0xffffff88, v11
	v_mov_b32_e32 v11, v16
	s_mov_b32 s2, 0xfc2757d1
	v_mad_u64_u32 v[16:17], s[2:3], v19, s2, v[11:12]
	v_cmp_lt_u32_e32 vcc, 63, v20
	v_cndmask_b32_e32 v11, 0, v18, vcc
	v_add_u32_e32 v20, v11, v20
	v_mov_b32_e32 v11, v17
	s_mov_b32 s2, 0x4e441529
	v_mad_u64_u32 v[17:18], s[2:3], v19, s2, v[11:12]
	v_cmp_lt_u32_e64 s[2:3], 31, v20
	v_cndmask_b32_e64 v11, 0, v21, s[2:3]
	v_add_u32_e32 v20, v11, v20
	v_mov_b32_e32 v11, v18
	s_mov_b32 s4, 0xa2f9836e
	v_mad_u64_u32 v[11:12], s[4:5], v19, s4, v[11:12]
	v_cmp_lt_u32_e64 s[4:5], 31, v20
	v_cndmask_b32_e64 v18, 0, v21, s[4:5]
	v_cndmask_b32_e32 v19, v17, v15, vcc
	v_cndmask_b32_e32 v11, v11, v16, vcc
	;; [unrolled: 1-line block ×3, first 2 shown]
	v_add_u32_e32 v18, v18, v20
	v_cndmask_b32_e64 v20, v11, v19, s[2:3]
	v_cndmask_b32_e64 v11, v12, v11, s[2:3]
	v_cndmask_b32_e32 v12, v16, v14, vcc
	v_cndmask_b32_e64 v16, v19, v12, s[2:3]
	v_cndmask_b32_e64 v11, v11, v20, s[4:5]
	;; [unrolled: 1-line block ×3, first 2 shown]
	v_sub_u32_e32 v19, 32, v18
	v_alignbit_b32 v20, v11, v17, v19
	v_cmp_eq_u32_e64 s[6:7], 0, v18
	v_cndmask_b32_e64 v18, v20, v11, s[6:7]
	v_cndmask_b32_e32 v11, v15, v13, vcc
	v_cndmask_b32_e64 v12, v12, v11, s[2:3]
	v_cndmask_b32_e64 v13, v16, v12, s[4:5]
	v_alignbit_b32 v15, v17, v13, v19
	v_cndmask_b32_e32 v10, v14, v10, vcc
	v_cndmask_b32_e64 v15, v15, v17, s[6:7]
	v_bfe_u32 v20, v18, 29, 1
	v_cndmask_b32_e64 v10, v11, v10, s[2:3]
	v_alignbit_b32 v16, v18, v15, 30
	v_sub_u32_e32 v21, 0, v20
	v_cndmask_b32_e64 v10, v12, v10, s[4:5]
	v_xor_b32_e32 v16, v16, v21
	v_alignbit_b32 v11, v13, v10, v19
	v_cndmask_b32_e64 v11, v11, v13, s[6:7]
	v_ffbh_u32_e32 v13, v16
	v_alignbit_b32 v12, v15, v11, 30
	v_min_u32_e32 v13, 32, v13
	v_alignbit_b32 v10, v11, v10, 30
	v_xor_b32_e32 v12, v12, v21
	v_sub_u32_e32 v14, 31, v13
	v_xor_b32_e32 v10, v10, v21
	v_alignbit_b32 v15, v16, v12, v14
	v_alignbit_b32 v10, v12, v10, v14
	;; [unrolled: 1-line block ×3, first 2 shown]
	v_ffbh_u32_e32 v12, v11
	v_min_u32_e32 v12, 32, v12
	v_lshrrev_b32_e32 v17, 29, v18
	v_not_b32_e32 v14, v12
	v_alignbit_b32 v10, v11, v10, v14
	v_lshlrev_b32_e32 v11, 31, v17
	v_or_b32_e32 v14, 0x33000000, v11
	v_add_lshl_u32 v12, v12, v13, 23
	v_lshrrev_b32_e32 v10, 9, v10
	v_sub_u32_e32 v12, v14, v12
	v_or_b32_e32 v11, 0.5, v11
	v_lshlrev_b32_e32 v13, 23, v13
	v_or_b32_e32 v10, v12, v10
	v_lshrrev_b32_e32 v12, 9, v15
	v_sub_u32_e32 v11, v11, v13
	v_or_b32_e32 v11, v12, v11
	s_mov_b32 s2, 0x3fc90fda
	v_mul_f32_e32 v12, 0x3fc90fda, v11
	v_fma_f32 v13, v11, s2, -v12
	v_fmac_f32_e32 v13, 0x33a22168, v11
	v_fmac_f32_e32 v13, 0x3fc90fda, v10
	v_lshrrev_b32_e32 v10, 30, v18
	v_add_f32_e32 v11, v12, v13
	v_add_u32_e32 v10, v20, v10
.LBB12_25:
	s_andn2_saveexec_b64 s[2:3], s[16:17]
	s_cbranch_execz .LBB12_27
; %bb.26:
	s_mov_b32 s4, 0x3f22f983
	v_mul_f32_e64 v10, |v9|, s4
	v_rndne_f32_e32 v12, v10
	s_mov_b32 s4, 0xbfc90fda
	v_cvt_i32_f32_e32 v10, v12
	v_fma_f32 v11, v12, s4, |v9|
	v_fmac_f32_e32 v11, 0xb3a22168, v12
	v_fmac_f32_e32 v11, 0xa7c234c4, v12
.LBB12_27:
	s_or_b64 exec, exec, s[2:3]
	v_mul_f32_e32 v12, v11, v11
	v_mov_b32_e32 v13, 0x3c0881c4
	v_fmac_f32_e32 v13, 0xb94c1982, v12
	v_mov_b32_e32 v14, 0xbe2aaa9d
	v_fmac_f32_e32 v14, v12, v13
	v_mul_f32_e32 v13, v12, v14
	v_fmac_f32_e32 v11, v11, v13
	v_mov_b32_e32 v13, 0xbab64f3b
	v_fmac_f32_e32 v13, 0x37d75334, v12
	v_mov_b32_e32 v14, 0x3d2aabf7
	;; [unrolled: 2-line block ×3, first 2 shown]
	v_fmac_f32_e32 v13, v12, v14
	v_fma_f32 v12, v12, v13, 1.0
	v_and_b32_e32 v13, 1, v10
	v_lshlrev_b32_e32 v10, 30, v10
	v_cmp_eq_u32_e32 vcc, 0, v13
	v_and_b32_e32 v10, 0x80000000, v10
	v_xor_b32_e32 v2, v2, v9
	v_cndmask_b32_e32 v11, v12, v11, vcc
	v_xor_b32_e32 v2, v2, v10
	s_movk_i32 s2, 0x1f8
	v_xor_b32_e32 v2, v2, v11
	v_mov_b32_e32 v10, 0x7fc00000
	v_cmp_class_f32_e64 vcc, v9, s2
	v_cndmask_b32_e32 v2, v10, v2, vcc
	v_div_scale_f32 v10, s[2:3], v9, v9, v2
	v_div_scale_f32 v11, vcc, v2, v9, v2
	v_rcp_f32_e32 v12, v10
	v_fma_f32 v13, -v10, v12, 1.0
	v_fmac_f32_e32 v12, v13, v12
	v_mul_f32_e32 v13, v11, v12
	v_fma_f32 v14, -v10, v13, v11
	v_fmac_f32_e32 v13, v14, v12
	v_fma_f32 v10, -v10, v13, v11
	v_div_fmas_f32 v10, v10, v12, v13
	v_div_fixup_f32 v2, v10, v9, v2
                                        ; implicit-def: $vgpr9
.LBB12_28:
	s_andn2_saveexec_b64 s[2:3], s[14:15]
	s_cbranch_execz .LBB12_30
; %bb.29:
	v_mul_f32_e32 v2, v9, v9
	v_mov_b32_e32 v9, 0xb2d7322b
	v_fmac_f32_e32 v9, 0x2f309231, v2
	v_mov_b32_e32 v10, 0x3638ef1d
	v_fmac_f32_e32 v10, v2, v9
	;; [unrolled: 2-line block ×5, first 2 shown]
	v_fma_f32 v2, v2, v9, 1.0
.LBB12_30:
	s_or_b64 exec, exec, s[2:3]
.LBB12_31:
	s_or_b64 exec, exec, s[12:13]
.LBB12_32:
	s_or_b64 exec, exec, s[10:11]
	v_or_b32_e32 v9, 0x200, v0
	v_cmp_gt_i32_e32 vcc, s19, v9
	s_and_saveexec_b64 s[10:11], vcc
	s_cbranch_execz .LBB12_44
; %bb.33:
	s_mov_b32 s2, 0x7f800000
	v_cmp_neq_f32_e64 s[2:3], |v8|, s2
	v_mov_b32_e32 v3, 0
	s_and_saveexec_b64 s[12:13], s[2:3]
	s_cbranch_execz .LBB12_43
; %bb.34:
	v_cmp_nlt_f32_e64 s[2:3], |v8|, 0.5
	s_and_saveexec_b64 s[4:5], s[2:3]
	s_xor_b64 s[14:15], exec, s[4:5]
	s_cbranch_execz .LBB12_40
; %bb.35:
	s_brev_b32 s2, 18
	v_and_b32_e32 v3, 0x7fffffff, v8
	v_cmp_nlt_f32_e64 s[2:3], |v8|, s2
                                        ; implicit-def: $vgpr9
                                        ; implicit-def: $vgpr10
	s_and_saveexec_b64 s[4:5], s[2:3]
	s_xor_b64 s[16:17], exec, s[4:5]
	s_cbranch_execz .LBB12_37
; %bb.36:
	v_and_b32_e32 v9, 0x7fffff, v3
	v_or_b32_e32 v18, 0x800000, v9
	s_mov_b32 s2, 0xfe5163ab
	v_mad_u64_u32 v[9:10], s[2:3], v18, s2, 0
	v_mov_b32_e32 v11, 0
	s_mov_b32 s2, 0x3c439041
	v_mad_u64_u32 v[12:13], s[2:3], v18, s2, v[10:11]
	s_mov_b32 s2, 0xdb629599
	v_not_b32_e32 v17, 63
	v_mov_b32_e32 v10, v13
	v_mad_u64_u32 v[13:14], s[2:3], v18, s2, v[10:11]
	s_mov_b32 s2, 0xf534ddc0
	v_not_b32_e32 v20, 31
	v_mov_b32_e32 v10, v14
	v_mad_u64_u32 v[14:15], s[2:3], v18, s2, v[10:11]
	v_lshrrev_b32_e32 v10, 23, v3
	v_add_u32_e32 v19, 0xffffff88, v10
	v_mov_b32_e32 v10, v15
	s_mov_b32 s2, 0xfc2757d1
	v_mad_u64_u32 v[15:16], s[2:3], v18, s2, v[10:11]
	v_cmp_lt_u32_e32 vcc, 63, v19
	v_cndmask_b32_e32 v10, 0, v17, vcc
	v_add_u32_e32 v19, v10, v19
	v_mov_b32_e32 v10, v16
	s_mov_b32 s2, 0x4e441529
	v_mad_u64_u32 v[16:17], s[2:3], v18, s2, v[10:11]
	v_cmp_lt_u32_e64 s[2:3], 31, v19
	v_cndmask_b32_e64 v10, 0, v20, s[2:3]
	v_add_u32_e32 v19, v10, v19
	v_mov_b32_e32 v10, v17
	s_mov_b32 s4, 0xa2f9836e
	v_mad_u64_u32 v[10:11], s[4:5], v18, s4, v[10:11]
	v_cmp_lt_u32_e64 s[4:5], 31, v19
	v_cndmask_b32_e64 v17, 0, v20, s[4:5]
	v_cndmask_b32_e32 v18, v16, v14, vcc
	v_cndmask_b32_e32 v10, v10, v15, vcc
	v_cndmask_b32_e32 v11, v11, v16, vcc
	v_add_u32_e32 v17, v17, v19
	v_cndmask_b32_e64 v19, v10, v18, s[2:3]
	v_cndmask_b32_e64 v10, v11, v10, s[2:3]
	v_cndmask_b32_e32 v11, v15, v13, vcc
	v_cndmask_b32_e64 v15, v18, v11, s[2:3]
	v_cndmask_b32_e64 v10, v10, v19, s[4:5]
	;; [unrolled: 1-line block ×3, first 2 shown]
	v_sub_u32_e32 v18, 32, v17
	v_alignbit_b32 v19, v10, v16, v18
	v_cmp_eq_u32_e64 s[6:7], 0, v17
	v_cndmask_b32_e64 v17, v19, v10, s[6:7]
	v_cndmask_b32_e32 v10, v14, v12, vcc
	v_cndmask_b32_e64 v11, v11, v10, s[2:3]
	v_cndmask_b32_e64 v12, v15, v11, s[4:5]
	v_alignbit_b32 v14, v16, v12, v18
	v_cndmask_b32_e32 v9, v13, v9, vcc
	v_cndmask_b32_e64 v14, v14, v16, s[6:7]
	v_bfe_u32 v19, v17, 29, 1
	v_cndmask_b32_e64 v9, v10, v9, s[2:3]
	v_alignbit_b32 v15, v17, v14, 30
	v_sub_u32_e32 v20, 0, v19
	v_cndmask_b32_e64 v9, v11, v9, s[4:5]
	v_xor_b32_e32 v15, v15, v20
	v_alignbit_b32 v10, v12, v9, v18
	v_cndmask_b32_e64 v10, v10, v12, s[6:7]
	v_ffbh_u32_e32 v12, v15
	v_alignbit_b32 v11, v14, v10, 30
	v_min_u32_e32 v12, 32, v12
	v_alignbit_b32 v9, v10, v9, 30
	v_xor_b32_e32 v11, v11, v20
	v_sub_u32_e32 v13, 31, v12
	v_xor_b32_e32 v9, v9, v20
	v_alignbit_b32 v14, v15, v11, v13
	v_alignbit_b32 v9, v11, v9, v13
	;; [unrolled: 1-line block ×3, first 2 shown]
	v_ffbh_u32_e32 v11, v10
	v_min_u32_e32 v11, 32, v11
	v_lshrrev_b32_e32 v16, 29, v17
	v_not_b32_e32 v13, v11
	v_alignbit_b32 v9, v10, v9, v13
	v_lshlrev_b32_e32 v10, 31, v16
	v_or_b32_e32 v13, 0x33000000, v10
	v_add_lshl_u32 v11, v11, v12, 23
	v_lshrrev_b32_e32 v9, 9, v9
	v_sub_u32_e32 v11, v13, v11
	v_or_b32_e32 v10, 0.5, v10
	v_lshlrev_b32_e32 v12, 23, v12
	v_or_b32_e32 v9, v11, v9
	v_lshrrev_b32_e32 v11, 9, v14
	v_sub_u32_e32 v10, v10, v12
	v_or_b32_e32 v10, v11, v10
	s_mov_b32 s2, 0x3fc90fda
	v_mul_f32_e32 v11, 0x3fc90fda, v10
	v_fma_f32 v12, v10, s2, -v11
	v_fmac_f32_e32 v12, 0x33a22168, v10
	v_fmac_f32_e32 v12, 0x3fc90fda, v9
	v_lshrrev_b32_e32 v9, 30, v17
	v_add_f32_e32 v10, v11, v12
	v_add_u32_e32 v9, v19, v9
.LBB12_37:
	s_andn2_saveexec_b64 s[2:3], s[16:17]
	s_cbranch_execz .LBB12_39
; %bb.38:
	s_mov_b32 s4, 0x3f22f983
	v_mul_f32_e64 v9, |v8|, s4
	v_rndne_f32_e32 v11, v9
	s_mov_b32 s4, 0xbfc90fda
	v_cvt_i32_f32_e32 v9, v11
	v_fma_f32 v10, v11, s4, |v8|
	v_fmac_f32_e32 v10, 0xb3a22168, v11
	v_fmac_f32_e32 v10, 0xa7c234c4, v11
.LBB12_39:
	s_or_b64 exec, exec, s[2:3]
	v_mul_f32_e32 v11, v10, v10
	v_mov_b32_e32 v12, 0x3c0881c4
	v_fmac_f32_e32 v12, 0xb94c1982, v11
	v_mov_b32_e32 v13, 0xbe2aaa9d
	v_fmac_f32_e32 v13, v11, v12
	v_mul_f32_e32 v12, v11, v13
	v_fmac_f32_e32 v10, v10, v12
	v_mov_b32_e32 v12, 0xbab64f3b
	v_fmac_f32_e32 v12, 0x37d75334, v11
	v_mov_b32_e32 v13, 0x3d2aabf7
	v_fmac_f32_e32 v13, v11, v12
	v_mov_b32_e32 v12, 0xbf000004
	v_fmac_f32_e32 v12, v11, v13
	v_fma_f32 v11, v11, v12, 1.0
	v_and_b32_e32 v12, 1, v9
	v_lshlrev_b32_e32 v9, 30, v9
	v_cmp_eq_u32_e32 vcc, 0, v12
	v_and_b32_e32 v9, 0x80000000, v9
	v_xor_b32_e32 v3, v3, v8
	v_cndmask_b32_e32 v10, v11, v10, vcc
	v_xor_b32_e32 v3, v3, v9
	s_movk_i32 s2, 0x1f8
	v_xor_b32_e32 v3, v3, v10
	v_mov_b32_e32 v9, 0x7fc00000
	v_cmp_class_f32_e64 vcc, v8, s2
	v_cndmask_b32_e32 v3, v9, v3, vcc
	v_div_scale_f32 v9, s[2:3], v8, v8, v3
	v_div_scale_f32 v10, vcc, v3, v8, v3
	v_rcp_f32_e32 v11, v9
	v_fma_f32 v12, -v9, v11, 1.0
	v_fmac_f32_e32 v11, v12, v11
	v_mul_f32_e32 v12, v10, v11
	v_fma_f32 v13, -v9, v12, v10
	v_fmac_f32_e32 v12, v13, v11
	v_fma_f32 v9, -v9, v12, v10
	v_div_fmas_f32 v9, v9, v11, v12
	v_div_fixup_f32 v3, v9, v8, v3
                                        ; implicit-def: $vgpr8
.LBB12_40:
	s_andn2_saveexec_b64 s[2:3], s[14:15]
	s_cbranch_execz .LBB12_42
; %bb.41:
	v_mul_f32_e32 v3, v8, v8
	v_mov_b32_e32 v8, 0xb2d7322b
	v_fmac_f32_e32 v8, 0x2f309231, v3
	v_mov_b32_e32 v9, 0x3638ef1d
	v_fmac_f32_e32 v9, v3, v8
	;; [unrolled: 2-line block ×5, first 2 shown]
	v_fma_f32 v3, v3, v8, 1.0
.LBB12_42:
	s_or_b64 exec, exec, s[2:3]
.LBB12_43:
	s_or_b64 exec, exec, s[12:13]
.LBB12_44:
	s_or_b64 exec, exec, s[10:11]
	v_or_b32_e32 v8, 0x300, v0
	v_cmp_gt_i32_e32 vcc, s19, v8
	s_and_saveexec_b64 s[10:11], vcc
	s_cbranch_execnz .LBB12_50
; %bb.45:
	s_or_b64 exec, exec, s[10:11]
	s_and_saveexec_b64 s[2:3], s[0:1]
	s_xor_b64 s[0:1], exec, s[2:3]
	s_cbranch_execnz .LBB12_61
.LBB12_46:
	s_or_b64 exec, exec, s[0:1]
	v_cmp_gt_i32_e32 vcc, s19, v0
	s_and_saveexec_b64 s[0:1], vcc
	s_cbranch_execnz .LBB12_62
.LBB12_47:
	s_or_b64 exec, exec, s[0:1]
	v_cmp_gt_i32_e32 vcc, s19, v0
	s_and_saveexec_b64 s[0:1], vcc
	s_cbranch_execnz .LBB12_63
.LBB12_48:
	s_or_b64 exec, exec, s[0:1]
	v_cmp_gt_i32_e32 vcc, s19, v0
	s_and_saveexec_b64 s[0:1], vcc
	s_cbranch_execnz .LBB12_64
.LBB12_49:
	s_endpgm
.LBB12_50:
	s_mov_b32 s2, 0x7f800000
	v_cmp_neq_f32_e64 s[2:3], |v7|, s2
	v_mov_b32_e32 v4, 0
	s_and_saveexec_b64 s[12:13], s[2:3]
	s_cbranch_execz .LBB12_60
; %bb.51:
	v_cmp_nlt_f32_e64 s[2:3], |v7|, 0.5
	s_and_saveexec_b64 s[4:5], s[2:3]
	s_xor_b64 s[14:15], exec, s[4:5]
	s_cbranch_execz .LBB12_57
; %bb.52:
	s_brev_b32 s2, 18
	v_and_b32_e32 v4, 0x7fffffff, v7
	v_cmp_nlt_f32_e64 s[2:3], |v7|, s2
                                        ; implicit-def: $vgpr8
                                        ; implicit-def: $vgpr9
	s_and_saveexec_b64 s[4:5], s[2:3]
	s_xor_b64 s[16:17], exec, s[4:5]
	s_cbranch_execz .LBB12_54
; %bb.53:
	v_and_b32_e32 v8, 0x7fffff, v4
	v_or_b32_e32 v17, 0x800000, v8
	s_mov_b32 s2, 0xfe5163ab
	v_mad_u64_u32 v[8:9], s[2:3], v17, s2, 0
	v_mov_b32_e32 v10, 0
	s_mov_b32 s2, 0x3c439041
	v_mad_u64_u32 v[11:12], s[2:3], v17, s2, v[9:10]
	s_mov_b32 s2, 0xdb629599
	v_not_b32_e32 v16, 63
	v_mov_b32_e32 v9, v12
	v_mad_u64_u32 v[12:13], s[2:3], v17, s2, v[9:10]
	s_mov_b32 s2, 0xf534ddc0
	v_not_b32_e32 v19, 31
	v_mov_b32_e32 v9, v13
	v_mad_u64_u32 v[13:14], s[2:3], v17, s2, v[9:10]
	v_lshrrev_b32_e32 v9, 23, v4
	v_add_u32_e32 v18, 0xffffff88, v9
	v_mov_b32_e32 v9, v14
	s_mov_b32 s2, 0xfc2757d1
	v_mad_u64_u32 v[14:15], s[2:3], v17, s2, v[9:10]
	v_cmp_lt_u32_e32 vcc, 63, v18
	v_cndmask_b32_e32 v9, 0, v16, vcc
	v_add_u32_e32 v18, v9, v18
	v_mov_b32_e32 v9, v15
	s_mov_b32 s2, 0x4e441529
	v_mad_u64_u32 v[15:16], s[2:3], v17, s2, v[9:10]
	v_cmp_lt_u32_e64 s[2:3], 31, v18
	v_cndmask_b32_e64 v9, 0, v19, s[2:3]
	v_add_u32_e32 v18, v9, v18
	v_mov_b32_e32 v9, v16
	s_mov_b32 s4, 0xa2f9836e
	v_mad_u64_u32 v[9:10], s[4:5], v17, s4, v[9:10]
	v_cmp_lt_u32_e64 s[4:5], 31, v18
	v_cndmask_b32_e64 v16, 0, v19, s[4:5]
	v_cndmask_b32_e32 v17, v15, v13, vcc
	v_cndmask_b32_e32 v9, v9, v14, vcc
	;; [unrolled: 1-line block ×3, first 2 shown]
	v_add_u32_e32 v16, v16, v18
	v_cndmask_b32_e64 v18, v9, v17, s[2:3]
	v_cndmask_b32_e64 v9, v10, v9, s[2:3]
	v_cndmask_b32_e32 v10, v14, v12, vcc
	v_cndmask_b32_e64 v14, v17, v10, s[2:3]
	v_cndmask_b32_e64 v9, v9, v18, s[4:5]
	;; [unrolled: 1-line block ×3, first 2 shown]
	v_sub_u32_e32 v17, 32, v16
	v_alignbit_b32 v18, v9, v15, v17
	v_cmp_eq_u32_e64 s[6:7], 0, v16
	v_cndmask_b32_e64 v16, v18, v9, s[6:7]
	v_cndmask_b32_e32 v9, v13, v11, vcc
	v_cndmask_b32_e64 v10, v10, v9, s[2:3]
	v_cndmask_b32_e64 v11, v14, v10, s[4:5]
	v_alignbit_b32 v13, v15, v11, v17
	v_cndmask_b32_e32 v8, v12, v8, vcc
	v_cndmask_b32_e64 v13, v13, v15, s[6:7]
	v_bfe_u32 v18, v16, 29, 1
	v_cndmask_b32_e64 v8, v9, v8, s[2:3]
	v_alignbit_b32 v14, v16, v13, 30
	v_sub_u32_e32 v19, 0, v18
	v_cndmask_b32_e64 v8, v10, v8, s[4:5]
	v_xor_b32_e32 v14, v14, v19
	v_alignbit_b32 v9, v11, v8, v17
	v_cndmask_b32_e64 v9, v9, v11, s[6:7]
	v_ffbh_u32_e32 v11, v14
	v_alignbit_b32 v10, v13, v9, 30
	v_min_u32_e32 v11, 32, v11
	v_alignbit_b32 v8, v9, v8, 30
	v_xor_b32_e32 v10, v10, v19
	v_sub_u32_e32 v12, 31, v11
	v_xor_b32_e32 v8, v8, v19
	v_alignbit_b32 v13, v14, v10, v12
	v_alignbit_b32 v8, v10, v8, v12
	;; [unrolled: 1-line block ×3, first 2 shown]
	v_ffbh_u32_e32 v10, v9
	v_min_u32_e32 v10, 32, v10
	v_lshrrev_b32_e32 v15, 29, v16
	v_not_b32_e32 v12, v10
	v_alignbit_b32 v8, v9, v8, v12
	v_lshlrev_b32_e32 v9, 31, v15
	v_or_b32_e32 v12, 0x33000000, v9
	v_add_lshl_u32 v10, v10, v11, 23
	v_lshrrev_b32_e32 v8, 9, v8
	v_sub_u32_e32 v10, v12, v10
	v_or_b32_e32 v9, 0.5, v9
	v_lshlrev_b32_e32 v11, 23, v11
	v_or_b32_e32 v8, v10, v8
	v_lshrrev_b32_e32 v10, 9, v13
	v_sub_u32_e32 v9, v9, v11
	v_or_b32_e32 v9, v10, v9
	s_mov_b32 s2, 0x3fc90fda
	v_mul_f32_e32 v10, 0x3fc90fda, v9
	v_fma_f32 v11, v9, s2, -v10
	v_fmac_f32_e32 v11, 0x33a22168, v9
	v_fmac_f32_e32 v11, 0x3fc90fda, v8
	v_lshrrev_b32_e32 v8, 30, v16
	v_add_f32_e32 v9, v10, v11
	v_add_u32_e32 v8, v18, v8
.LBB12_54:
	s_andn2_saveexec_b64 s[2:3], s[16:17]
	s_cbranch_execz .LBB12_56
; %bb.55:
	s_mov_b32 s4, 0x3f22f983
	v_mul_f32_e64 v8, |v7|, s4
	v_rndne_f32_e32 v10, v8
	s_mov_b32 s4, 0xbfc90fda
	v_cvt_i32_f32_e32 v8, v10
	v_fma_f32 v9, v10, s4, |v7|
	v_fmac_f32_e32 v9, 0xb3a22168, v10
	v_fmac_f32_e32 v9, 0xa7c234c4, v10
.LBB12_56:
	s_or_b64 exec, exec, s[2:3]
	v_mul_f32_e32 v10, v9, v9
	v_mov_b32_e32 v11, 0x3c0881c4
	v_fmac_f32_e32 v11, 0xb94c1982, v10
	v_mov_b32_e32 v12, 0xbe2aaa9d
	v_fmac_f32_e32 v12, v10, v11
	v_mul_f32_e32 v11, v10, v12
	v_fmac_f32_e32 v9, v9, v11
	v_mov_b32_e32 v11, 0xbab64f3b
	v_fmac_f32_e32 v11, 0x37d75334, v10
	v_mov_b32_e32 v12, 0x3d2aabf7
	v_fmac_f32_e32 v12, v10, v11
	v_mov_b32_e32 v11, 0xbf000004
	v_fmac_f32_e32 v11, v10, v12
	v_fma_f32 v10, v10, v11, 1.0
	v_and_b32_e32 v11, 1, v8
	v_lshlrev_b32_e32 v8, 30, v8
	v_cmp_eq_u32_e32 vcc, 0, v11
	v_and_b32_e32 v8, 0x80000000, v8
	v_xor_b32_e32 v4, v4, v7
	v_cndmask_b32_e32 v9, v10, v9, vcc
	v_xor_b32_e32 v4, v4, v8
	s_movk_i32 s2, 0x1f8
	v_xor_b32_e32 v4, v4, v9
	v_mov_b32_e32 v8, 0x7fc00000
	v_cmp_class_f32_e64 vcc, v7, s2
	v_cndmask_b32_e32 v4, v8, v4, vcc
	v_div_scale_f32 v8, s[2:3], v7, v7, v4
	v_div_scale_f32 v9, vcc, v4, v7, v4
	v_rcp_f32_e32 v10, v8
	v_fma_f32 v11, -v8, v10, 1.0
	v_fmac_f32_e32 v10, v11, v10
	v_mul_f32_e32 v11, v9, v10
	v_fma_f32 v12, -v8, v11, v9
	v_fmac_f32_e32 v11, v12, v10
	v_fma_f32 v8, -v8, v11, v9
	v_div_fmas_f32 v8, v8, v10, v11
	v_div_fixup_f32 v4, v8, v7, v4
                                        ; implicit-def: $vgpr7
.LBB12_57:
	s_andn2_saveexec_b64 s[2:3], s[14:15]
	s_cbranch_execz .LBB12_59
; %bb.58:
	v_mul_f32_e32 v4, v7, v7
	v_mov_b32_e32 v7, 0xb2d7322b
	v_fmac_f32_e32 v7, 0x2f309231, v4
	v_mov_b32_e32 v8, 0x3638ef1d
	v_fmac_f32_e32 v8, v4, v7
	v_mov_b32_e32 v7, 0xb9500d01
	v_fmac_f32_e32 v7, v4, v8
	v_mov_b32_e32 v8, 0x3c088889
	v_fmac_f32_e32 v8, v4, v7
	v_mov_b32_e32 v7, 0xbe2aaaab
	v_fmac_f32_e32 v7, v4, v8
	v_fma_f32 v4, v4, v7, 1.0
.LBB12_59:
	s_or_b64 exec, exec, s[2:3]
.LBB12_60:
	s_or_b64 exec, exec, s[12:13]
	s_or_b64 exec, exec, s[10:11]
	s_and_saveexec_b64 s[2:3], s[0:1]
	s_xor_b64 s[0:1], exec, s[2:3]
	s_cbranch_execz .LBB12_46
.LBB12_61:
	v_mov_b32_e32 v7, 0
	v_lshlrev_b64 v[6:7], 2, v[6:7]
	v_mov_b32_e32 v0, s9
	v_add_co_u32_e32 v6, vcc, s8, v6
	v_addc_co_u32_e32 v7, vcc, v0, v7, vcc
	v_mov_b32_e32 v0, v5
	global_store_dword v[6:7], v1, off
	s_or_b64 exec, exec, s[0:1]
	v_cmp_gt_i32_e32 vcc, s19, v0
	s_and_saveexec_b64 s[0:1], vcc
	s_cbranch_execz .LBB12_47
.LBB12_62:
	v_add_u32_e32 v5, 0x100, v0
	v_add_u32_e32 v0, s18, v0
	v_mov_b32_e32 v1, 0
	v_lshlrev_b64 v[0:1], 2, v[0:1]
	v_mov_b32_e32 v6, s9
	v_add_co_u32_e32 v0, vcc, s8, v0
	v_addc_co_u32_e32 v1, vcc, v6, v1, vcc
	global_store_dword v[0:1], v2, off
	v_mov_b32_e32 v0, v5
	s_or_b64 exec, exec, s[0:1]
	v_cmp_gt_i32_e32 vcc, s19, v0
	s_and_saveexec_b64 s[0:1], vcc
	s_cbranch_execz .LBB12_48
.LBB12_63:
	v_add_u32_e32 v2, 0x100, v0
	v_add_u32_e32 v0, s18, v0
	v_mov_b32_e32 v1, 0
	v_lshlrev_b64 v[0:1], 2, v[0:1]
	v_mov_b32_e32 v5, s9
	v_add_co_u32_e32 v0, vcc, s8, v0
	v_addc_co_u32_e32 v1, vcc, v5, v1, vcc
	global_store_dword v[0:1], v3, off
	v_mov_b32_e32 v0, v2
	s_or_b64 exec, exec, s[0:1]
	v_cmp_gt_i32_e32 vcc, s19, v0
	s_and_saveexec_b64 s[0:1], vcc
	s_cbranch_execz .LBB12_49
.LBB12_64:
	v_add_u32_e32 v0, s18, v0
	v_mov_b32_e32 v1, 0
	v_lshlrev_b64 v[0:1], 2, v[0:1]
	v_mov_b32_e32 v2, s9
	v_add_co_u32_e32 v0, vcc, s8, v0
	v_addc_co_u32_e32 v1, vcc, v2, v1, vcc
	global_store_dword v[0:1], v4, off
	s_endpgm
	.section	.rodata,"a",@progbits
	.p2align	6, 0x0
	.amdhsa_kernel _ZN2at6native27unrolled_elementwise_kernelIZZZNS0_12_GLOBAL__N_131spherical_bessel_j0_kernel_cudaERNS_18TensorIteratorBaseEENKUlvE_clEvENKUlvE0_clEvEUlfE_St5arrayIPcLm2EELi4E23TrivialOffsetCalculatorILi1EjESC_NS0_6memory15LoadWithoutCastENSD_16StoreWithoutCastEEEviT_T0_T2_T3_T4_T5_
		.amdhsa_group_segment_fixed_size 0
		.amdhsa_private_segment_fixed_size 0
		.amdhsa_kernarg_size 28
		.amdhsa_user_sgpr_count 6
		.amdhsa_user_sgpr_private_segment_buffer 1
		.amdhsa_user_sgpr_dispatch_ptr 0
		.amdhsa_user_sgpr_queue_ptr 0
		.amdhsa_user_sgpr_kernarg_segment_ptr 1
		.amdhsa_user_sgpr_dispatch_id 0
		.amdhsa_user_sgpr_flat_scratch_init 0
		.amdhsa_user_sgpr_private_segment_size 0
		.amdhsa_uses_dynamic_stack 0
		.amdhsa_system_sgpr_private_segment_wavefront_offset 0
		.amdhsa_system_sgpr_workgroup_id_x 1
		.amdhsa_system_sgpr_workgroup_id_y 0
		.amdhsa_system_sgpr_workgroup_id_z 0
		.amdhsa_system_sgpr_workgroup_info 0
		.amdhsa_system_vgpr_workitem_id 0
		.amdhsa_next_free_vgpr 22
		.amdhsa_next_free_sgpr 20
		.amdhsa_reserve_vcc 1
		.amdhsa_reserve_flat_scratch 0
		.amdhsa_float_round_mode_32 0
		.amdhsa_float_round_mode_16_64 0
		.amdhsa_float_denorm_mode_32 3
		.amdhsa_float_denorm_mode_16_64 3
		.amdhsa_dx10_clamp 1
		.amdhsa_ieee_mode 1
		.amdhsa_fp16_overflow 0
		.amdhsa_exception_fp_ieee_invalid_op 0
		.amdhsa_exception_fp_denorm_src 0
		.amdhsa_exception_fp_ieee_div_zero 0
		.amdhsa_exception_fp_ieee_overflow 0
		.amdhsa_exception_fp_ieee_underflow 0
		.amdhsa_exception_fp_ieee_inexact 0
		.amdhsa_exception_int_div_zero 0
	.end_amdhsa_kernel
	.section	.text._ZN2at6native27unrolled_elementwise_kernelIZZZNS0_12_GLOBAL__N_131spherical_bessel_j0_kernel_cudaERNS_18TensorIteratorBaseEENKUlvE_clEvENKUlvE0_clEvEUlfE_St5arrayIPcLm2EELi4E23TrivialOffsetCalculatorILi1EjESC_NS0_6memory15LoadWithoutCastENSD_16StoreWithoutCastEEEviT_T0_T2_T3_T4_T5_,"axG",@progbits,_ZN2at6native27unrolled_elementwise_kernelIZZZNS0_12_GLOBAL__N_131spherical_bessel_j0_kernel_cudaERNS_18TensorIteratorBaseEENKUlvE_clEvENKUlvE0_clEvEUlfE_St5arrayIPcLm2EELi4E23TrivialOffsetCalculatorILi1EjESC_NS0_6memory15LoadWithoutCastENSD_16StoreWithoutCastEEEviT_T0_T2_T3_T4_T5_,comdat
.Lfunc_end12:
	.size	_ZN2at6native27unrolled_elementwise_kernelIZZZNS0_12_GLOBAL__N_131spherical_bessel_j0_kernel_cudaERNS_18TensorIteratorBaseEENKUlvE_clEvENKUlvE0_clEvEUlfE_St5arrayIPcLm2EELi4E23TrivialOffsetCalculatorILi1EjESC_NS0_6memory15LoadWithoutCastENSD_16StoreWithoutCastEEEviT_T0_T2_T3_T4_T5_, .Lfunc_end12-_ZN2at6native27unrolled_elementwise_kernelIZZZNS0_12_GLOBAL__N_131spherical_bessel_j0_kernel_cudaERNS_18TensorIteratorBaseEENKUlvE_clEvENKUlvE0_clEvEUlfE_St5arrayIPcLm2EELi4E23TrivialOffsetCalculatorILi1EjESC_NS0_6memory15LoadWithoutCastENSD_16StoreWithoutCastEEEviT_T0_T2_T3_T4_T5_
                                        ; -- End function
	.set _ZN2at6native27unrolled_elementwise_kernelIZZZNS0_12_GLOBAL__N_131spherical_bessel_j0_kernel_cudaERNS_18TensorIteratorBaseEENKUlvE_clEvENKUlvE0_clEvEUlfE_St5arrayIPcLm2EELi4E23TrivialOffsetCalculatorILi1EjESC_NS0_6memory15LoadWithoutCastENSD_16StoreWithoutCastEEEviT_T0_T2_T3_T4_T5_.num_vgpr, 22
	.set _ZN2at6native27unrolled_elementwise_kernelIZZZNS0_12_GLOBAL__N_131spherical_bessel_j0_kernel_cudaERNS_18TensorIteratorBaseEENKUlvE_clEvENKUlvE0_clEvEUlfE_St5arrayIPcLm2EELi4E23TrivialOffsetCalculatorILi1EjESC_NS0_6memory15LoadWithoutCastENSD_16StoreWithoutCastEEEviT_T0_T2_T3_T4_T5_.num_agpr, 0
	.set _ZN2at6native27unrolled_elementwise_kernelIZZZNS0_12_GLOBAL__N_131spherical_bessel_j0_kernel_cudaERNS_18TensorIteratorBaseEENKUlvE_clEvENKUlvE0_clEvEUlfE_St5arrayIPcLm2EELi4E23TrivialOffsetCalculatorILi1EjESC_NS0_6memory15LoadWithoutCastENSD_16StoreWithoutCastEEEviT_T0_T2_T3_T4_T5_.numbered_sgpr, 20
	.set _ZN2at6native27unrolled_elementwise_kernelIZZZNS0_12_GLOBAL__N_131spherical_bessel_j0_kernel_cudaERNS_18TensorIteratorBaseEENKUlvE_clEvENKUlvE0_clEvEUlfE_St5arrayIPcLm2EELi4E23TrivialOffsetCalculatorILi1EjESC_NS0_6memory15LoadWithoutCastENSD_16StoreWithoutCastEEEviT_T0_T2_T3_T4_T5_.num_named_barrier, 0
	.set _ZN2at6native27unrolled_elementwise_kernelIZZZNS0_12_GLOBAL__N_131spherical_bessel_j0_kernel_cudaERNS_18TensorIteratorBaseEENKUlvE_clEvENKUlvE0_clEvEUlfE_St5arrayIPcLm2EELi4E23TrivialOffsetCalculatorILi1EjESC_NS0_6memory15LoadWithoutCastENSD_16StoreWithoutCastEEEviT_T0_T2_T3_T4_T5_.private_seg_size, 0
	.set _ZN2at6native27unrolled_elementwise_kernelIZZZNS0_12_GLOBAL__N_131spherical_bessel_j0_kernel_cudaERNS_18TensorIteratorBaseEENKUlvE_clEvENKUlvE0_clEvEUlfE_St5arrayIPcLm2EELi4E23TrivialOffsetCalculatorILi1EjESC_NS0_6memory15LoadWithoutCastENSD_16StoreWithoutCastEEEviT_T0_T2_T3_T4_T5_.uses_vcc, 1
	.set _ZN2at6native27unrolled_elementwise_kernelIZZZNS0_12_GLOBAL__N_131spherical_bessel_j0_kernel_cudaERNS_18TensorIteratorBaseEENKUlvE_clEvENKUlvE0_clEvEUlfE_St5arrayIPcLm2EELi4E23TrivialOffsetCalculatorILi1EjESC_NS0_6memory15LoadWithoutCastENSD_16StoreWithoutCastEEEviT_T0_T2_T3_T4_T5_.uses_flat_scratch, 0
	.set _ZN2at6native27unrolled_elementwise_kernelIZZZNS0_12_GLOBAL__N_131spherical_bessel_j0_kernel_cudaERNS_18TensorIteratorBaseEENKUlvE_clEvENKUlvE0_clEvEUlfE_St5arrayIPcLm2EELi4E23TrivialOffsetCalculatorILi1EjESC_NS0_6memory15LoadWithoutCastENSD_16StoreWithoutCastEEEviT_T0_T2_T3_T4_T5_.has_dyn_sized_stack, 0
	.set _ZN2at6native27unrolled_elementwise_kernelIZZZNS0_12_GLOBAL__N_131spherical_bessel_j0_kernel_cudaERNS_18TensorIteratorBaseEENKUlvE_clEvENKUlvE0_clEvEUlfE_St5arrayIPcLm2EELi4E23TrivialOffsetCalculatorILi1EjESC_NS0_6memory15LoadWithoutCastENSD_16StoreWithoutCastEEEviT_T0_T2_T3_T4_T5_.has_recursion, 0
	.set _ZN2at6native27unrolled_elementwise_kernelIZZZNS0_12_GLOBAL__N_131spherical_bessel_j0_kernel_cudaERNS_18TensorIteratorBaseEENKUlvE_clEvENKUlvE0_clEvEUlfE_St5arrayIPcLm2EELi4E23TrivialOffsetCalculatorILi1EjESC_NS0_6memory15LoadWithoutCastENSD_16StoreWithoutCastEEEviT_T0_T2_T3_T4_T5_.has_indirect_call, 0
	.section	.AMDGPU.csdata,"",@progbits
; Kernel info:
; codeLenInByte = 4932
; TotalNumSgprs: 24
; NumVgprs: 22
; ScratchSize: 0
; MemoryBound: 0
; FloatMode: 240
; IeeeMode: 1
; LDSByteSize: 0 bytes/workgroup (compile time only)
; SGPRBlocks: 2
; VGPRBlocks: 5
; NumSGPRsForWavesPerEU: 24
; NumVGPRsForWavesPerEU: 22
; Occupancy: 10
; WaveLimiterHint : 0
; COMPUTE_PGM_RSRC2:SCRATCH_EN: 0
; COMPUTE_PGM_RSRC2:USER_SGPR: 6
; COMPUTE_PGM_RSRC2:TRAP_HANDLER: 0
; COMPUTE_PGM_RSRC2:TGID_X_EN: 1
; COMPUTE_PGM_RSRC2:TGID_Y_EN: 0
; COMPUTE_PGM_RSRC2:TGID_Z_EN: 0
; COMPUTE_PGM_RSRC2:TIDIG_COMP_CNT: 0
	.section	.text._ZN2at6native32elementwise_kernel_manual_unrollILi128ELi4EZNS0_22gpu_kernel_impl_nocastIZZZNS0_12_GLOBAL__N_131spherical_bessel_j0_kernel_cudaERNS_18TensorIteratorBaseEENKUlvE_clEvENKUlvE0_clEvEUlfE_EEvS5_RKT_EUlibE_EEviT1_,"axG",@progbits,_ZN2at6native32elementwise_kernel_manual_unrollILi128ELi4EZNS0_22gpu_kernel_impl_nocastIZZZNS0_12_GLOBAL__N_131spherical_bessel_j0_kernel_cudaERNS_18TensorIteratorBaseEENKUlvE_clEvENKUlvE0_clEvEUlfE_EEvS5_RKT_EUlibE_EEviT1_,comdat
	.globl	_ZN2at6native32elementwise_kernel_manual_unrollILi128ELi4EZNS0_22gpu_kernel_impl_nocastIZZZNS0_12_GLOBAL__N_131spherical_bessel_j0_kernel_cudaERNS_18TensorIteratorBaseEENKUlvE_clEvENKUlvE0_clEvEUlfE_EEvS5_RKT_EUlibE_EEviT1_ ; -- Begin function _ZN2at6native32elementwise_kernel_manual_unrollILi128ELi4EZNS0_22gpu_kernel_impl_nocastIZZZNS0_12_GLOBAL__N_131spherical_bessel_j0_kernel_cudaERNS_18TensorIteratorBaseEENKUlvE_clEvENKUlvE0_clEvEUlfE_EEvS5_RKT_EUlibE_EEviT1_
	.p2align	8
	.type	_ZN2at6native32elementwise_kernel_manual_unrollILi128ELi4EZNS0_22gpu_kernel_impl_nocastIZZZNS0_12_GLOBAL__N_131spherical_bessel_j0_kernel_cudaERNS_18TensorIteratorBaseEENKUlvE_clEvENKUlvE0_clEvEUlfE_EEvS5_RKT_EUlibE_EEviT1_,@function
_ZN2at6native32elementwise_kernel_manual_unrollILi128ELi4EZNS0_22gpu_kernel_impl_nocastIZZZNS0_12_GLOBAL__N_131spherical_bessel_j0_kernel_cudaERNS_18TensorIteratorBaseEENKUlvE_clEvENKUlvE0_clEvEUlfE_EEvS5_RKT_EUlibE_EEviT1_: ; @_ZN2at6native32elementwise_kernel_manual_unrollILi128ELi4EZNS0_22gpu_kernel_impl_nocastIZZZNS0_12_GLOBAL__N_131spherical_bessel_j0_kernel_cudaERNS_18TensorIteratorBaseEENKUlvE_clEvENKUlvE0_clEvEUlfE_EEvS5_RKT_EUlibE_EEviT1_
; %bb.0:
	s_load_dword s55, s[4:5], 0x0
	s_load_dword s33, s[4:5], 0x8
	s_add_u32 s34, s4, 8
	s_addc_u32 s35, s5, 0
	v_lshl_or_b32 v4, s6, 9, v0
	v_or_b32_e32 v10, 0x180, v4
	s_waitcnt lgkmcnt(0)
	s_add_i32 s54, s33, -1
	s_cmp_gt_u32 s54, 1
	v_cmp_le_i32_e32 vcc, s55, v10
	s_cselect_b64 s[36:37], -1, 0
	s_and_saveexec_b64 s[0:1], vcc
	s_xor_b64 s[38:39], exec, s[0:1]
	s_cbranch_execz .LBB13_7
; %bb.1:
	s_load_dwordx4 s[24:27], s[34:35], 0x4
	s_load_dwordx2 s[40:41], s[34:35], 0x14
	s_load_dwordx4 s[20:23], s[34:35], 0xc4
	s_load_dwordx4 s[16:19], s[34:35], 0x148
	s_cmp_lg_u32 s33, 0
	s_cselect_b64 s[46:47], -1, 0
	s_add_u32 s44, s34, 0xc4
	s_addc_u32 s45, s35, 0
	s_min_u32 s56, s54, 15
	s_cmp_gt_u32 s33, 1
	s_cselect_b64 s[42:43], -1, 0
	v_cmp_gt_i32_e32 vcc, s55, v4
	s_and_saveexec_b64 s[48:49], vcc
	s_cbranch_execz .LBB13_14
; %bb.2:
	s_andn2_b64 vcc, exec, s[36:37]
	s_cbranch_vccnz .LBB13_21
; %bb.3:
	s_andn2_b64 vcc, exec, s[46:47]
	s_cbranch_vccnz .LBB13_113
; %bb.4:
	s_add_i32 s58, s56, 1
	s_cmp_eq_u32 s54, 2
	s_cbranch_scc1 .LBB13_115
; %bb.5:
	s_and_b32 s57, s58, 28
	v_mov_b32_e32 v2, 0
	s_mov_b32 s59, 0
	s_mov_b64 s[50:51], s[34:35]
	s_mov_b64 s[52:53], s[44:45]
	v_mov_b32_e32 v0, 0
	v_mov_b32_e32 v1, v4
.LBB13_6:                               ; =>This Inner Loop Header: Depth=1
	s_load_dwordx8 s[8:15], s[50:51], 0x4
	s_load_dwordx4 s[28:31], s[50:51], 0x24
	s_load_dwordx8 s[0:7], s[52:53], 0x0
	s_add_u32 s50, s50, 48
	s_addc_u32 s51, s51, 0
	s_waitcnt lgkmcnt(0)
	v_mul_hi_u32 v3, s9, v1
	s_add_i32 s59, s59, 4
	s_add_u32 s52, s52, 32
	s_addc_u32 s53, s53, 0
	v_add_u32_e32 v3, v1, v3
	v_lshrrev_b32_e32 v3, s10, v3
	v_mul_lo_u32 v5, v3, s8
	v_mul_hi_u32 v6, s12, v3
	s_cmp_lg_u32 s57, s59
	v_sub_u32_e32 v1, v1, v5
	v_add_u32_e32 v5, v3, v6
	v_mul_lo_u32 v6, v1, s0
	v_mul_lo_u32 v7, v1, s1
	v_lshrrev_b32_e32 v1, s13, v5
	v_mul_lo_u32 v5, v1, s11
	v_mul_hi_u32 v8, s15, v1
	v_sub_u32_e32 v3, v3, v5
	v_add_u32_e32 v5, v1, v8
	v_lshrrev_b32_e32 v5, s28, v5
	v_mul_hi_u32 v9, s30, v5
	v_mul_lo_u32 v10, v5, s14
	v_mul_lo_u32 v8, v3, s2
	;; [unrolled: 1-line block ×3, first 2 shown]
	v_sub_u32_e32 v10, v1, v10
	v_add_u32_e32 v1, v5, v9
	v_lshrrev_b32_e32 v1, s31, v1
	v_mul_lo_u32 v9, v1, s29
	v_mul_lo_u32 v11, v10, s4
	;; [unrolled: 1-line block ×3, first 2 shown]
	v_add3_u32 v0, v6, v0, v8
	v_sub_u32_e32 v5, v5, v9
	v_mul_lo_u32 v9, v5, s6
	v_mul_lo_u32 v5, v5, s7
	v_add3_u32 v2, v7, v2, v3
	v_add3_u32 v0, v11, v0, v9
	;; [unrolled: 1-line block ×3, first 2 shown]
	s_cbranch_scc1 .LBB13_6
	s_branch .LBB13_116
.LBB13_7:
	s_andn2_saveexec_b64 s[0:1], s[38:39]
	s_cbranch_execz .LBB13_161
.LBB13_8:
	v_cndmask_b32_e64 v0, 0, 1, s[36:37]
	v_cmp_ne_u32_e64 s[0:1], 1, v0
	s_andn2_b64 vcc, exec, s[36:37]
	s_cbranch_vccnz .LBB13_20
; %bb.9:
	s_cmp_lg_u32 s33, 0
	s_waitcnt lgkmcnt(0)
	s_mov_b32 s26, 0
	s_cbranch_scc0 .LBB13_23
; %bb.10:
	s_min_u32 s27, s54, 15
	s_add_i32 s27, s27, 1
	s_cmp_eq_u32 s54, 2
	s_cbranch_scc1 .LBB13_24
; %bb.11:
	s_and_b32 s26, s27, 28
	s_add_u32 s2, s34, 0xc4
	s_addc_u32 s3, s35, 0
	v_mov_b32_e32 v5, 0
	s_mov_b32 s28, 0
	s_mov_b64 s[24:25], s[34:35]
	v_mov_b32_e32 v0, 0
	v_mov_b32_e32 v1, v4
.LBB13_12:                              ; =>This Inner Loop Header: Depth=1
	s_load_dwordx8 s[12:19], s[24:25], 0x4
	s_load_dwordx4 s[20:23], s[24:25], 0x24
	s_load_dwordx8 s[4:11], s[2:3], 0x0
	s_add_u32 s24, s24, 48
	s_addc_u32 s25, s25, 0
	s_waitcnt lgkmcnt(0)
	v_mul_hi_u32 v2, s13, v1
	s_add_i32 s28, s28, 4
	s_add_u32 s2, s2, 32
	s_addc_u32 s3, s3, 0
	v_add_u32_e32 v2, v1, v2
	v_lshrrev_b32_e32 v2, s14, v2
	v_mul_lo_u32 v3, v2, s12
	v_mul_hi_u32 v6, s16, v2
	s_cmp_lg_u32 s26, s28
	v_sub_u32_e32 v1, v1, v3
	v_add_u32_e32 v3, v2, v6
	v_mul_lo_u32 v6, v1, s4
	v_mul_lo_u32 v7, v1, s5
	v_lshrrev_b32_e32 v1, s17, v3
	v_mul_lo_u32 v3, v1, s15
	v_mul_hi_u32 v8, s19, v1
	v_sub_u32_e32 v2, v2, v3
	v_add_u32_e32 v3, v1, v8
	v_lshrrev_b32_e32 v3, s20, v3
	v_mul_hi_u32 v9, s22, v3
	v_mul_lo_u32 v11, v3, s18
	v_mul_lo_u32 v8, v2, s6
	;; [unrolled: 1-line block ×3, first 2 shown]
	v_sub_u32_e32 v11, v1, v11
	v_add_u32_e32 v1, v3, v9
	v_lshrrev_b32_e32 v1, s23, v1
	v_mul_lo_u32 v9, v1, s21
	v_mul_lo_u32 v12, v11, s8
	;; [unrolled: 1-line block ×3, first 2 shown]
	v_add3_u32 v0, v6, v0, v8
	v_sub_u32_e32 v3, v3, v9
	v_mul_lo_u32 v9, v3, s10
	v_mul_lo_u32 v3, v3, s11
	v_add3_u32 v2, v7, v5, v2
	v_add3_u32 v0, v12, v0, v9
	v_add3_u32 v5, v11, v2, v3
	s_cbranch_scc1 .LBB13_12
; %bb.13:
	s_and_b32 s6, s27, 3
	s_cmp_eq_u32 s6, 0
	s_cbranch_scc0 .LBB13_25
	s_branch .LBB13_27
.LBB13_14:
	s_or_b64 exec, exec, s[48:49]
	v_cmp_gt_i32_e32 vcc, s55, v4
	s_and_saveexec_b64 s[48:49], vcc
	s_cbranch_execz .LBB13_133
.LBB13_15:
	s_andn2_b64 vcc, exec, s[36:37]
	s_cbranch_vccnz .LBB13_22
; %bb.16:
	s_andn2_b64 vcc, exec, s[46:47]
	s_cbranch_vccnz .LBB13_114
; %bb.17:
	s_add_i32 s58, s56, 1
	s_cmp_eq_u32 s54, 2
	s_cbranch_scc1 .LBB13_141
; %bb.18:
	s_and_b32 s57, s58, 28
	v_mov_b32_e32 v2, 0
	s_mov_b32 s59, 0
	s_mov_b64 s[50:51], s[34:35]
	s_mov_b64 s[52:53], s[44:45]
	v_mov_b32_e32 v0, 0
	v_mov_b32_e32 v1, v4
.LBB13_19:                              ; =>This Inner Loop Header: Depth=1
	s_load_dwordx8 s[8:15], s[50:51], 0x4
	s_load_dwordx4 s[28:31], s[50:51], 0x24
	s_load_dwordx8 s[0:7], s[52:53], 0x0
	s_add_u32 s50, s50, 48
	s_addc_u32 s51, s51, 0
	s_waitcnt lgkmcnt(0)
	v_mul_hi_u32 v3, s9, v1
	s_add_i32 s59, s59, 4
	s_add_u32 s52, s52, 32
	s_addc_u32 s53, s53, 0
	v_add_u32_e32 v3, v1, v3
	v_lshrrev_b32_e32 v3, s10, v3
	v_mul_lo_u32 v5, v3, s8
	v_mul_hi_u32 v6, s12, v3
	s_cmp_eq_u32 s57, s59
	v_sub_u32_e32 v1, v1, v5
	v_add_u32_e32 v5, v3, v6
	v_mul_lo_u32 v6, v1, s0
	v_mul_lo_u32 v7, v1, s1
	v_lshrrev_b32_e32 v1, s13, v5
	v_mul_lo_u32 v5, v1, s11
	v_mul_hi_u32 v8, s15, v1
	v_sub_u32_e32 v3, v3, v5
	v_add_u32_e32 v5, v1, v8
	v_lshrrev_b32_e32 v5, s28, v5
	v_mul_hi_u32 v9, s30, v5
	v_mul_lo_u32 v10, v5, s14
	v_mul_lo_u32 v8, v3, s2
	;; [unrolled: 1-line block ×3, first 2 shown]
	v_sub_u32_e32 v10, v1, v10
	v_add_u32_e32 v1, v5, v9
	v_lshrrev_b32_e32 v1, s31, v1
	v_mul_lo_u32 v9, v1, s29
	v_mul_lo_u32 v11, v10, s4
	;; [unrolled: 1-line block ×3, first 2 shown]
	v_add3_u32 v0, v6, v0, v8
	v_sub_u32_e32 v5, v5, v9
	v_mul_lo_u32 v9, v5, s6
	v_mul_lo_u32 v5, v5, s7
	v_add3_u32 v2, v7, v2, v3
	v_add3_u32 v0, v11, v0, v9
	v_add3_u32 v2, v10, v2, v5
	s_cbranch_scc0 .LBB13_19
	s_branch .LBB13_142
.LBB13_20:
                                        ; implicit-def: $vgpr0
                                        ; implicit-def: $vgpr5
	s_branch .LBB13_28
.LBB13_21:
                                        ; implicit-def: $vgpr0
                                        ; implicit-def: $vgpr2
	s_branch .LBB13_120
.LBB13_22:
                                        ; implicit-def: $vgpr0
                                        ; implicit-def: $vgpr2
	s_branch .LBB13_146
.LBB13_23:
	v_mov_b32_e32 v0, 0
	v_mov_b32_e32 v5, 0
	s_branch .LBB13_27
.LBB13_24:
	v_mov_b32_e32 v0, 0
	v_mov_b32_e32 v5, 0
	;; [unrolled: 1-line block ×3, first 2 shown]
	s_and_b32 s6, s27, 3
	s_cmp_eq_u32 s6, 0
	s_cbranch_scc1 .LBB13_27
.LBB13_25:
	s_lshl_b32 s2, s26, 3
	s_add_u32 s2, s34, s2
	s_addc_u32 s3, s35, 0
	s_add_u32 s2, s2, 0xc4
	s_addc_u32 s3, s3, 0
	s_mul_i32 s4, s26, 12
	s_add_u32 s4, s34, s4
	s_addc_u32 s5, s35, 0
.LBB13_26:                              ; =>This Inner Loop Header: Depth=1
	s_load_dwordx2 s[8:9], s[4:5], 0x4
	s_load_dword s7, s[4:5], 0xc
	s_load_dwordx2 s[10:11], s[2:3], 0x0
	s_add_u32 s4, s4, 12
	s_addc_u32 s5, s5, 0
	s_waitcnt lgkmcnt(0)
	v_mul_hi_u32 v2, s9, v1
	s_add_u32 s2, s2, 8
	s_addc_u32 s3, s3, 0
	s_add_i32 s6, s6, -1
	v_add_u32_e32 v2, v1, v2
	v_lshrrev_b32_e32 v2, s7, v2
	v_mul_lo_u32 v3, v2, s8
	s_cmp_lg_u32 s6, 0
	v_sub_u32_e32 v3, v1, v3
	v_mad_u64_u32 v[0:1], s[8:9], v3, s10, v[0:1]
	v_mad_u64_u32 v[5:6], s[8:9], v3, s11, v[5:6]
	v_mov_b32_e32 v1, v2
	s_cbranch_scc1 .LBB13_26
.LBB13_27:
	s_cbranch_execnz .LBB13_30
.LBB13_28:
	s_load_dwordx4 s[4:7], s[34:35], 0x4
	s_load_dwordx2 s[2:3], s[34:35], 0xc4
	s_cmp_lt_u32 s33, 2
	s_waitcnt lgkmcnt(0)
	v_mul_hi_u32 v0, s5, v4
	v_add_u32_e32 v0, v4, v0
	v_lshrrev_b32_e32 v1, s6, v0
	v_mul_lo_u32 v0, v1, s4
	v_sub_u32_e32 v2, v4, v0
	v_mul_lo_u32 v0, v2, s2
	v_mul_lo_u32 v5, v2, s3
	s_cbranch_scc1 .LBB13_30
; %bb.29:
	s_load_dwordx4 s[4:7], s[34:35], 0x10
	s_load_dwordx2 s[2:3], s[34:35], 0xcc
	s_waitcnt lgkmcnt(0)
	v_mul_hi_u32 v2, s5, v1
	v_add_u32_e32 v2, v1, v2
	v_lshrrev_b32_e32 v2, s6, v2
	v_mul_lo_u32 v2, v2, s4
	v_sub_u32_e32 v2, v1, v2
	v_mad_u64_u32 v[0:1], s[4:5], v2, s2, v[0:1]
	v_mad_u64_u32 v[5:6], s[2:3], v2, s3, v[5:6]
.LBB13_30:
	s_and_b64 vcc, exec, s[0:1]
	v_add_u32_e32 v3, 0x80, v4
	s_cbranch_vccnz .LBB13_36
; %bb.31:
	s_cmp_lg_u32 s33, 0
	s_waitcnt lgkmcnt(0)
	s_mov_b32 s26, 0
	s_cbranch_scc0 .LBB13_37
; %bb.32:
	s_min_u32 s27, s54, 15
	s_add_i32 s27, s27, 1
	s_cmp_eq_u32 s54, 2
	s_cbranch_scc1 .LBB13_38
; %bb.33:
	s_and_b32 s26, s27, 28
	s_add_u32 s2, s34, 0xc4
	s_addc_u32 s3, s35, 0
	v_mov_b32_e32 v6, 0
	s_mov_b32 s28, 0
	s_mov_b64 s[24:25], s[34:35]
	v_mov_b32_e32 v1, 0
	v_mov_b32_e32 v2, v3
.LBB13_34:                              ; =>This Inner Loop Header: Depth=1
	s_load_dwordx8 s[12:19], s[24:25], 0x4
	s_load_dwordx4 s[20:23], s[24:25], 0x24
	s_load_dwordx8 s[4:11], s[2:3], 0x0
	s_add_u32 s24, s24, 48
	s_addc_u32 s25, s25, 0
	s_waitcnt lgkmcnt(0)
	v_mul_hi_u32 v7, s13, v2
	s_add_i32 s28, s28, 4
	s_add_u32 s2, s2, 32
	s_addc_u32 s3, s3, 0
	v_add_u32_e32 v7, v2, v7
	v_lshrrev_b32_e32 v7, s14, v7
	v_mul_lo_u32 v8, v7, s12
	v_mul_hi_u32 v9, s16, v7
	s_cmp_lg_u32 s26, s28
	v_sub_u32_e32 v2, v2, v8
	v_add_u32_e32 v8, v7, v9
	v_mul_lo_u32 v9, v2, s4
	v_mul_lo_u32 v11, v2, s5
	v_lshrrev_b32_e32 v2, s17, v8
	v_mul_lo_u32 v8, v2, s15
	v_mul_hi_u32 v12, s19, v2
	v_sub_u32_e32 v7, v7, v8
	v_add_u32_e32 v8, v2, v12
	v_lshrrev_b32_e32 v8, s20, v8
	v_mul_hi_u32 v13, s22, v8
	v_mul_lo_u32 v14, v8, s18
	v_mul_lo_u32 v12, v7, s6
	v_mul_lo_u32 v7, v7, s7
	v_sub_u32_e32 v14, v2, v14
	v_add_u32_e32 v2, v8, v13
	v_lshrrev_b32_e32 v2, s23, v2
	v_mul_lo_u32 v13, v2, s21
	v_mul_lo_u32 v15, v14, s8
	;; [unrolled: 1-line block ×3, first 2 shown]
	v_add3_u32 v1, v9, v1, v12
	v_sub_u32_e32 v8, v8, v13
	v_mul_lo_u32 v13, v8, s10
	v_mul_lo_u32 v8, v8, s11
	v_add3_u32 v6, v11, v6, v7
	v_add3_u32 v1, v15, v1, v13
	;; [unrolled: 1-line block ×3, first 2 shown]
	s_cbranch_scc1 .LBB13_34
; %bb.35:
	s_and_b32 s6, s27, 3
	s_cmp_eq_u32 s6, 0
	s_cbranch_scc0 .LBB13_39
	s_branch .LBB13_41
.LBB13_36:
                                        ; implicit-def: $vgpr1
                                        ; implicit-def: $vgpr6
	s_branch .LBB13_42
.LBB13_37:
	v_mov_b32_e32 v1, 0
	v_mov_b32_e32 v6, 0
	s_branch .LBB13_41
.LBB13_38:
	v_mov_b32_e32 v1, 0
	v_mov_b32_e32 v6, 0
	v_mov_b32_e32 v2, v3
	s_and_b32 s6, s27, 3
	s_cmp_eq_u32 s6, 0
	s_cbranch_scc1 .LBB13_41
.LBB13_39:
	s_lshl_b32 s2, s26, 3
	s_add_u32 s2, s34, s2
	s_addc_u32 s3, s35, 0
	s_add_u32 s2, s2, 0xc4
	s_addc_u32 s3, s3, 0
	s_mul_i32 s4, s26, 12
	s_add_u32 s4, s34, s4
	s_addc_u32 s5, s35, 0
.LBB13_40:                              ; =>This Inner Loop Header: Depth=1
	s_load_dwordx2 s[8:9], s[4:5], 0x4
	s_load_dword s7, s[4:5], 0xc
	s_load_dwordx2 s[10:11], s[2:3], 0x0
	s_add_u32 s4, s4, 12
	s_addc_u32 s5, s5, 0
	s_waitcnt lgkmcnt(0)
	v_mul_hi_u32 v7, s9, v2
	s_add_u32 s2, s2, 8
	s_addc_u32 s3, s3, 0
	s_add_i32 s6, s6, -1
	v_add_u32_e32 v7, v2, v7
	v_lshrrev_b32_e32 v8, s7, v7
	v_mul_lo_u32 v7, v8, s8
	s_cmp_lg_u32 s6, 0
	v_sub_u32_e32 v7, v2, v7
	v_mad_u64_u32 v[1:2], s[8:9], v7, s10, v[1:2]
	v_mad_u64_u32 v[6:7], s[8:9], v7, s11, v[6:7]
	v_mov_b32_e32 v2, v8
	s_cbranch_scc1 .LBB13_40
.LBB13_41:
	s_cbranch_execnz .LBB13_44
.LBB13_42:
	s_load_dwordx4 s[4:7], s[34:35], 0x4
	s_load_dwordx2 s[2:3], s[34:35], 0xc4
	s_cmp_lt_u32 s33, 2
	s_waitcnt lgkmcnt(0)
	v_mul_hi_u32 v1, s5, v3
	v_add_u32_e32 v1, v3, v1
	v_lshrrev_b32_e32 v2, s6, v1
	v_mul_lo_u32 v1, v2, s4
	v_sub_u32_e32 v3, v3, v1
	v_mul_lo_u32 v1, v3, s2
	v_mul_lo_u32 v6, v3, s3
	s_cbranch_scc1 .LBB13_44
; %bb.43:
	s_load_dwordx4 s[4:7], s[34:35], 0x10
	s_load_dwordx2 s[2:3], s[34:35], 0xcc
	s_waitcnt lgkmcnt(0)
	v_mul_hi_u32 v3, s5, v2
	v_add_u32_e32 v3, v2, v3
	v_lshrrev_b32_e32 v3, s6, v3
	v_mul_lo_u32 v3, v3, s4
	v_sub_u32_e32 v3, v2, v3
	v_mad_u64_u32 v[1:2], s[4:5], v3, s2, v[1:2]
	v_mad_u64_u32 v[6:7], s[2:3], v3, s3, v[6:7]
.LBB13_44:
	s_and_b64 vcc, exec, s[0:1]
	v_add_u32_e32 v4, 0x100, v4
	s_cbranch_vccnz .LBB13_50
; %bb.45:
	s_cmp_lg_u32 s33, 0
	s_waitcnt lgkmcnt(0)
	s_mov_b32 s26, 0
	s_cbranch_scc0 .LBB13_51
; %bb.46:
	s_min_u32 s27, s54, 15
	s_add_i32 s27, s27, 1
	s_cmp_eq_u32 s54, 2
	s_cbranch_scc1 .LBB13_52
; %bb.47:
	s_and_b32 s26, s27, 28
	s_add_u32 s2, s34, 0xc4
	s_addc_u32 s3, s35, 0
	v_mov_b32_e32 v7, 0
	s_mov_b32 s28, 0
	s_mov_b64 s[24:25], s[34:35]
	v_mov_b32_e32 v2, 0
	v_mov_b32_e32 v3, v4
.LBB13_48:                              ; =>This Inner Loop Header: Depth=1
	s_load_dwordx8 s[12:19], s[24:25], 0x4
	s_load_dwordx4 s[20:23], s[24:25], 0x24
	s_load_dwordx8 s[4:11], s[2:3], 0x0
	s_add_u32 s24, s24, 48
	s_addc_u32 s25, s25, 0
	s_waitcnt lgkmcnt(0)
	v_mul_hi_u32 v8, s13, v3
	s_add_i32 s28, s28, 4
	s_add_u32 s2, s2, 32
	s_addc_u32 s3, s3, 0
	v_add_u32_e32 v8, v3, v8
	v_lshrrev_b32_e32 v8, s14, v8
	v_mul_lo_u32 v9, v8, s12
	v_mul_hi_u32 v11, s16, v8
	s_cmp_lg_u32 s26, s28
	v_sub_u32_e32 v3, v3, v9
	v_add_u32_e32 v9, v8, v11
	v_mul_lo_u32 v11, v3, s4
	v_mul_lo_u32 v12, v3, s5
	v_lshrrev_b32_e32 v3, s17, v9
	v_mul_lo_u32 v9, v3, s15
	v_mul_hi_u32 v13, s19, v3
	v_sub_u32_e32 v8, v8, v9
	v_add_u32_e32 v9, v3, v13
	v_lshrrev_b32_e32 v9, s20, v9
	v_mul_hi_u32 v14, s22, v9
	v_mul_lo_u32 v15, v9, s18
	v_mul_lo_u32 v13, v8, s6
	;; [unrolled: 1-line block ×3, first 2 shown]
	v_sub_u32_e32 v15, v3, v15
	v_add_u32_e32 v3, v9, v14
	v_lshrrev_b32_e32 v3, s23, v3
	v_mul_lo_u32 v14, v3, s21
	v_mul_lo_u32 v16, v15, s8
	v_mul_lo_u32 v15, v15, s9
	v_add3_u32 v2, v11, v2, v13
	v_sub_u32_e32 v9, v9, v14
	v_mul_lo_u32 v14, v9, s10
	v_mul_lo_u32 v9, v9, s11
	v_add3_u32 v7, v12, v7, v8
	v_add3_u32 v2, v16, v2, v14
	;; [unrolled: 1-line block ×3, first 2 shown]
	s_cbranch_scc1 .LBB13_48
; %bb.49:
	s_and_b32 s6, s27, 3
	s_cmp_eq_u32 s6, 0
	s_cbranch_scc0 .LBB13_53
	s_branch .LBB13_55
.LBB13_50:
                                        ; implicit-def: $vgpr2
                                        ; implicit-def: $vgpr7
	s_branch .LBB13_56
.LBB13_51:
	v_mov_b32_e32 v2, 0
	v_mov_b32_e32 v7, 0
	s_branch .LBB13_55
.LBB13_52:
	v_mov_b32_e32 v2, 0
	v_mov_b32_e32 v7, 0
	;; [unrolled: 1-line block ×3, first 2 shown]
	s_and_b32 s6, s27, 3
	s_cmp_eq_u32 s6, 0
	s_cbranch_scc1 .LBB13_55
.LBB13_53:
	s_lshl_b32 s2, s26, 3
	s_add_u32 s2, s34, s2
	s_addc_u32 s3, s35, 0
	s_add_u32 s2, s2, 0xc4
	s_addc_u32 s3, s3, 0
	s_mul_i32 s4, s26, 12
	s_add_u32 s4, s34, s4
	s_addc_u32 s5, s35, 0
.LBB13_54:                              ; =>This Inner Loop Header: Depth=1
	s_load_dwordx2 s[8:9], s[4:5], 0x4
	s_load_dword s7, s[4:5], 0xc
	s_load_dwordx2 s[10:11], s[2:3], 0x0
	s_add_u32 s4, s4, 12
	s_addc_u32 s5, s5, 0
	s_waitcnt lgkmcnt(0)
	v_mul_hi_u32 v8, s9, v3
	s_add_u32 s2, s2, 8
	s_addc_u32 s3, s3, 0
	s_add_i32 s6, s6, -1
	v_add_u32_e32 v8, v3, v8
	v_lshrrev_b32_e32 v9, s7, v8
	v_mul_lo_u32 v8, v9, s8
	s_cmp_lg_u32 s6, 0
	v_sub_u32_e32 v8, v3, v8
	v_mad_u64_u32 v[2:3], s[8:9], v8, s10, v[2:3]
	v_mad_u64_u32 v[7:8], s[8:9], v8, s11, v[7:8]
	v_mov_b32_e32 v3, v9
	s_cbranch_scc1 .LBB13_54
.LBB13_55:
	s_cbranch_execnz .LBB13_58
.LBB13_56:
	s_load_dwordx4 s[4:7], s[34:35], 0x4
	s_load_dwordx2 s[2:3], s[34:35], 0xc4
	s_cmp_lt_u32 s33, 2
	s_waitcnt lgkmcnt(0)
	v_mul_hi_u32 v2, s5, v4
	v_add_u32_e32 v2, v4, v2
	v_lshrrev_b32_e32 v3, s6, v2
	v_mul_lo_u32 v2, v3, s4
	v_sub_u32_e32 v4, v4, v2
	v_mul_lo_u32 v2, v4, s2
	v_mul_lo_u32 v7, v4, s3
	s_cbranch_scc1 .LBB13_58
; %bb.57:
	s_load_dwordx4 s[4:7], s[34:35], 0x10
	s_load_dwordx2 s[2:3], s[34:35], 0xcc
	s_waitcnt lgkmcnt(0)
	v_mul_hi_u32 v4, s5, v3
	v_add_u32_e32 v4, v3, v4
	v_lshrrev_b32_e32 v4, s6, v4
	v_mul_lo_u32 v4, v4, s4
	v_sub_u32_e32 v4, v3, v4
	v_mad_u64_u32 v[2:3], s[4:5], v4, s2, v[2:3]
	v_mad_u64_u32 v[7:8], s[2:3], v4, s3, v[7:8]
.LBB13_58:
	s_and_b64 vcc, exec, s[0:1]
	s_cbranch_vccnz .LBB13_64
; %bb.59:
	s_cmp_lg_u32 s33, 0
	s_waitcnt lgkmcnt(0)
	s_mov_b32 s24, 0
	s_cbranch_scc0 .LBB13_65
; %bb.60:
	s_min_u32 s25, s54, 15
	s_add_i32 s25, s25, 1
	s_cmp_eq_u32 s54, 2
	s_cbranch_scc1 .LBB13_66
; %bb.61:
	s_and_b32 s24, s25, 28
	s_add_u32 s20, s34, 0xc4
	s_addc_u32 s21, s35, 0
	v_mov_b32_e32 v8, 0
	s_mov_b32 s26, 0
	s_mov_b64 s[22:23], s[34:35]
	v_mov_b32_e32 v3, 0
	v_mov_b32_e32 v4, v10
.LBB13_62:                              ; =>This Inner Loop Header: Depth=1
	s_load_dwordx8 s[8:15], s[22:23], 0x4
	s_load_dwordx4 s[16:19], s[22:23], 0x24
	s_load_dwordx8 s[0:7], s[20:21], 0x0
	s_add_u32 s22, s22, 48
	s_addc_u32 s23, s23, 0
	s_waitcnt lgkmcnt(0)
	v_mul_hi_u32 v9, s9, v4
	s_add_i32 s26, s26, 4
	s_add_u32 s20, s20, 32
	s_addc_u32 s21, s21, 0
	v_add_u32_e32 v9, v4, v9
	v_lshrrev_b32_e32 v9, s10, v9
	v_mul_lo_u32 v11, v9, s8
	v_mul_hi_u32 v12, s12, v9
	s_cmp_lg_u32 s24, s26
	v_sub_u32_e32 v4, v4, v11
	v_add_u32_e32 v11, v9, v12
	v_mul_lo_u32 v12, v4, s0
	v_mul_lo_u32 v13, v4, s1
	v_lshrrev_b32_e32 v4, s13, v11
	v_mul_lo_u32 v11, v4, s11
	v_mul_hi_u32 v14, s15, v4
	v_sub_u32_e32 v9, v9, v11
	v_add_u32_e32 v11, v4, v14
	v_lshrrev_b32_e32 v11, s16, v11
	v_mul_hi_u32 v15, s18, v11
	v_mul_lo_u32 v16, v11, s14
	v_mul_lo_u32 v14, v9, s2
	;; [unrolled: 1-line block ×3, first 2 shown]
	v_sub_u32_e32 v16, v4, v16
	v_add_u32_e32 v4, v11, v15
	v_lshrrev_b32_e32 v4, s19, v4
	v_mul_lo_u32 v15, v4, s17
	v_mul_lo_u32 v17, v16, s4
	;; [unrolled: 1-line block ×3, first 2 shown]
	v_add3_u32 v3, v12, v3, v14
	v_sub_u32_e32 v11, v11, v15
	v_mul_lo_u32 v15, v11, s6
	v_mul_lo_u32 v11, v11, s7
	v_add3_u32 v8, v13, v8, v9
	v_add3_u32 v3, v17, v3, v15
	;; [unrolled: 1-line block ×3, first 2 shown]
	s_cbranch_scc1 .LBB13_62
; %bb.63:
	s_and_b32 s4, s25, 3
	s_cmp_eq_u32 s4, 0
	s_cbranch_scc0 .LBB13_67
	s_branch .LBB13_69
.LBB13_64:
                                        ; implicit-def: $vgpr3
                                        ; implicit-def: $vgpr8
	s_branch .LBB13_70
.LBB13_65:
	v_mov_b32_e32 v3, 0
	v_mov_b32_e32 v8, 0
	s_branch .LBB13_69
.LBB13_66:
	v_mov_b32_e32 v3, 0
	v_mov_b32_e32 v8, 0
	;; [unrolled: 1-line block ×3, first 2 shown]
	s_and_b32 s4, s25, 3
	s_cmp_eq_u32 s4, 0
	s_cbranch_scc1 .LBB13_69
.LBB13_67:
	s_lshl_b32 s0, s24, 3
	s_add_u32 s0, s34, s0
	s_addc_u32 s1, s35, 0
	s_add_u32 s0, s0, 0xc4
	s_addc_u32 s1, s1, 0
	s_mul_i32 s2, s24, 12
	s_add_u32 s2, s34, s2
	s_addc_u32 s3, s35, 0
.LBB13_68:                              ; =>This Inner Loop Header: Depth=1
	s_load_dwordx2 s[6:7], s[2:3], 0x4
	s_load_dword s5, s[2:3], 0xc
	s_load_dwordx2 s[8:9], s[0:1], 0x0
	s_add_u32 s2, s2, 12
	s_addc_u32 s3, s3, 0
	s_waitcnt lgkmcnt(0)
	v_mul_hi_u32 v9, s7, v4
	s_add_u32 s0, s0, 8
	s_addc_u32 s1, s1, 0
	s_add_i32 s4, s4, -1
	v_add_u32_e32 v9, v4, v9
	v_lshrrev_b32_e32 v11, s5, v9
	v_mul_lo_u32 v9, v11, s6
	s_cmp_lg_u32 s4, 0
	v_sub_u32_e32 v9, v4, v9
	v_mad_u64_u32 v[3:4], s[6:7], v9, s8, v[3:4]
	v_mad_u64_u32 v[8:9], s[6:7], v9, s9, v[8:9]
	v_mov_b32_e32 v4, v11
	s_cbranch_scc1 .LBB13_68
.LBB13_69:
	s_cbranch_execnz .LBB13_72
.LBB13_70:
	s_load_dwordx4 s[0:3], s[34:35], 0x4
	s_load_dwordx2 s[4:5], s[34:35], 0xc4
	s_cmp_lt_u32 s33, 2
	s_waitcnt lgkmcnt(0)
	v_mul_hi_u32 v3, s1, v10
	v_add_u32_e32 v3, v10, v3
	v_lshrrev_b32_e32 v4, s2, v3
	v_mul_lo_u32 v3, v4, s0
	v_sub_u32_e32 v8, v10, v3
	v_mul_lo_u32 v3, v8, s4
	v_mul_lo_u32 v8, v8, s5
	s_cbranch_scc1 .LBB13_72
; %bb.71:
	s_load_dwordx4 s[0:3], s[34:35], 0x10
	s_load_dwordx2 s[4:5], s[34:35], 0xcc
	s_waitcnt lgkmcnt(0)
	v_mul_hi_u32 v9, s1, v4
	v_add_u32_e32 v9, v4, v9
	v_lshrrev_b32_e32 v9, s2, v9
	v_mul_lo_u32 v9, v9, s0
	v_sub_u32_e32 v9, v4, v9
	v_mad_u64_u32 v[3:4], s[0:1], v9, s4, v[3:4]
	v_mad_u64_u32 v[8:9], s[0:1], v9, s5, v[8:9]
.LBB13_72:
	s_load_dwordx4 s[8:11], s[34:35], 0x148
	s_waitcnt lgkmcnt(0)
	s_mov_b32 s16, 0x7f800000
	v_mov_b32_e32 v4, 0
	global_load_dword v9, v5, s[10:11]
	v_mov_b32_e32 v5, 0
	s_waitcnt vmcnt(0)
	v_cmp_neq_f32_e64 s[0:1], |v9|, s16
	s_and_saveexec_b64 s[6:7], s[0:1]
	s_cbranch_execz .LBB13_82
; %bb.73:
	v_cmp_nlt_f32_e64 s[0:1], |v9|, 0.5
                                        ; implicit-def: $vgpr5
	s_and_saveexec_b64 s[2:3], s[0:1]
	s_xor_b64 s[12:13], exec, s[2:3]
	s_cbranch_execz .LBB13_79
; %bb.74:
	s_brev_b32 s0, 18
	v_and_b32_e32 v5, 0x7fffffff, v9
	v_cmp_nlt_f32_e64 s[0:1], |v9|, s0
                                        ; implicit-def: $vgpr10
                                        ; implicit-def: $vgpr11
	s_and_saveexec_b64 s[2:3], s[0:1]
	s_xor_b64 s[14:15], exec, s[2:3]
	s_cbranch_execz .LBB13_76
; %bb.75:
	v_and_b32_e32 v10, 0x7fffff, v5
	v_or_b32_e32 v19, 0x800000, v10
	s_mov_b32 s0, 0xfe5163ab
	v_mad_u64_u32 v[10:11], s[0:1], v19, s0, 0
	v_mov_b32_e32 v12, 0
	s_mov_b32 s0, 0x3c439041
	v_mad_u64_u32 v[13:14], s[0:1], v19, s0, v[11:12]
	s_mov_b32 s0, 0xdb629599
	v_not_b32_e32 v18, 63
	v_mov_b32_e32 v11, v14
	v_mad_u64_u32 v[14:15], s[0:1], v19, s0, v[11:12]
	s_mov_b32 s0, 0xf534ddc0
	v_not_b32_e32 v21, 31
	v_mov_b32_e32 v11, v15
	v_mad_u64_u32 v[15:16], s[0:1], v19, s0, v[11:12]
	v_lshrrev_b32_e32 v11, 23, v5
	v_add_u32_e32 v20, 0xffffff88, v11
	v_mov_b32_e32 v11, v16
	s_mov_b32 s0, 0xfc2757d1
	v_mad_u64_u32 v[16:17], s[0:1], v19, s0, v[11:12]
	v_cmp_lt_u32_e32 vcc, 63, v20
	v_cndmask_b32_e32 v11, 0, v18, vcc
	v_add_u32_e32 v20, v11, v20
	v_mov_b32_e32 v11, v17
	s_mov_b32 s0, 0x4e441529
	v_mad_u64_u32 v[17:18], s[0:1], v19, s0, v[11:12]
	v_cmp_lt_u32_e64 s[0:1], 31, v20
	v_cndmask_b32_e64 v11, 0, v21, s[0:1]
	v_add_u32_e32 v20, v11, v20
	v_mov_b32_e32 v11, v18
	s_mov_b32 s2, 0xa2f9836e
	v_mad_u64_u32 v[11:12], s[2:3], v19, s2, v[11:12]
	v_cmp_lt_u32_e64 s[2:3], 31, v20
	v_cndmask_b32_e64 v18, 0, v21, s[2:3]
	v_cndmask_b32_e32 v19, v17, v15, vcc
	v_cndmask_b32_e32 v11, v11, v16, vcc
	;; [unrolled: 1-line block ×3, first 2 shown]
	v_add_u32_e32 v18, v18, v20
	v_cndmask_b32_e64 v20, v11, v19, s[0:1]
	v_cndmask_b32_e64 v11, v12, v11, s[0:1]
	v_cndmask_b32_e32 v12, v16, v14, vcc
	v_cndmask_b32_e64 v16, v19, v12, s[0:1]
	v_cndmask_b32_e64 v11, v11, v20, s[2:3]
	;; [unrolled: 1-line block ×3, first 2 shown]
	v_sub_u32_e32 v19, 32, v18
	v_alignbit_b32 v20, v11, v17, v19
	v_cmp_eq_u32_e64 s[4:5], 0, v18
	v_cndmask_b32_e64 v18, v20, v11, s[4:5]
	v_cndmask_b32_e32 v11, v15, v13, vcc
	v_cndmask_b32_e64 v12, v12, v11, s[0:1]
	v_cndmask_b32_e64 v13, v16, v12, s[2:3]
	v_alignbit_b32 v15, v17, v13, v19
	v_cndmask_b32_e32 v10, v14, v10, vcc
	v_cndmask_b32_e64 v15, v15, v17, s[4:5]
	v_bfe_u32 v20, v18, 29, 1
	v_cndmask_b32_e64 v10, v11, v10, s[0:1]
	v_alignbit_b32 v16, v18, v15, 30
	v_sub_u32_e32 v21, 0, v20
	v_cndmask_b32_e64 v10, v12, v10, s[2:3]
	v_xor_b32_e32 v16, v16, v21
	v_alignbit_b32 v11, v13, v10, v19
	v_cndmask_b32_e64 v11, v11, v13, s[4:5]
	v_ffbh_u32_e32 v13, v16
	v_alignbit_b32 v12, v15, v11, 30
	v_min_u32_e32 v13, 32, v13
	v_alignbit_b32 v10, v11, v10, 30
	v_xor_b32_e32 v12, v12, v21
	v_sub_u32_e32 v14, 31, v13
	v_xor_b32_e32 v10, v10, v21
	v_alignbit_b32 v15, v16, v12, v14
	v_alignbit_b32 v10, v12, v10, v14
	v_alignbit_b32 v11, v15, v10, 9
	v_ffbh_u32_e32 v12, v11
	v_min_u32_e32 v12, 32, v12
	v_lshrrev_b32_e32 v17, 29, v18
	v_not_b32_e32 v14, v12
	v_alignbit_b32 v10, v11, v10, v14
	v_lshlrev_b32_e32 v11, 31, v17
	v_or_b32_e32 v14, 0x33000000, v11
	v_add_lshl_u32 v12, v12, v13, 23
	v_lshrrev_b32_e32 v10, 9, v10
	v_sub_u32_e32 v12, v14, v12
	v_or_b32_e32 v11, 0.5, v11
	v_lshlrev_b32_e32 v13, 23, v13
	v_or_b32_e32 v10, v12, v10
	v_lshrrev_b32_e32 v12, 9, v15
	v_sub_u32_e32 v11, v11, v13
	v_or_b32_e32 v11, v12, v11
	s_mov_b32 s0, 0x3fc90fda
	v_mul_f32_e32 v12, 0x3fc90fda, v11
	v_fma_f32 v13, v11, s0, -v12
	v_fmac_f32_e32 v13, 0x33a22168, v11
	v_fmac_f32_e32 v13, 0x3fc90fda, v10
	v_lshrrev_b32_e32 v10, 30, v18
	v_add_f32_e32 v11, v12, v13
	v_add_u32_e32 v10, v20, v10
.LBB13_76:
	s_andn2_saveexec_b64 s[0:1], s[14:15]
	s_cbranch_execz .LBB13_78
; %bb.77:
	s_mov_b32 s2, 0x3f22f983
	v_mul_f32_e64 v10, |v9|, s2
	v_rndne_f32_e32 v12, v10
	s_mov_b32 s2, 0xbfc90fda
	v_cvt_i32_f32_e32 v10, v12
	v_fma_f32 v11, v12, s2, |v9|
	v_fmac_f32_e32 v11, 0xb3a22168, v12
	v_fmac_f32_e32 v11, 0xa7c234c4, v12
.LBB13_78:
	s_or_b64 exec, exec, s[0:1]
	v_mul_f32_e32 v12, v11, v11
	v_mov_b32_e32 v13, 0x3c0881c4
	v_fmac_f32_e32 v13, 0xb94c1982, v12
	v_mov_b32_e32 v14, 0xbe2aaa9d
	v_fmac_f32_e32 v14, v12, v13
	v_mul_f32_e32 v13, v12, v14
	v_fmac_f32_e32 v11, v11, v13
	v_mov_b32_e32 v13, 0xbab64f3b
	v_fmac_f32_e32 v13, 0x37d75334, v12
	v_mov_b32_e32 v14, 0x3d2aabf7
	;; [unrolled: 2-line block ×3, first 2 shown]
	v_fmac_f32_e32 v13, v12, v14
	v_fma_f32 v12, v12, v13, 1.0
	v_and_b32_e32 v13, 1, v10
	v_lshlrev_b32_e32 v10, 30, v10
	v_cmp_eq_u32_e32 vcc, 0, v13
	v_and_b32_e32 v10, 0x80000000, v10
	v_xor_b32_e32 v5, v5, v9
	v_cndmask_b32_e32 v11, v12, v11, vcc
	v_xor_b32_e32 v5, v5, v10
	s_movk_i32 s0, 0x1f8
	v_xor_b32_e32 v5, v5, v11
	v_mov_b32_e32 v10, 0x7fc00000
	v_cmp_class_f32_e64 vcc, v9, s0
	v_cndmask_b32_e32 v5, v10, v5, vcc
	v_div_scale_f32 v10, s[0:1], v9, v9, v5
	v_div_scale_f32 v11, vcc, v5, v9, v5
	v_rcp_f32_e32 v12, v10
	v_fma_f32 v13, -v10, v12, 1.0
	v_fmac_f32_e32 v12, v13, v12
	v_mul_f32_e32 v13, v11, v12
	v_fma_f32 v14, -v10, v13, v11
	v_fmac_f32_e32 v13, v14, v12
	v_fma_f32 v10, -v10, v13, v11
	v_div_fmas_f32 v10, v10, v12, v13
	v_div_fixup_f32 v5, v10, v9, v5
                                        ; implicit-def: $vgpr9
.LBB13_79:
	s_andn2_saveexec_b64 s[0:1], s[12:13]
	s_cbranch_execz .LBB13_81
; %bb.80:
	v_mul_f32_e32 v5, v9, v9
	v_mov_b32_e32 v9, 0xb2d7322b
	v_fmac_f32_e32 v9, 0x2f309231, v5
	v_mov_b32_e32 v10, 0x3638ef1d
	v_fmac_f32_e32 v10, v5, v9
	v_mov_b32_e32 v9, 0xb9500d01
	v_fmac_f32_e32 v9, v5, v10
	v_mov_b32_e32 v10, 0x3c088889
	v_fmac_f32_e32 v10, v5, v9
	v_mov_b32_e32 v9, 0xbe2aaaab
	v_fmac_f32_e32 v9, v5, v10
	v_fma_f32 v5, v5, v9, 1.0
.LBB13_81:
	s_or_b64 exec, exec, s[0:1]
.LBB13_82:
	s_or_b64 exec, exec, s[6:7]
	global_load_dword v6, v6, s[10:11]
	s_waitcnt vmcnt(0)
	v_cmp_neq_f32_e64 s[0:1], |v6|, s16
	s_and_saveexec_b64 s[6:7], s[0:1]
	s_cbranch_execz .LBB13_92
; %bb.83:
	v_cmp_nlt_f32_e64 s[0:1], |v6|, 0.5
                                        ; implicit-def: $vgpr4
	s_and_saveexec_b64 s[2:3], s[0:1]
	s_xor_b64 s[12:13], exec, s[2:3]
	s_cbranch_execz .LBB13_89
; %bb.84:
	s_brev_b32 s0, 18
	v_and_b32_e32 v4, 0x7fffffff, v6
	v_cmp_nlt_f32_e64 s[0:1], |v6|, s0
                                        ; implicit-def: $vgpr9
                                        ; implicit-def: $vgpr10
	s_and_saveexec_b64 s[2:3], s[0:1]
	s_xor_b64 s[14:15], exec, s[2:3]
	s_cbranch_execz .LBB13_86
; %bb.85:
	v_and_b32_e32 v9, 0x7fffff, v4
	v_or_b32_e32 v18, 0x800000, v9
	s_mov_b32 s0, 0xfe5163ab
	v_mad_u64_u32 v[9:10], s[0:1], v18, s0, 0
	v_mov_b32_e32 v11, 0
	s_mov_b32 s0, 0x3c439041
	v_mad_u64_u32 v[12:13], s[0:1], v18, s0, v[10:11]
	s_mov_b32 s0, 0xdb629599
	v_not_b32_e32 v17, 63
	v_mov_b32_e32 v10, v13
	v_mad_u64_u32 v[13:14], s[0:1], v18, s0, v[10:11]
	s_mov_b32 s0, 0xf534ddc0
	v_not_b32_e32 v20, 31
	v_mov_b32_e32 v10, v14
	v_mad_u64_u32 v[14:15], s[0:1], v18, s0, v[10:11]
	v_lshrrev_b32_e32 v10, 23, v4
	v_add_u32_e32 v19, 0xffffff88, v10
	v_mov_b32_e32 v10, v15
	s_mov_b32 s0, 0xfc2757d1
	v_mad_u64_u32 v[15:16], s[0:1], v18, s0, v[10:11]
	v_cmp_lt_u32_e32 vcc, 63, v19
	v_cndmask_b32_e32 v10, 0, v17, vcc
	v_add_u32_e32 v19, v10, v19
	v_mov_b32_e32 v10, v16
	s_mov_b32 s0, 0x4e441529
	v_mad_u64_u32 v[16:17], s[0:1], v18, s0, v[10:11]
	v_cmp_lt_u32_e64 s[0:1], 31, v19
	v_cndmask_b32_e64 v10, 0, v20, s[0:1]
	v_add_u32_e32 v19, v10, v19
	v_mov_b32_e32 v10, v17
	s_mov_b32 s2, 0xa2f9836e
	v_mad_u64_u32 v[10:11], s[2:3], v18, s2, v[10:11]
	v_cmp_lt_u32_e64 s[2:3], 31, v19
	v_cndmask_b32_e64 v17, 0, v20, s[2:3]
	v_cndmask_b32_e32 v18, v16, v14, vcc
	v_cndmask_b32_e32 v10, v10, v15, vcc
	;; [unrolled: 1-line block ×3, first 2 shown]
	v_add_u32_e32 v17, v17, v19
	v_cndmask_b32_e64 v19, v10, v18, s[0:1]
	v_cndmask_b32_e64 v10, v11, v10, s[0:1]
	v_cndmask_b32_e32 v11, v15, v13, vcc
	v_cndmask_b32_e64 v15, v18, v11, s[0:1]
	v_cndmask_b32_e64 v10, v10, v19, s[2:3]
	;; [unrolled: 1-line block ×3, first 2 shown]
	v_sub_u32_e32 v18, 32, v17
	v_alignbit_b32 v19, v10, v16, v18
	v_cmp_eq_u32_e64 s[4:5], 0, v17
	v_cndmask_b32_e64 v17, v19, v10, s[4:5]
	v_cndmask_b32_e32 v10, v14, v12, vcc
	v_cndmask_b32_e64 v11, v11, v10, s[0:1]
	v_cndmask_b32_e64 v12, v15, v11, s[2:3]
	v_alignbit_b32 v14, v16, v12, v18
	v_cndmask_b32_e32 v9, v13, v9, vcc
	v_cndmask_b32_e64 v14, v14, v16, s[4:5]
	v_bfe_u32 v19, v17, 29, 1
	v_cndmask_b32_e64 v9, v10, v9, s[0:1]
	v_alignbit_b32 v15, v17, v14, 30
	v_sub_u32_e32 v20, 0, v19
	v_cndmask_b32_e64 v9, v11, v9, s[2:3]
	v_xor_b32_e32 v15, v15, v20
	v_alignbit_b32 v10, v12, v9, v18
	v_cndmask_b32_e64 v10, v10, v12, s[4:5]
	v_ffbh_u32_e32 v12, v15
	v_alignbit_b32 v11, v14, v10, 30
	v_min_u32_e32 v12, 32, v12
	v_alignbit_b32 v9, v10, v9, 30
	v_xor_b32_e32 v11, v11, v20
	v_sub_u32_e32 v13, 31, v12
	v_xor_b32_e32 v9, v9, v20
	v_alignbit_b32 v14, v15, v11, v13
	v_alignbit_b32 v9, v11, v9, v13
	;; [unrolled: 1-line block ×3, first 2 shown]
	v_ffbh_u32_e32 v11, v10
	v_min_u32_e32 v11, 32, v11
	v_lshrrev_b32_e32 v16, 29, v17
	v_not_b32_e32 v13, v11
	v_alignbit_b32 v9, v10, v9, v13
	v_lshlrev_b32_e32 v10, 31, v16
	v_or_b32_e32 v13, 0x33000000, v10
	v_add_lshl_u32 v11, v11, v12, 23
	v_lshrrev_b32_e32 v9, 9, v9
	v_sub_u32_e32 v11, v13, v11
	v_or_b32_e32 v10, 0.5, v10
	v_lshlrev_b32_e32 v12, 23, v12
	v_or_b32_e32 v9, v11, v9
	v_lshrrev_b32_e32 v11, 9, v14
	v_sub_u32_e32 v10, v10, v12
	v_or_b32_e32 v10, v11, v10
	s_mov_b32 s0, 0x3fc90fda
	v_mul_f32_e32 v11, 0x3fc90fda, v10
	v_fma_f32 v12, v10, s0, -v11
	v_fmac_f32_e32 v12, 0x33a22168, v10
	v_fmac_f32_e32 v12, 0x3fc90fda, v9
	v_lshrrev_b32_e32 v9, 30, v17
	v_add_f32_e32 v10, v11, v12
	v_add_u32_e32 v9, v19, v9
.LBB13_86:
	s_andn2_saveexec_b64 s[0:1], s[14:15]
	s_cbranch_execz .LBB13_88
; %bb.87:
	s_mov_b32 s2, 0x3f22f983
	v_mul_f32_e64 v9, |v6|, s2
	v_rndne_f32_e32 v11, v9
	s_mov_b32 s2, 0xbfc90fda
	v_cvt_i32_f32_e32 v9, v11
	v_fma_f32 v10, v11, s2, |v6|
	v_fmac_f32_e32 v10, 0xb3a22168, v11
	v_fmac_f32_e32 v10, 0xa7c234c4, v11
.LBB13_88:
	s_or_b64 exec, exec, s[0:1]
	v_mul_f32_e32 v11, v10, v10
	v_mov_b32_e32 v12, 0x3c0881c4
	v_fmac_f32_e32 v12, 0xb94c1982, v11
	v_mov_b32_e32 v13, 0xbe2aaa9d
	v_fmac_f32_e32 v13, v11, v12
	v_mul_f32_e32 v12, v11, v13
	v_fmac_f32_e32 v10, v10, v12
	v_mov_b32_e32 v12, 0xbab64f3b
	v_fmac_f32_e32 v12, 0x37d75334, v11
	v_mov_b32_e32 v13, 0x3d2aabf7
	;; [unrolled: 2-line block ×3, first 2 shown]
	v_fmac_f32_e32 v12, v11, v13
	v_fma_f32 v11, v11, v12, 1.0
	v_and_b32_e32 v12, 1, v9
	v_lshlrev_b32_e32 v9, 30, v9
	v_cmp_eq_u32_e32 vcc, 0, v12
	v_and_b32_e32 v9, 0x80000000, v9
	v_xor_b32_e32 v4, v4, v6
	v_cndmask_b32_e32 v10, v11, v10, vcc
	v_xor_b32_e32 v4, v4, v9
	s_movk_i32 s0, 0x1f8
	v_xor_b32_e32 v4, v4, v10
	v_mov_b32_e32 v9, 0x7fc00000
	v_cmp_class_f32_e64 vcc, v6, s0
	v_cndmask_b32_e32 v4, v9, v4, vcc
	v_div_scale_f32 v9, s[0:1], v6, v6, v4
	v_div_scale_f32 v10, vcc, v4, v6, v4
	v_rcp_f32_e32 v11, v9
	v_fma_f32 v12, -v9, v11, 1.0
	v_fmac_f32_e32 v11, v12, v11
	v_mul_f32_e32 v12, v10, v11
	v_fma_f32 v13, -v9, v12, v10
	v_fmac_f32_e32 v12, v13, v11
	v_fma_f32 v9, -v9, v12, v10
	v_div_fmas_f32 v9, v9, v11, v12
	v_div_fixup_f32 v4, v9, v6, v4
                                        ; implicit-def: $vgpr6
.LBB13_89:
	s_andn2_saveexec_b64 s[0:1], s[12:13]
	s_cbranch_execz .LBB13_91
; %bb.90:
	v_mul_f32_e32 v4, v6, v6
	v_mov_b32_e32 v6, 0xb2d7322b
	v_fmac_f32_e32 v6, 0x2f309231, v4
	v_mov_b32_e32 v9, 0x3638ef1d
	v_fmac_f32_e32 v9, v4, v6
	;; [unrolled: 2-line block ×5, first 2 shown]
	v_fma_f32 v4, v4, v6, 1.0
.LBB13_91:
	s_or_b64 exec, exec, s[0:1]
.LBB13_92:
	s_or_b64 exec, exec, s[6:7]
	global_load_dword v9, v7, s[10:11]
	v_mov_b32_e32 v6, 0
	v_mov_b32_e32 v7, 0
	s_waitcnt vmcnt(0)
	v_cmp_neq_f32_e64 s[0:1], |v9|, s16
	s_and_saveexec_b64 s[6:7], s[0:1]
	s_cbranch_execz .LBB13_102
; %bb.93:
	v_cmp_nlt_f32_e64 s[0:1], |v9|, 0.5
                                        ; implicit-def: $vgpr7
	s_and_saveexec_b64 s[2:3], s[0:1]
	s_xor_b64 s[12:13], exec, s[2:3]
	s_cbranch_execz .LBB13_99
; %bb.94:
	s_brev_b32 s0, 18
	v_and_b32_e32 v7, 0x7fffffff, v9
	v_cmp_nlt_f32_e64 s[0:1], |v9|, s0
                                        ; implicit-def: $vgpr10
                                        ; implicit-def: $vgpr11
	s_and_saveexec_b64 s[2:3], s[0:1]
	s_xor_b64 s[14:15], exec, s[2:3]
	s_cbranch_execz .LBB13_96
; %bb.95:
	v_and_b32_e32 v10, 0x7fffff, v7
	v_or_b32_e32 v19, 0x800000, v10
	s_mov_b32 s0, 0xfe5163ab
	v_mad_u64_u32 v[10:11], s[0:1], v19, s0, 0
	v_mov_b32_e32 v12, 0
	s_mov_b32 s0, 0x3c439041
	v_mad_u64_u32 v[13:14], s[0:1], v19, s0, v[11:12]
	s_mov_b32 s0, 0xdb629599
	v_not_b32_e32 v18, 63
	v_mov_b32_e32 v11, v14
	v_mad_u64_u32 v[14:15], s[0:1], v19, s0, v[11:12]
	s_mov_b32 s0, 0xf534ddc0
	v_not_b32_e32 v21, 31
	v_mov_b32_e32 v11, v15
	v_mad_u64_u32 v[15:16], s[0:1], v19, s0, v[11:12]
	v_lshrrev_b32_e32 v11, 23, v7
	v_add_u32_e32 v20, 0xffffff88, v11
	v_mov_b32_e32 v11, v16
	s_mov_b32 s0, 0xfc2757d1
	v_mad_u64_u32 v[16:17], s[0:1], v19, s0, v[11:12]
	v_cmp_lt_u32_e32 vcc, 63, v20
	v_cndmask_b32_e32 v11, 0, v18, vcc
	v_add_u32_e32 v20, v11, v20
	v_mov_b32_e32 v11, v17
	s_mov_b32 s0, 0x4e441529
	v_mad_u64_u32 v[17:18], s[0:1], v19, s0, v[11:12]
	v_cmp_lt_u32_e64 s[0:1], 31, v20
	v_cndmask_b32_e64 v11, 0, v21, s[0:1]
	v_add_u32_e32 v20, v11, v20
	v_mov_b32_e32 v11, v18
	s_mov_b32 s2, 0xa2f9836e
	v_mad_u64_u32 v[11:12], s[2:3], v19, s2, v[11:12]
	v_cmp_lt_u32_e64 s[2:3], 31, v20
	v_cndmask_b32_e64 v18, 0, v21, s[2:3]
	v_cndmask_b32_e32 v19, v17, v15, vcc
	v_cndmask_b32_e32 v11, v11, v16, vcc
	;; [unrolled: 1-line block ×3, first 2 shown]
	v_add_u32_e32 v18, v18, v20
	v_cndmask_b32_e64 v20, v11, v19, s[0:1]
	v_cndmask_b32_e64 v11, v12, v11, s[0:1]
	v_cndmask_b32_e32 v12, v16, v14, vcc
	v_cndmask_b32_e64 v16, v19, v12, s[0:1]
	v_cndmask_b32_e64 v11, v11, v20, s[2:3]
	;; [unrolled: 1-line block ×3, first 2 shown]
	v_sub_u32_e32 v19, 32, v18
	v_alignbit_b32 v20, v11, v17, v19
	v_cmp_eq_u32_e64 s[4:5], 0, v18
	v_cndmask_b32_e64 v18, v20, v11, s[4:5]
	v_cndmask_b32_e32 v11, v15, v13, vcc
	v_cndmask_b32_e64 v12, v12, v11, s[0:1]
	v_cndmask_b32_e64 v13, v16, v12, s[2:3]
	v_alignbit_b32 v15, v17, v13, v19
	v_cndmask_b32_e32 v10, v14, v10, vcc
	v_cndmask_b32_e64 v15, v15, v17, s[4:5]
	v_bfe_u32 v20, v18, 29, 1
	v_cndmask_b32_e64 v10, v11, v10, s[0:1]
	v_alignbit_b32 v16, v18, v15, 30
	v_sub_u32_e32 v21, 0, v20
	v_cndmask_b32_e64 v10, v12, v10, s[2:3]
	v_xor_b32_e32 v16, v16, v21
	v_alignbit_b32 v11, v13, v10, v19
	v_cndmask_b32_e64 v11, v11, v13, s[4:5]
	v_ffbh_u32_e32 v13, v16
	v_alignbit_b32 v12, v15, v11, 30
	v_min_u32_e32 v13, 32, v13
	v_alignbit_b32 v10, v11, v10, 30
	v_xor_b32_e32 v12, v12, v21
	v_sub_u32_e32 v14, 31, v13
	v_xor_b32_e32 v10, v10, v21
	v_alignbit_b32 v15, v16, v12, v14
	v_alignbit_b32 v10, v12, v10, v14
	;; [unrolled: 1-line block ×3, first 2 shown]
	v_ffbh_u32_e32 v12, v11
	v_min_u32_e32 v12, 32, v12
	v_lshrrev_b32_e32 v17, 29, v18
	v_not_b32_e32 v14, v12
	v_alignbit_b32 v10, v11, v10, v14
	v_lshlrev_b32_e32 v11, 31, v17
	v_or_b32_e32 v14, 0x33000000, v11
	v_add_lshl_u32 v12, v12, v13, 23
	v_lshrrev_b32_e32 v10, 9, v10
	v_sub_u32_e32 v12, v14, v12
	v_or_b32_e32 v11, 0.5, v11
	v_lshlrev_b32_e32 v13, 23, v13
	v_or_b32_e32 v10, v12, v10
	v_lshrrev_b32_e32 v12, 9, v15
	v_sub_u32_e32 v11, v11, v13
	v_or_b32_e32 v11, v12, v11
	s_mov_b32 s0, 0x3fc90fda
	v_mul_f32_e32 v12, 0x3fc90fda, v11
	v_fma_f32 v13, v11, s0, -v12
	v_fmac_f32_e32 v13, 0x33a22168, v11
	v_fmac_f32_e32 v13, 0x3fc90fda, v10
	v_lshrrev_b32_e32 v10, 30, v18
	v_add_f32_e32 v11, v12, v13
	v_add_u32_e32 v10, v20, v10
.LBB13_96:
	s_andn2_saveexec_b64 s[0:1], s[14:15]
	s_cbranch_execz .LBB13_98
; %bb.97:
	s_mov_b32 s2, 0x3f22f983
	v_mul_f32_e64 v10, |v9|, s2
	v_rndne_f32_e32 v12, v10
	s_mov_b32 s2, 0xbfc90fda
	v_cvt_i32_f32_e32 v10, v12
	v_fma_f32 v11, v12, s2, |v9|
	v_fmac_f32_e32 v11, 0xb3a22168, v12
	v_fmac_f32_e32 v11, 0xa7c234c4, v12
.LBB13_98:
	s_or_b64 exec, exec, s[0:1]
	v_mul_f32_e32 v12, v11, v11
	v_mov_b32_e32 v13, 0x3c0881c4
	v_fmac_f32_e32 v13, 0xb94c1982, v12
	v_mov_b32_e32 v14, 0xbe2aaa9d
	v_fmac_f32_e32 v14, v12, v13
	v_mul_f32_e32 v13, v12, v14
	v_fmac_f32_e32 v11, v11, v13
	v_mov_b32_e32 v13, 0xbab64f3b
	v_fmac_f32_e32 v13, 0x37d75334, v12
	v_mov_b32_e32 v14, 0x3d2aabf7
	v_fmac_f32_e32 v14, v12, v13
	v_mov_b32_e32 v13, 0xbf000004
	v_fmac_f32_e32 v13, v12, v14
	v_fma_f32 v12, v12, v13, 1.0
	v_and_b32_e32 v13, 1, v10
	v_lshlrev_b32_e32 v10, 30, v10
	v_cmp_eq_u32_e32 vcc, 0, v13
	v_and_b32_e32 v10, 0x80000000, v10
	v_xor_b32_e32 v7, v7, v9
	v_cndmask_b32_e32 v11, v12, v11, vcc
	v_xor_b32_e32 v7, v7, v10
	s_movk_i32 s0, 0x1f8
	v_xor_b32_e32 v7, v7, v11
	v_mov_b32_e32 v10, 0x7fc00000
	v_cmp_class_f32_e64 vcc, v9, s0
	v_cndmask_b32_e32 v7, v10, v7, vcc
	v_div_scale_f32 v10, s[0:1], v9, v9, v7
	v_div_scale_f32 v11, vcc, v7, v9, v7
	v_rcp_f32_e32 v12, v10
	v_fma_f32 v13, -v10, v12, 1.0
	v_fmac_f32_e32 v12, v13, v12
	v_mul_f32_e32 v13, v11, v12
	v_fma_f32 v14, -v10, v13, v11
	v_fmac_f32_e32 v13, v14, v12
	v_fma_f32 v10, -v10, v13, v11
	v_div_fmas_f32 v10, v10, v12, v13
	v_div_fixup_f32 v7, v10, v9, v7
                                        ; implicit-def: $vgpr9
.LBB13_99:
	s_andn2_saveexec_b64 s[0:1], s[12:13]
	s_cbranch_execz .LBB13_101
; %bb.100:
	v_mul_f32_e32 v7, v9, v9
	v_mov_b32_e32 v9, 0xb2d7322b
	v_fmac_f32_e32 v9, 0x2f309231, v7
	v_mov_b32_e32 v10, 0x3638ef1d
	v_fmac_f32_e32 v10, v7, v9
	;; [unrolled: 2-line block ×5, first 2 shown]
	v_fma_f32 v7, v7, v9, 1.0
.LBB13_101:
	s_or_b64 exec, exec, s[0:1]
.LBB13_102:
	s_or_b64 exec, exec, s[6:7]
	global_load_dword v8, v8, s[10:11]
	s_waitcnt vmcnt(0)
	v_cmp_neq_f32_e64 s[0:1], |v8|, s16
	s_and_saveexec_b64 s[6:7], s[0:1]
	s_cbranch_execz .LBB13_112
; %bb.103:
	v_cmp_nlt_f32_e64 s[0:1], |v8|, 0.5
                                        ; implicit-def: $vgpr6
	s_and_saveexec_b64 s[2:3], s[0:1]
	s_xor_b64 s[10:11], exec, s[2:3]
	s_cbranch_execz .LBB13_109
; %bb.104:
	s_brev_b32 s0, 18
	v_and_b32_e32 v6, 0x7fffffff, v8
	v_cmp_nlt_f32_e64 s[0:1], |v8|, s0
                                        ; implicit-def: $vgpr9
                                        ; implicit-def: $vgpr10
	s_and_saveexec_b64 s[2:3], s[0:1]
	s_xor_b64 s[12:13], exec, s[2:3]
	s_cbranch_execz .LBB13_106
; %bb.105:
	v_and_b32_e32 v9, 0x7fffff, v6
	v_or_b32_e32 v18, 0x800000, v9
	s_mov_b32 s0, 0xfe5163ab
	v_mad_u64_u32 v[9:10], s[0:1], v18, s0, 0
	v_mov_b32_e32 v11, 0
	s_mov_b32 s0, 0x3c439041
	v_mad_u64_u32 v[12:13], s[0:1], v18, s0, v[10:11]
	s_mov_b32 s0, 0xdb629599
	v_not_b32_e32 v17, 63
	v_mov_b32_e32 v10, v13
	v_mad_u64_u32 v[13:14], s[0:1], v18, s0, v[10:11]
	s_mov_b32 s0, 0xf534ddc0
	v_not_b32_e32 v20, 31
	v_mov_b32_e32 v10, v14
	v_mad_u64_u32 v[14:15], s[0:1], v18, s0, v[10:11]
	v_lshrrev_b32_e32 v10, 23, v6
	v_add_u32_e32 v19, 0xffffff88, v10
	v_mov_b32_e32 v10, v15
	s_mov_b32 s0, 0xfc2757d1
	v_mad_u64_u32 v[15:16], s[0:1], v18, s0, v[10:11]
	v_cmp_lt_u32_e32 vcc, 63, v19
	v_cndmask_b32_e32 v10, 0, v17, vcc
	v_add_u32_e32 v19, v10, v19
	v_mov_b32_e32 v10, v16
	s_mov_b32 s0, 0x4e441529
	v_mad_u64_u32 v[16:17], s[0:1], v18, s0, v[10:11]
	v_cmp_lt_u32_e64 s[0:1], 31, v19
	v_cndmask_b32_e64 v10, 0, v20, s[0:1]
	v_add_u32_e32 v19, v10, v19
	v_mov_b32_e32 v10, v17
	s_mov_b32 s2, 0xa2f9836e
	v_mad_u64_u32 v[10:11], s[2:3], v18, s2, v[10:11]
	v_cmp_lt_u32_e64 s[2:3], 31, v19
	v_cndmask_b32_e64 v17, 0, v20, s[2:3]
	v_cndmask_b32_e32 v18, v16, v14, vcc
	v_cndmask_b32_e32 v10, v10, v15, vcc
	;; [unrolled: 1-line block ×3, first 2 shown]
	v_add_u32_e32 v17, v17, v19
	v_cndmask_b32_e64 v19, v10, v18, s[0:1]
	v_cndmask_b32_e64 v10, v11, v10, s[0:1]
	v_cndmask_b32_e32 v11, v15, v13, vcc
	v_cndmask_b32_e64 v15, v18, v11, s[0:1]
	v_cndmask_b32_e64 v10, v10, v19, s[2:3]
	;; [unrolled: 1-line block ×3, first 2 shown]
	v_sub_u32_e32 v18, 32, v17
	v_alignbit_b32 v19, v10, v16, v18
	v_cmp_eq_u32_e64 s[4:5], 0, v17
	v_cndmask_b32_e64 v17, v19, v10, s[4:5]
	v_cndmask_b32_e32 v10, v14, v12, vcc
	v_cndmask_b32_e64 v11, v11, v10, s[0:1]
	v_cndmask_b32_e64 v12, v15, v11, s[2:3]
	v_alignbit_b32 v14, v16, v12, v18
	v_cndmask_b32_e32 v9, v13, v9, vcc
	v_cndmask_b32_e64 v14, v14, v16, s[4:5]
	v_bfe_u32 v19, v17, 29, 1
	v_cndmask_b32_e64 v9, v10, v9, s[0:1]
	v_alignbit_b32 v15, v17, v14, 30
	v_sub_u32_e32 v20, 0, v19
	v_cndmask_b32_e64 v9, v11, v9, s[2:3]
	v_xor_b32_e32 v15, v15, v20
	v_alignbit_b32 v10, v12, v9, v18
	v_cndmask_b32_e64 v10, v10, v12, s[4:5]
	v_ffbh_u32_e32 v12, v15
	v_alignbit_b32 v11, v14, v10, 30
	v_min_u32_e32 v12, 32, v12
	v_alignbit_b32 v9, v10, v9, 30
	v_xor_b32_e32 v11, v11, v20
	v_sub_u32_e32 v13, 31, v12
	v_xor_b32_e32 v9, v9, v20
	v_alignbit_b32 v14, v15, v11, v13
	v_alignbit_b32 v9, v11, v9, v13
	;; [unrolled: 1-line block ×3, first 2 shown]
	v_ffbh_u32_e32 v11, v10
	v_min_u32_e32 v11, 32, v11
	v_lshrrev_b32_e32 v16, 29, v17
	v_not_b32_e32 v13, v11
	v_alignbit_b32 v9, v10, v9, v13
	v_lshlrev_b32_e32 v10, 31, v16
	v_or_b32_e32 v13, 0x33000000, v10
	v_add_lshl_u32 v11, v11, v12, 23
	v_lshrrev_b32_e32 v9, 9, v9
	v_sub_u32_e32 v11, v13, v11
	v_or_b32_e32 v10, 0.5, v10
	v_lshlrev_b32_e32 v12, 23, v12
	v_or_b32_e32 v9, v11, v9
	v_lshrrev_b32_e32 v11, 9, v14
	v_sub_u32_e32 v10, v10, v12
	v_or_b32_e32 v10, v11, v10
	s_mov_b32 s0, 0x3fc90fda
	v_mul_f32_e32 v11, 0x3fc90fda, v10
	v_fma_f32 v12, v10, s0, -v11
	v_fmac_f32_e32 v12, 0x33a22168, v10
	v_fmac_f32_e32 v12, 0x3fc90fda, v9
	v_lshrrev_b32_e32 v9, 30, v17
	v_add_f32_e32 v10, v11, v12
	v_add_u32_e32 v9, v19, v9
.LBB13_106:
	s_andn2_saveexec_b64 s[0:1], s[12:13]
	s_cbranch_execz .LBB13_108
; %bb.107:
	s_mov_b32 s2, 0x3f22f983
	v_mul_f32_e64 v9, |v8|, s2
	v_rndne_f32_e32 v11, v9
	s_mov_b32 s2, 0xbfc90fda
	v_cvt_i32_f32_e32 v9, v11
	v_fma_f32 v10, v11, s2, |v8|
	v_fmac_f32_e32 v10, 0xb3a22168, v11
	v_fmac_f32_e32 v10, 0xa7c234c4, v11
.LBB13_108:
	s_or_b64 exec, exec, s[0:1]
	v_mul_f32_e32 v11, v10, v10
	v_mov_b32_e32 v12, 0x3c0881c4
	v_fmac_f32_e32 v12, 0xb94c1982, v11
	v_mov_b32_e32 v13, 0xbe2aaa9d
	v_fmac_f32_e32 v13, v11, v12
	v_mul_f32_e32 v12, v11, v13
	v_fmac_f32_e32 v10, v10, v12
	v_mov_b32_e32 v12, 0xbab64f3b
	v_fmac_f32_e32 v12, 0x37d75334, v11
	v_mov_b32_e32 v13, 0x3d2aabf7
	;; [unrolled: 2-line block ×3, first 2 shown]
	v_fmac_f32_e32 v12, v11, v13
	v_fma_f32 v11, v11, v12, 1.0
	v_and_b32_e32 v12, 1, v9
	v_lshlrev_b32_e32 v9, 30, v9
	v_cmp_eq_u32_e32 vcc, 0, v12
	v_and_b32_e32 v9, 0x80000000, v9
	v_xor_b32_e32 v6, v6, v8
	v_cndmask_b32_e32 v10, v11, v10, vcc
	v_xor_b32_e32 v6, v6, v9
	s_movk_i32 s0, 0x1f8
	v_xor_b32_e32 v6, v6, v10
	v_mov_b32_e32 v9, 0x7fc00000
	v_cmp_class_f32_e64 vcc, v8, s0
	v_cndmask_b32_e32 v6, v9, v6, vcc
	v_div_scale_f32 v9, s[0:1], v8, v8, v6
	v_div_scale_f32 v10, vcc, v6, v8, v6
	v_rcp_f32_e32 v11, v9
	v_fma_f32 v12, -v9, v11, 1.0
	v_fmac_f32_e32 v11, v12, v11
	v_mul_f32_e32 v12, v10, v11
	v_fma_f32 v13, -v9, v12, v10
	v_fmac_f32_e32 v12, v13, v11
	v_fma_f32 v9, -v9, v12, v10
	v_div_fmas_f32 v9, v9, v11, v12
	v_div_fixup_f32 v6, v9, v8, v6
                                        ; implicit-def: $vgpr8
.LBB13_109:
	s_andn2_saveexec_b64 s[0:1], s[10:11]
	s_cbranch_execz .LBB13_111
; %bb.110:
	v_mul_f32_e32 v6, v8, v8
	v_mov_b32_e32 v8, 0xb2d7322b
	v_fmac_f32_e32 v8, 0x2f309231, v6
	v_mov_b32_e32 v9, 0x3638ef1d
	v_fmac_f32_e32 v9, v6, v8
	;; [unrolled: 2-line block ×5, first 2 shown]
	v_fma_f32 v6, v6, v8, 1.0
.LBB13_111:
	s_or_b64 exec, exec, s[0:1]
.LBB13_112:
	s_or_b64 exec, exec, s[6:7]
	global_store_dword v0, v5, s[8:9]
	global_store_dword v1, v4, s[8:9]
	;; [unrolled: 1-line block ×4, first 2 shown]
	s_endpgm
.LBB13_113:
	v_mov_b32_e32 v0, 0
	v_mov_b32_e32 v2, 0
	s_branch .LBB13_119
.LBB13_114:
	v_mov_b32_e32 v0, 0
	v_mov_b32_e32 v2, 0
	s_branch .LBB13_145
.LBB13_115:
	s_mov_b32 s57, 0
	v_mov_b32_e32 v0, 0
	v_mov_b32_e32 v2, 0
	;; [unrolled: 1-line block ×3, first 2 shown]
.LBB13_116:
	s_and_b32 s4, s58, 3
	s_cmp_eq_u32 s4, 0
	s_cbranch_scc1 .LBB13_119
; %bb.117:
	s_lshl_b32 s0, s57, 3
	s_add_u32 s0, s34, s0
	s_addc_u32 s1, s35, 0
	s_add_u32 s0, s0, 0xc4
	s_addc_u32 s1, s1, 0
	s_mul_i32 s2, s57, 12
	s_add_u32 s2, s34, s2
	s_addc_u32 s3, s35, 0
.LBB13_118:                             ; =>This Inner Loop Header: Depth=1
	s_load_dwordx2 s[6:7], s[2:3], 0x4
	s_load_dword s5, s[2:3], 0xc
	s_load_dwordx2 s[8:9], s[0:1], 0x0
	s_add_u32 s2, s2, 12
	s_addc_u32 s3, s3, 0
	s_waitcnt lgkmcnt(0)
	v_mul_hi_u32 v3, s7, v1
	s_add_u32 s0, s0, 8
	s_addc_u32 s1, s1, 0
	s_add_i32 s4, s4, -1
	v_add_u32_e32 v3, v1, v3
	v_lshrrev_b32_e32 v5, s5, v3
	v_mul_lo_u32 v3, v5, s6
	s_cmp_lg_u32 s4, 0
	v_sub_u32_e32 v3, v1, v3
	v_mad_u64_u32 v[0:1], s[6:7], v3, s8, v[0:1]
	v_mad_u64_u32 v[2:3], s[6:7], v3, s9, v[2:3]
	v_mov_b32_e32 v1, v5
	s_cbranch_scc1 .LBB13_118
.LBB13_119:
	s_cbranch_execnz .LBB13_122
.LBB13_120:
	s_waitcnt lgkmcnt(0)
	v_mul_hi_u32 v0, s25, v4
	s_andn2_b64 vcc, exec, s[42:43]
	v_add_u32_e32 v0, v4, v0
	v_lshrrev_b32_e32 v1, s26, v0
	v_mul_lo_u32 v0, v1, s24
	v_sub_u32_e32 v2, v4, v0
	v_mul_lo_u32 v0, v2, s20
	v_mul_lo_u32 v2, v2, s21
	s_cbranch_vccnz .LBB13_122
; %bb.121:
	v_mul_hi_u32 v3, s40, v1
	v_add_u32_e32 v3, v1, v3
	v_lshrrev_b32_e32 v3, s41, v3
	v_mul_lo_u32 v3, v3, s27
	v_sub_u32_e32 v3, v1, v3
	v_mad_u64_u32 v[0:1], s[0:1], v3, s22, v[0:1]
	v_mad_u64_u32 v[2:3], s[0:1], v3, s23, v[2:3]
.LBB13_122:
	s_waitcnt lgkmcnt(0)
	global_load_dword v1, v2, s[18:19]
	s_mov_b32 s0, 0x7f800000
	v_mov_b32_e32 v2, 0
	s_waitcnt vmcnt(0)
	v_cmp_neq_f32_e64 s[0:1], |v1|, s0
	s_and_saveexec_b64 s[6:7], s[0:1]
	s_cbranch_execz .LBB13_132
; %bb.123:
	v_cmp_nlt_f32_e64 s[0:1], |v1|, 0.5
                                        ; implicit-def: $vgpr2
	s_and_saveexec_b64 s[2:3], s[0:1]
	s_xor_b64 s[8:9], exec, s[2:3]
	s_cbranch_execz .LBB13_129
; %bb.124:
	s_brev_b32 s0, 18
	v_and_b32_e32 v2, 0x7fffffff, v1
	v_cmp_nlt_f32_e64 s[0:1], |v1|, s0
                                        ; implicit-def: $vgpr3
                                        ; implicit-def: $vgpr5
	s_and_saveexec_b64 s[2:3], s[0:1]
	s_xor_b64 s[10:11], exec, s[2:3]
	s_cbranch_execz .LBB13_126
; %bb.125:
	v_and_b32_e32 v3, 0x7fffff, v2
	v_or_b32_e32 v3, 0x800000, v3
	s_mov_b32 s0, 0xfe5163ab
	v_mad_u64_u32 v[5:6], s[0:1], v3, s0, 0
	v_mov_b32_e32 v7, 0
	s_mov_b32 s0, 0x3c439041
	v_mad_u64_u32 v[8:9], s[0:1], v3, s0, v[6:7]
	s_mov_b32 s0, 0xdb629599
	v_not_b32_e32 v13, 63
	v_mov_b32_e32 v6, v9
	v_mad_u64_u32 v[9:10], s[0:1], v3, s0, v[6:7]
	s_mov_b32 s0, 0xf534ddc0
	v_not_b32_e32 v15, 31
	v_mov_b32_e32 v6, v10
	v_mad_u64_u32 v[10:11], s[0:1], v3, s0, v[6:7]
	v_lshrrev_b32_e32 v6, 23, v2
	v_add_u32_e32 v14, 0xffffff88, v6
	v_mov_b32_e32 v6, v11
	s_mov_b32 s0, 0xfc2757d1
	v_mad_u64_u32 v[11:12], s[0:1], v3, s0, v[6:7]
	v_cmp_lt_u32_e32 vcc, 63, v14
	v_cndmask_b32_e32 v6, 0, v13, vcc
	v_add_u32_e32 v14, v6, v14
	v_mov_b32_e32 v6, v12
	s_mov_b32 s0, 0x4e441529
	v_mad_u64_u32 v[12:13], s[0:1], v3, s0, v[6:7]
	v_cmp_lt_u32_e64 s[0:1], 31, v14
	v_cndmask_b32_e64 v6, 0, v15, s[0:1]
	v_add_u32_e32 v14, v6, v14
	v_mov_b32_e32 v6, v13
	s_mov_b32 s2, 0xa2f9836e
	v_mad_u64_u32 v[6:7], s[2:3], v3, s2, v[6:7]
	v_cmp_lt_u32_e64 s[2:3], 31, v14
	v_cndmask_b32_e64 v3, 0, v15, s[2:3]
	v_cndmask_b32_e32 v13, v12, v10, vcc
	v_cndmask_b32_e32 v6, v6, v11, vcc
	;; [unrolled: 1-line block ×3, first 2 shown]
	v_add_u32_e32 v3, v3, v14
	v_cndmask_b32_e64 v14, v6, v13, s[0:1]
	v_cndmask_b32_e64 v6, v7, v6, s[0:1]
	v_cndmask_b32_e32 v7, v11, v9, vcc
	v_cndmask_b32_e64 v11, v13, v7, s[0:1]
	v_cndmask_b32_e64 v6, v6, v14, s[2:3]
	;; [unrolled: 1-line block ×3, first 2 shown]
	v_sub_u32_e32 v13, 32, v3
	v_alignbit_b32 v14, v6, v12, v13
	v_cmp_eq_u32_e64 s[4:5], 0, v3
	v_cndmask_b32_e64 v3, v14, v6, s[4:5]
	v_cndmask_b32_e32 v6, v10, v8, vcc
	v_cndmask_b32_e64 v7, v7, v6, s[0:1]
	v_cndmask_b32_e64 v8, v11, v7, s[2:3]
	v_alignbit_b32 v10, v12, v8, v13
	v_cndmask_b32_e32 v5, v9, v5, vcc
	v_cndmask_b32_e64 v10, v10, v12, s[4:5]
	v_bfe_u32 v14, v3, 29, 1
	v_cndmask_b32_e64 v5, v6, v5, s[0:1]
	v_alignbit_b32 v11, v3, v10, 30
	v_sub_u32_e32 v15, 0, v14
	v_cndmask_b32_e64 v5, v7, v5, s[2:3]
	v_xor_b32_e32 v11, v11, v15
	v_alignbit_b32 v6, v8, v5, v13
	v_cndmask_b32_e64 v6, v6, v8, s[4:5]
	v_ffbh_u32_e32 v8, v11
	v_alignbit_b32 v7, v10, v6, 30
	v_min_u32_e32 v8, 32, v8
	v_alignbit_b32 v5, v6, v5, 30
	v_xor_b32_e32 v7, v7, v15
	v_sub_u32_e32 v9, 31, v8
	v_xor_b32_e32 v5, v5, v15
	v_alignbit_b32 v10, v11, v7, v9
	v_alignbit_b32 v5, v7, v5, v9
	v_alignbit_b32 v6, v10, v5, 9
	v_ffbh_u32_e32 v7, v6
	v_min_u32_e32 v7, 32, v7
	v_lshrrev_b32_e32 v12, 29, v3
	v_not_b32_e32 v9, v7
	v_alignbit_b32 v5, v6, v5, v9
	v_lshlrev_b32_e32 v6, 31, v12
	v_or_b32_e32 v9, 0x33000000, v6
	v_add_lshl_u32 v7, v7, v8, 23
	v_lshrrev_b32_e32 v5, 9, v5
	v_sub_u32_e32 v7, v9, v7
	v_or_b32_e32 v6, 0.5, v6
	v_lshlrev_b32_e32 v8, 23, v8
	v_or_b32_e32 v5, v7, v5
	v_lshrrev_b32_e32 v7, 9, v10
	v_sub_u32_e32 v6, v6, v8
	v_or_b32_e32 v6, v7, v6
	s_mov_b32 s0, 0x3fc90fda
	v_mul_f32_e32 v7, 0x3fc90fda, v6
	v_fma_f32 v8, v6, s0, -v7
	v_fmac_f32_e32 v8, 0x33a22168, v6
	v_fmac_f32_e32 v8, 0x3fc90fda, v5
	v_lshrrev_b32_e32 v3, 30, v3
	v_add_f32_e32 v5, v7, v8
	v_add_u32_e32 v3, v14, v3
.LBB13_126:
	s_andn2_saveexec_b64 s[0:1], s[10:11]
	s_cbranch_execz .LBB13_128
; %bb.127:
	s_mov_b32 s2, 0x3f22f983
	v_mul_f32_e64 v3, |v1|, s2
	v_rndne_f32_e32 v6, v3
	s_mov_b32 s2, 0xbfc90fda
	v_cvt_i32_f32_e32 v3, v6
	v_fma_f32 v5, v6, s2, |v1|
	v_fmac_f32_e32 v5, 0xb3a22168, v6
	v_fmac_f32_e32 v5, 0xa7c234c4, v6
.LBB13_128:
	s_or_b64 exec, exec, s[0:1]
	v_mul_f32_e32 v6, v5, v5
	v_mov_b32_e32 v7, 0x3c0881c4
	v_fmac_f32_e32 v7, 0xb94c1982, v6
	v_mov_b32_e32 v8, 0xbe2aaa9d
	v_fmac_f32_e32 v8, v6, v7
	v_mul_f32_e32 v7, v6, v8
	v_fmac_f32_e32 v5, v5, v7
	v_mov_b32_e32 v7, 0xbab64f3b
	v_fmac_f32_e32 v7, 0x37d75334, v6
	v_mov_b32_e32 v8, 0x3d2aabf7
	;; [unrolled: 2-line block ×3, first 2 shown]
	v_fmac_f32_e32 v7, v6, v8
	v_fma_f32 v6, v6, v7, 1.0
	v_and_b32_e32 v7, 1, v3
	v_lshlrev_b32_e32 v3, 30, v3
	v_cmp_eq_u32_e32 vcc, 0, v7
	v_and_b32_e32 v3, 0x80000000, v3
	v_xor_b32_e32 v2, v2, v1
	v_cndmask_b32_e32 v5, v6, v5, vcc
	v_xor_b32_e32 v2, v2, v3
	s_movk_i32 s0, 0x1f8
	v_xor_b32_e32 v2, v2, v5
	v_mov_b32_e32 v3, 0x7fc00000
	v_cmp_class_f32_e64 vcc, v1, s0
	v_cndmask_b32_e32 v2, v3, v2, vcc
	v_div_scale_f32 v3, s[0:1], v1, v1, v2
	v_div_scale_f32 v5, vcc, v2, v1, v2
	v_rcp_f32_e32 v6, v3
	v_fma_f32 v7, -v3, v6, 1.0
	v_fmac_f32_e32 v6, v7, v6
	v_mul_f32_e32 v7, v5, v6
	v_fma_f32 v8, -v3, v7, v5
	v_fmac_f32_e32 v7, v8, v6
	v_fma_f32 v3, -v3, v7, v5
	v_div_fmas_f32 v3, v3, v6, v7
	v_div_fixup_f32 v2, v3, v1, v2
                                        ; implicit-def: $vgpr1
.LBB13_129:
	s_andn2_saveexec_b64 s[0:1], s[8:9]
	s_cbranch_execz .LBB13_131
; %bb.130:
	v_mul_f32_e32 v1, v1, v1
	v_mov_b32_e32 v2, 0xb2d7322b
	v_fmac_f32_e32 v2, 0x2f309231, v1
	v_mov_b32_e32 v3, 0x3638ef1d
	v_fmac_f32_e32 v3, v1, v2
	;; [unrolled: 2-line block ×5, first 2 shown]
	v_fma_f32 v2, v1, v2, 1.0
.LBB13_131:
	s_or_b64 exec, exec, s[0:1]
.LBB13_132:
	s_or_b64 exec, exec, s[6:7]
	v_add_u32_e32 v4, 0x80, v4
	global_store_dword v0, v2, s[16:17]
	s_or_b64 exec, exec, s[48:49]
	v_cmp_gt_i32_e32 vcc, s55, v4
	s_and_saveexec_b64 s[48:49], vcc
	s_cbranch_execnz .LBB13_15
.LBB13_133:
	s_or_b64 exec, exec, s[48:49]
	v_cmp_gt_i32_e32 vcc, s55, v4
	s_and_saveexec_b64 s[48:49], vcc
	s_cbranch_execz .LBB13_159
.LBB13_134:
	s_andn2_b64 vcc, exec, s[36:37]
	s_cbranch_vccnz .LBB13_139
; %bb.135:
	s_andn2_b64 vcc, exec, s[46:47]
	s_cbranch_vccnz .LBB13_140
; %bb.136:
	s_add_i32 s58, s56, 1
	s_cmp_eq_u32 s54, 2
	s_cbranch_scc1 .LBB13_162
; %bb.137:
	s_and_b32 s57, s58, 28
	v_mov_b32_e32 v2, 0
	s_mov_b32 s59, 0
	s_mov_b64 s[50:51], s[34:35]
	s_mov_b64 s[52:53], s[44:45]
	v_mov_b32_e32 v0, 0
	v_mov_b32_e32 v1, v4
.LBB13_138:                             ; =>This Inner Loop Header: Depth=1
	s_load_dwordx8 s[8:15], s[50:51], 0x4
	s_load_dwordx4 s[28:31], s[50:51], 0x24
	s_load_dwordx8 s[0:7], s[52:53], 0x0
	s_add_u32 s50, s50, 48
	s_addc_u32 s51, s51, 0
	s_waitcnt lgkmcnt(0)
	v_mul_hi_u32 v3, s9, v1
	s_add_i32 s59, s59, 4
	s_add_u32 s52, s52, 32
	s_addc_u32 s53, s53, 0
	v_add_u32_e32 v3, v1, v3
	v_lshrrev_b32_e32 v3, s10, v3
	v_mul_lo_u32 v5, v3, s8
	v_mul_hi_u32 v6, s12, v3
	s_cmp_eq_u32 s57, s59
	v_sub_u32_e32 v1, v1, v5
	v_add_u32_e32 v5, v3, v6
	v_mul_lo_u32 v6, v1, s0
	v_mul_lo_u32 v7, v1, s1
	v_lshrrev_b32_e32 v1, s13, v5
	v_mul_lo_u32 v5, v1, s11
	v_mul_hi_u32 v8, s15, v1
	v_sub_u32_e32 v3, v3, v5
	v_add_u32_e32 v5, v1, v8
	v_lshrrev_b32_e32 v5, s28, v5
	v_mul_hi_u32 v9, s30, v5
	v_mul_lo_u32 v10, v5, s14
	v_mul_lo_u32 v8, v3, s2
	;; [unrolled: 1-line block ×3, first 2 shown]
	v_sub_u32_e32 v10, v1, v10
	v_add_u32_e32 v1, v5, v9
	v_lshrrev_b32_e32 v1, s31, v1
	v_mul_lo_u32 v9, v1, s29
	v_mul_lo_u32 v11, v10, s4
	;; [unrolled: 1-line block ×3, first 2 shown]
	v_add3_u32 v0, v6, v0, v8
	v_sub_u32_e32 v5, v5, v9
	v_mul_lo_u32 v9, v5, s6
	v_mul_lo_u32 v5, v5, s7
	v_add3_u32 v2, v7, v2, v3
	v_add3_u32 v0, v11, v0, v9
	;; [unrolled: 1-line block ×3, first 2 shown]
	s_cbranch_scc0 .LBB13_138
	s_branch .LBB13_163
.LBB13_139:
                                        ; implicit-def: $vgpr0
                                        ; implicit-def: $vgpr2
	s_branch .LBB13_167
.LBB13_140:
	v_mov_b32_e32 v0, 0
	v_mov_b32_e32 v2, 0
	s_branch .LBB13_166
.LBB13_141:
	s_mov_b32 s57, 0
	v_mov_b32_e32 v0, 0
	v_mov_b32_e32 v2, 0
	;; [unrolled: 1-line block ×3, first 2 shown]
.LBB13_142:
	s_and_b32 s4, s58, 3
	s_cmp_eq_u32 s4, 0
	s_cbranch_scc1 .LBB13_145
; %bb.143:
	s_lshl_b32 s0, s57, 3
	s_add_u32 s0, s34, s0
	s_addc_u32 s1, s35, 0
	s_add_u32 s0, s0, 0xc4
	s_addc_u32 s1, s1, 0
	s_mul_i32 s2, s57, 12
	s_add_u32 s2, s34, s2
	s_addc_u32 s3, s35, 0
.LBB13_144:                             ; =>This Inner Loop Header: Depth=1
	s_load_dwordx2 s[6:7], s[2:3], 0x4
	s_load_dword s5, s[2:3], 0xc
	s_load_dwordx2 s[8:9], s[0:1], 0x0
	s_add_u32 s2, s2, 12
	s_addc_u32 s3, s3, 0
	s_waitcnt lgkmcnt(0)
	v_mul_hi_u32 v3, s7, v1
	s_add_u32 s0, s0, 8
	s_addc_u32 s1, s1, 0
	s_add_i32 s4, s4, -1
	v_add_u32_e32 v3, v1, v3
	v_lshrrev_b32_e32 v5, s5, v3
	v_mul_lo_u32 v3, v5, s6
	s_cmp_lg_u32 s4, 0
	v_sub_u32_e32 v3, v1, v3
	v_mad_u64_u32 v[0:1], s[6:7], v3, s8, v[0:1]
	v_mad_u64_u32 v[2:3], s[6:7], v3, s9, v[2:3]
	v_mov_b32_e32 v1, v5
	s_cbranch_scc1 .LBB13_144
.LBB13_145:
	s_cbranch_execnz .LBB13_148
.LBB13_146:
	s_waitcnt lgkmcnt(0)
	v_mul_hi_u32 v0, s25, v4
	s_andn2_b64 vcc, exec, s[42:43]
	v_add_u32_e32 v0, v4, v0
	v_lshrrev_b32_e32 v1, s26, v0
	v_mul_lo_u32 v0, v1, s24
	v_sub_u32_e32 v2, v4, v0
	v_mul_lo_u32 v0, v2, s20
	v_mul_lo_u32 v2, v2, s21
	s_cbranch_vccnz .LBB13_148
; %bb.147:
	v_mul_hi_u32 v3, s40, v1
	v_add_u32_e32 v3, v1, v3
	v_lshrrev_b32_e32 v3, s41, v3
	v_mul_lo_u32 v3, v3, s27
	v_sub_u32_e32 v3, v1, v3
	v_mad_u64_u32 v[0:1], s[0:1], v3, s22, v[0:1]
	v_mad_u64_u32 v[2:3], s[0:1], v3, s23, v[2:3]
.LBB13_148:
	s_waitcnt lgkmcnt(0)
	global_load_dword v1, v2, s[18:19]
	s_mov_b32 s0, 0x7f800000
	v_mov_b32_e32 v2, 0
	s_waitcnt vmcnt(0)
	v_cmp_neq_f32_e64 s[0:1], |v1|, s0
	s_and_saveexec_b64 s[6:7], s[0:1]
	s_cbranch_execz .LBB13_158
; %bb.149:
	v_cmp_nlt_f32_e64 s[0:1], |v1|, 0.5
                                        ; implicit-def: $vgpr2
	s_and_saveexec_b64 s[2:3], s[0:1]
	s_xor_b64 s[8:9], exec, s[2:3]
	s_cbranch_execz .LBB13_155
; %bb.150:
	s_brev_b32 s0, 18
	v_and_b32_e32 v2, 0x7fffffff, v1
	v_cmp_nlt_f32_e64 s[0:1], |v1|, s0
                                        ; implicit-def: $vgpr3
                                        ; implicit-def: $vgpr5
	s_and_saveexec_b64 s[2:3], s[0:1]
	s_xor_b64 s[10:11], exec, s[2:3]
	s_cbranch_execz .LBB13_152
; %bb.151:
	v_and_b32_e32 v3, 0x7fffff, v2
	v_or_b32_e32 v3, 0x800000, v3
	s_mov_b32 s0, 0xfe5163ab
	v_mad_u64_u32 v[5:6], s[0:1], v3, s0, 0
	v_mov_b32_e32 v7, 0
	s_mov_b32 s0, 0x3c439041
	v_mad_u64_u32 v[8:9], s[0:1], v3, s0, v[6:7]
	s_mov_b32 s0, 0xdb629599
	v_not_b32_e32 v13, 63
	v_mov_b32_e32 v6, v9
	v_mad_u64_u32 v[9:10], s[0:1], v3, s0, v[6:7]
	s_mov_b32 s0, 0xf534ddc0
	v_not_b32_e32 v15, 31
	v_mov_b32_e32 v6, v10
	v_mad_u64_u32 v[10:11], s[0:1], v3, s0, v[6:7]
	v_lshrrev_b32_e32 v6, 23, v2
	v_add_u32_e32 v14, 0xffffff88, v6
	v_mov_b32_e32 v6, v11
	s_mov_b32 s0, 0xfc2757d1
	v_mad_u64_u32 v[11:12], s[0:1], v3, s0, v[6:7]
	v_cmp_lt_u32_e32 vcc, 63, v14
	v_cndmask_b32_e32 v6, 0, v13, vcc
	v_add_u32_e32 v14, v6, v14
	v_mov_b32_e32 v6, v12
	s_mov_b32 s0, 0x4e441529
	v_mad_u64_u32 v[12:13], s[0:1], v3, s0, v[6:7]
	v_cmp_lt_u32_e64 s[0:1], 31, v14
	v_cndmask_b32_e64 v6, 0, v15, s[0:1]
	v_add_u32_e32 v14, v6, v14
	v_mov_b32_e32 v6, v13
	s_mov_b32 s2, 0xa2f9836e
	v_mad_u64_u32 v[6:7], s[2:3], v3, s2, v[6:7]
	v_cmp_lt_u32_e64 s[2:3], 31, v14
	v_cndmask_b32_e64 v3, 0, v15, s[2:3]
	v_cndmask_b32_e32 v13, v12, v10, vcc
	v_cndmask_b32_e32 v6, v6, v11, vcc
	;; [unrolled: 1-line block ×3, first 2 shown]
	v_add_u32_e32 v3, v3, v14
	v_cndmask_b32_e64 v14, v6, v13, s[0:1]
	v_cndmask_b32_e64 v6, v7, v6, s[0:1]
	v_cndmask_b32_e32 v7, v11, v9, vcc
	v_cndmask_b32_e64 v11, v13, v7, s[0:1]
	v_cndmask_b32_e64 v6, v6, v14, s[2:3]
	;; [unrolled: 1-line block ×3, first 2 shown]
	v_sub_u32_e32 v13, 32, v3
	v_alignbit_b32 v14, v6, v12, v13
	v_cmp_eq_u32_e64 s[4:5], 0, v3
	v_cndmask_b32_e64 v3, v14, v6, s[4:5]
	v_cndmask_b32_e32 v6, v10, v8, vcc
	v_cndmask_b32_e64 v7, v7, v6, s[0:1]
	v_cndmask_b32_e64 v8, v11, v7, s[2:3]
	v_alignbit_b32 v10, v12, v8, v13
	v_cndmask_b32_e32 v5, v9, v5, vcc
	v_cndmask_b32_e64 v10, v10, v12, s[4:5]
	v_bfe_u32 v14, v3, 29, 1
	v_cndmask_b32_e64 v5, v6, v5, s[0:1]
	v_alignbit_b32 v11, v3, v10, 30
	v_sub_u32_e32 v15, 0, v14
	v_cndmask_b32_e64 v5, v7, v5, s[2:3]
	v_xor_b32_e32 v11, v11, v15
	v_alignbit_b32 v6, v8, v5, v13
	v_cndmask_b32_e64 v6, v6, v8, s[4:5]
	v_ffbh_u32_e32 v8, v11
	v_alignbit_b32 v7, v10, v6, 30
	v_min_u32_e32 v8, 32, v8
	v_alignbit_b32 v5, v6, v5, 30
	v_xor_b32_e32 v7, v7, v15
	v_sub_u32_e32 v9, 31, v8
	v_xor_b32_e32 v5, v5, v15
	v_alignbit_b32 v10, v11, v7, v9
	v_alignbit_b32 v5, v7, v5, v9
	;; [unrolled: 1-line block ×3, first 2 shown]
	v_ffbh_u32_e32 v7, v6
	v_min_u32_e32 v7, 32, v7
	v_lshrrev_b32_e32 v12, 29, v3
	v_not_b32_e32 v9, v7
	v_alignbit_b32 v5, v6, v5, v9
	v_lshlrev_b32_e32 v6, 31, v12
	v_or_b32_e32 v9, 0x33000000, v6
	v_add_lshl_u32 v7, v7, v8, 23
	v_lshrrev_b32_e32 v5, 9, v5
	v_sub_u32_e32 v7, v9, v7
	v_or_b32_e32 v6, 0.5, v6
	v_lshlrev_b32_e32 v8, 23, v8
	v_or_b32_e32 v5, v7, v5
	v_lshrrev_b32_e32 v7, 9, v10
	v_sub_u32_e32 v6, v6, v8
	v_or_b32_e32 v6, v7, v6
	s_mov_b32 s0, 0x3fc90fda
	v_mul_f32_e32 v7, 0x3fc90fda, v6
	v_fma_f32 v8, v6, s0, -v7
	v_fmac_f32_e32 v8, 0x33a22168, v6
	v_fmac_f32_e32 v8, 0x3fc90fda, v5
	v_lshrrev_b32_e32 v3, 30, v3
	v_add_f32_e32 v5, v7, v8
	v_add_u32_e32 v3, v14, v3
.LBB13_152:
	s_andn2_saveexec_b64 s[0:1], s[10:11]
	s_cbranch_execz .LBB13_154
; %bb.153:
	s_mov_b32 s2, 0x3f22f983
	v_mul_f32_e64 v3, |v1|, s2
	v_rndne_f32_e32 v6, v3
	s_mov_b32 s2, 0xbfc90fda
	v_cvt_i32_f32_e32 v3, v6
	v_fma_f32 v5, v6, s2, |v1|
	v_fmac_f32_e32 v5, 0xb3a22168, v6
	v_fmac_f32_e32 v5, 0xa7c234c4, v6
.LBB13_154:
	s_or_b64 exec, exec, s[0:1]
	v_mul_f32_e32 v6, v5, v5
	v_mov_b32_e32 v7, 0x3c0881c4
	v_fmac_f32_e32 v7, 0xb94c1982, v6
	v_mov_b32_e32 v8, 0xbe2aaa9d
	v_fmac_f32_e32 v8, v6, v7
	v_mul_f32_e32 v7, v6, v8
	v_fmac_f32_e32 v5, v5, v7
	v_mov_b32_e32 v7, 0xbab64f3b
	v_fmac_f32_e32 v7, 0x37d75334, v6
	v_mov_b32_e32 v8, 0x3d2aabf7
	;; [unrolled: 2-line block ×3, first 2 shown]
	v_fmac_f32_e32 v7, v6, v8
	v_fma_f32 v6, v6, v7, 1.0
	v_and_b32_e32 v7, 1, v3
	v_lshlrev_b32_e32 v3, 30, v3
	v_cmp_eq_u32_e32 vcc, 0, v7
	v_and_b32_e32 v3, 0x80000000, v3
	v_xor_b32_e32 v2, v2, v1
	v_cndmask_b32_e32 v5, v6, v5, vcc
	v_xor_b32_e32 v2, v2, v3
	s_movk_i32 s0, 0x1f8
	v_xor_b32_e32 v2, v2, v5
	v_mov_b32_e32 v3, 0x7fc00000
	v_cmp_class_f32_e64 vcc, v1, s0
	v_cndmask_b32_e32 v2, v3, v2, vcc
	v_div_scale_f32 v3, s[0:1], v1, v1, v2
	v_div_scale_f32 v5, vcc, v2, v1, v2
	v_rcp_f32_e32 v6, v3
	v_fma_f32 v7, -v3, v6, 1.0
	v_fmac_f32_e32 v6, v7, v6
	v_mul_f32_e32 v7, v5, v6
	v_fma_f32 v8, -v3, v7, v5
	v_fmac_f32_e32 v7, v8, v6
	v_fma_f32 v3, -v3, v7, v5
	v_div_fmas_f32 v3, v3, v6, v7
	v_div_fixup_f32 v2, v3, v1, v2
                                        ; implicit-def: $vgpr1
.LBB13_155:
	s_andn2_saveexec_b64 s[0:1], s[8:9]
	s_cbranch_execz .LBB13_157
; %bb.156:
	v_mul_f32_e32 v1, v1, v1
	v_mov_b32_e32 v2, 0xb2d7322b
	v_fmac_f32_e32 v2, 0x2f309231, v1
	v_mov_b32_e32 v3, 0x3638ef1d
	v_fmac_f32_e32 v3, v1, v2
	;; [unrolled: 2-line block ×5, first 2 shown]
	v_fma_f32 v2, v1, v2, 1.0
.LBB13_157:
	s_or_b64 exec, exec, s[0:1]
.LBB13_158:
	s_or_b64 exec, exec, s[6:7]
	v_add_u32_e32 v4, 0x80, v4
	global_store_dword v0, v2, s[16:17]
	s_or_b64 exec, exec, s[48:49]
	v_cmp_gt_i32_e32 vcc, s55, v4
	s_and_saveexec_b64 s[48:49], vcc
	s_cbranch_execnz .LBB13_134
.LBB13_159:
	s_or_b64 exec, exec, s[48:49]
	v_cmp_gt_i32_e32 vcc, s55, v4
	s_and_saveexec_b64 s[48:49], vcc
	s_cbranch_execnz .LBB13_180
.LBB13_160:
	s_or_b64 exec, exec, s[48:49]
                                        ; implicit-def: $vgpr10
                                        ; implicit-def: $vgpr4
	s_andn2_saveexec_b64 s[0:1], s[38:39]
	s_cbranch_execnz .LBB13_8
.LBB13_161:
	s_endpgm
.LBB13_162:
	s_mov_b32 s57, 0
	v_mov_b32_e32 v0, 0
	v_mov_b32_e32 v2, 0
	;; [unrolled: 1-line block ×3, first 2 shown]
.LBB13_163:
	s_and_b32 s4, s58, 3
	s_cmp_eq_u32 s4, 0
	s_cbranch_scc1 .LBB13_166
; %bb.164:
	s_lshl_b32 s0, s57, 3
	s_add_u32 s0, s34, s0
	s_addc_u32 s1, s35, 0
	s_add_u32 s0, s0, 0xc4
	s_addc_u32 s1, s1, 0
	s_mul_i32 s2, s57, 12
	s_add_u32 s2, s34, s2
	s_addc_u32 s3, s35, 0
.LBB13_165:                             ; =>This Inner Loop Header: Depth=1
	s_load_dwordx2 s[6:7], s[2:3], 0x4
	s_load_dword s5, s[2:3], 0xc
	s_load_dwordx2 s[8:9], s[0:1], 0x0
	s_add_u32 s2, s2, 12
	s_addc_u32 s3, s3, 0
	s_waitcnt lgkmcnt(0)
	v_mul_hi_u32 v3, s7, v1
	s_add_u32 s0, s0, 8
	s_addc_u32 s1, s1, 0
	s_add_i32 s4, s4, -1
	v_add_u32_e32 v3, v1, v3
	v_lshrrev_b32_e32 v5, s5, v3
	v_mul_lo_u32 v3, v5, s6
	s_cmp_lg_u32 s4, 0
	v_sub_u32_e32 v3, v1, v3
	v_mad_u64_u32 v[0:1], s[6:7], v3, s8, v[0:1]
	v_mad_u64_u32 v[2:3], s[6:7], v3, s9, v[2:3]
	v_mov_b32_e32 v1, v5
	s_cbranch_scc1 .LBB13_165
.LBB13_166:
	s_cbranch_execnz .LBB13_169
.LBB13_167:
	s_waitcnt lgkmcnt(0)
	v_mul_hi_u32 v0, s25, v4
	s_andn2_b64 vcc, exec, s[42:43]
	v_add_u32_e32 v0, v4, v0
	v_lshrrev_b32_e32 v1, s26, v0
	v_mul_lo_u32 v0, v1, s24
	v_sub_u32_e32 v2, v4, v0
	v_mul_lo_u32 v0, v2, s20
	v_mul_lo_u32 v2, v2, s21
	s_cbranch_vccnz .LBB13_169
; %bb.168:
	v_mul_hi_u32 v3, s40, v1
	v_add_u32_e32 v3, v1, v3
	v_lshrrev_b32_e32 v3, s41, v3
	v_mul_lo_u32 v3, v3, s27
	v_sub_u32_e32 v3, v1, v3
	v_mad_u64_u32 v[0:1], s[0:1], v3, s22, v[0:1]
	v_mad_u64_u32 v[2:3], s[0:1], v3, s23, v[2:3]
.LBB13_169:
	s_waitcnt lgkmcnt(0)
	global_load_dword v1, v2, s[18:19]
	s_mov_b32 s0, 0x7f800000
	v_mov_b32_e32 v2, 0
	s_waitcnt vmcnt(0)
	v_cmp_neq_f32_e64 s[0:1], |v1|, s0
	s_and_saveexec_b64 s[6:7], s[0:1]
	s_cbranch_execz .LBB13_179
; %bb.170:
	v_cmp_nlt_f32_e64 s[0:1], |v1|, 0.5
                                        ; implicit-def: $vgpr2
	s_and_saveexec_b64 s[2:3], s[0:1]
	s_xor_b64 s[8:9], exec, s[2:3]
	s_cbranch_execz .LBB13_176
; %bb.171:
	s_brev_b32 s0, 18
	v_and_b32_e32 v2, 0x7fffffff, v1
	v_cmp_nlt_f32_e64 s[0:1], |v1|, s0
                                        ; implicit-def: $vgpr3
                                        ; implicit-def: $vgpr5
	s_and_saveexec_b64 s[2:3], s[0:1]
	s_xor_b64 s[10:11], exec, s[2:3]
	s_cbranch_execz .LBB13_173
; %bb.172:
	v_and_b32_e32 v3, 0x7fffff, v2
	v_or_b32_e32 v3, 0x800000, v3
	s_mov_b32 s0, 0xfe5163ab
	v_mad_u64_u32 v[5:6], s[0:1], v3, s0, 0
	v_mov_b32_e32 v7, 0
	s_mov_b32 s0, 0x3c439041
	v_mad_u64_u32 v[8:9], s[0:1], v3, s0, v[6:7]
	s_mov_b32 s0, 0xdb629599
	v_not_b32_e32 v13, 63
	v_mov_b32_e32 v6, v9
	v_mad_u64_u32 v[9:10], s[0:1], v3, s0, v[6:7]
	s_mov_b32 s0, 0xf534ddc0
	v_not_b32_e32 v15, 31
	v_mov_b32_e32 v6, v10
	v_mad_u64_u32 v[10:11], s[0:1], v3, s0, v[6:7]
	v_lshrrev_b32_e32 v6, 23, v2
	v_add_u32_e32 v14, 0xffffff88, v6
	v_mov_b32_e32 v6, v11
	s_mov_b32 s0, 0xfc2757d1
	v_mad_u64_u32 v[11:12], s[0:1], v3, s0, v[6:7]
	v_cmp_lt_u32_e32 vcc, 63, v14
	v_cndmask_b32_e32 v6, 0, v13, vcc
	v_add_u32_e32 v14, v6, v14
	v_mov_b32_e32 v6, v12
	s_mov_b32 s0, 0x4e441529
	v_mad_u64_u32 v[12:13], s[0:1], v3, s0, v[6:7]
	v_cmp_lt_u32_e64 s[0:1], 31, v14
	v_cndmask_b32_e64 v6, 0, v15, s[0:1]
	v_add_u32_e32 v14, v6, v14
	v_mov_b32_e32 v6, v13
	s_mov_b32 s2, 0xa2f9836e
	v_mad_u64_u32 v[6:7], s[2:3], v3, s2, v[6:7]
	v_cmp_lt_u32_e64 s[2:3], 31, v14
	v_cndmask_b32_e64 v3, 0, v15, s[2:3]
	v_cndmask_b32_e32 v13, v12, v10, vcc
	v_cndmask_b32_e32 v6, v6, v11, vcc
	;; [unrolled: 1-line block ×3, first 2 shown]
	v_add_u32_e32 v3, v3, v14
	v_cndmask_b32_e64 v14, v6, v13, s[0:1]
	v_cndmask_b32_e64 v6, v7, v6, s[0:1]
	v_cndmask_b32_e32 v7, v11, v9, vcc
	v_cndmask_b32_e64 v11, v13, v7, s[0:1]
	v_cndmask_b32_e64 v6, v6, v14, s[2:3]
	;; [unrolled: 1-line block ×3, first 2 shown]
	v_sub_u32_e32 v13, 32, v3
	v_alignbit_b32 v14, v6, v12, v13
	v_cmp_eq_u32_e64 s[4:5], 0, v3
	v_cndmask_b32_e64 v3, v14, v6, s[4:5]
	v_cndmask_b32_e32 v6, v10, v8, vcc
	v_cndmask_b32_e64 v7, v7, v6, s[0:1]
	v_cndmask_b32_e64 v8, v11, v7, s[2:3]
	v_alignbit_b32 v10, v12, v8, v13
	v_cndmask_b32_e32 v5, v9, v5, vcc
	v_cndmask_b32_e64 v10, v10, v12, s[4:5]
	v_bfe_u32 v14, v3, 29, 1
	v_cndmask_b32_e64 v5, v6, v5, s[0:1]
	v_alignbit_b32 v11, v3, v10, 30
	v_sub_u32_e32 v15, 0, v14
	v_cndmask_b32_e64 v5, v7, v5, s[2:3]
	v_xor_b32_e32 v11, v11, v15
	v_alignbit_b32 v6, v8, v5, v13
	v_cndmask_b32_e64 v6, v6, v8, s[4:5]
	v_ffbh_u32_e32 v8, v11
	v_alignbit_b32 v7, v10, v6, 30
	v_min_u32_e32 v8, 32, v8
	v_alignbit_b32 v5, v6, v5, 30
	v_xor_b32_e32 v7, v7, v15
	v_sub_u32_e32 v9, 31, v8
	v_xor_b32_e32 v5, v5, v15
	v_alignbit_b32 v10, v11, v7, v9
	v_alignbit_b32 v5, v7, v5, v9
	;; [unrolled: 1-line block ×3, first 2 shown]
	v_ffbh_u32_e32 v7, v6
	v_min_u32_e32 v7, 32, v7
	v_lshrrev_b32_e32 v12, 29, v3
	v_not_b32_e32 v9, v7
	v_alignbit_b32 v5, v6, v5, v9
	v_lshlrev_b32_e32 v6, 31, v12
	v_or_b32_e32 v9, 0x33000000, v6
	v_add_lshl_u32 v7, v7, v8, 23
	v_lshrrev_b32_e32 v5, 9, v5
	v_sub_u32_e32 v7, v9, v7
	v_or_b32_e32 v6, 0.5, v6
	v_lshlrev_b32_e32 v8, 23, v8
	v_or_b32_e32 v5, v7, v5
	v_lshrrev_b32_e32 v7, 9, v10
	v_sub_u32_e32 v6, v6, v8
	v_or_b32_e32 v6, v7, v6
	s_mov_b32 s0, 0x3fc90fda
	v_mul_f32_e32 v7, 0x3fc90fda, v6
	v_fma_f32 v8, v6, s0, -v7
	v_fmac_f32_e32 v8, 0x33a22168, v6
	v_fmac_f32_e32 v8, 0x3fc90fda, v5
	v_lshrrev_b32_e32 v3, 30, v3
	v_add_f32_e32 v5, v7, v8
	v_add_u32_e32 v3, v14, v3
.LBB13_173:
	s_andn2_saveexec_b64 s[0:1], s[10:11]
	s_cbranch_execz .LBB13_175
; %bb.174:
	s_mov_b32 s2, 0x3f22f983
	v_mul_f32_e64 v3, |v1|, s2
	v_rndne_f32_e32 v6, v3
	s_mov_b32 s2, 0xbfc90fda
	v_cvt_i32_f32_e32 v3, v6
	v_fma_f32 v5, v6, s2, |v1|
	v_fmac_f32_e32 v5, 0xb3a22168, v6
	v_fmac_f32_e32 v5, 0xa7c234c4, v6
.LBB13_175:
	s_or_b64 exec, exec, s[0:1]
	v_mul_f32_e32 v6, v5, v5
	v_mov_b32_e32 v7, 0x3c0881c4
	v_fmac_f32_e32 v7, 0xb94c1982, v6
	v_mov_b32_e32 v8, 0xbe2aaa9d
	v_fmac_f32_e32 v8, v6, v7
	v_mul_f32_e32 v7, v6, v8
	v_fmac_f32_e32 v5, v5, v7
	v_mov_b32_e32 v7, 0xbab64f3b
	v_fmac_f32_e32 v7, 0x37d75334, v6
	v_mov_b32_e32 v8, 0x3d2aabf7
	;; [unrolled: 2-line block ×3, first 2 shown]
	v_fmac_f32_e32 v7, v6, v8
	v_fma_f32 v6, v6, v7, 1.0
	v_and_b32_e32 v7, 1, v3
	v_lshlrev_b32_e32 v3, 30, v3
	v_cmp_eq_u32_e32 vcc, 0, v7
	v_and_b32_e32 v3, 0x80000000, v3
	v_xor_b32_e32 v2, v2, v1
	v_cndmask_b32_e32 v5, v6, v5, vcc
	v_xor_b32_e32 v2, v2, v3
	s_movk_i32 s0, 0x1f8
	v_xor_b32_e32 v2, v2, v5
	v_mov_b32_e32 v3, 0x7fc00000
	v_cmp_class_f32_e64 vcc, v1, s0
	v_cndmask_b32_e32 v2, v3, v2, vcc
	v_div_scale_f32 v3, s[0:1], v1, v1, v2
	v_div_scale_f32 v5, vcc, v2, v1, v2
	v_rcp_f32_e32 v6, v3
	v_fma_f32 v7, -v3, v6, 1.0
	v_fmac_f32_e32 v6, v7, v6
	v_mul_f32_e32 v7, v5, v6
	v_fma_f32 v8, -v3, v7, v5
	v_fmac_f32_e32 v7, v8, v6
	v_fma_f32 v3, -v3, v7, v5
	v_div_fmas_f32 v3, v3, v6, v7
	v_div_fixup_f32 v2, v3, v1, v2
                                        ; implicit-def: $vgpr1
.LBB13_176:
	s_andn2_saveexec_b64 s[0:1], s[8:9]
	s_cbranch_execz .LBB13_178
; %bb.177:
	v_mul_f32_e32 v1, v1, v1
	v_mov_b32_e32 v2, 0xb2d7322b
	v_fmac_f32_e32 v2, 0x2f309231, v1
	v_mov_b32_e32 v3, 0x3638ef1d
	v_fmac_f32_e32 v3, v1, v2
	;; [unrolled: 2-line block ×5, first 2 shown]
	v_fma_f32 v2, v1, v2, 1.0
.LBB13_178:
	s_or_b64 exec, exec, s[0:1]
.LBB13_179:
	s_or_b64 exec, exec, s[6:7]
	v_add_u32_e32 v4, 0x80, v4
	global_store_dword v0, v2, s[16:17]
	s_or_b64 exec, exec, s[48:49]
	v_cmp_gt_i32_e32 vcc, s55, v4
	s_and_saveexec_b64 s[48:49], vcc
	s_cbranch_execz .LBB13_160
.LBB13_180:
	s_andn2_b64 vcc, exec, s[36:37]
	s_cbranch_vccnz .LBB13_185
; %bb.181:
	s_andn2_b64 vcc, exec, s[46:47]
	s_cbranch_vccnz .LBB13_186
; %bb.182:
	s_add_i32 s56, s56, 1
	s_cmp_eq_u32 s54, 2
	s_cbranch_scc1 .LBB13_187
; %bb.183:
	s_and_b32 s50, s56, 28
	v_mov_b32_e32 v2, 0
	s_mov_b32 s51, 0
	s_mov_b64 s[46:47], s[34:35]
	v_mov_b32_e32 v0, 0
	v_mov_b32_e32 v1, v4
.LBB13_184:                             ; =>This Inner Loop Header: Depth=1
	s_load_dwordx8 s[8:15], s[46:47], 0x4
	s_load_dwordx4 s[28:31], s[46:47], 0x24
	s_load_dwordx8 s[0:7], s[44:45], 0x0
	s_add_u32 s46, s46, 48
	s_addc_u32 s47, s47, 0
	s_waitcnt lgkmcnt(0)
	v_mul_hi_u32 v3, s9, v1
	s_add_i32 s51, s51, 4
	s_add_u32 s44, s44, 32
	s_addc_u32 s45, s45, 0
	v_add_u32_e32 v3, v1, v3
	v_lshrrev_b32_e32 v3, s10, v3
	v_mul_lo_u32 v5, v3, s8
	v_mul_hi_u32 v6, s12, v3
	s_cmp_eq_u32 s50, s51
	v_sub_u32_e32 v1, v1, v5
	v_add_u32_e32 v5, v3, v6
	v_mul_lo_u32 v6, v1, s0
	v_mul_lo_u32 v7, v1, s1
	v_lshrrev_b32_e32 v1, s13, v5
	v_mul_lo_u32 v5, v1, s11
	v_mul_hi_u32 v8, s15, v1
	v_sub_u32_e32 v3, v3, v5
	v_add_u32_e32 v5, v1, v8
	v_lshrrev_b32_e32 v5, s28, v5
	v_mul_hi_u32 v9, s30, v5
	v_mul_lo_u32 v10, v5, s14
	v_mul_lo_u32 v8, v3, s2
	;; [unrolled: 1-line block ×3, first 2 shown]
	v_sub_u32_e32 v10, v1, v10
	v_add_u32_e32 v1, v5, v9
	v_lshrrev_b32_e32 v1, s31, v1
	v_mul_lo_u32 v9, v1, s29
	v_mul_lo_u32 v11, v10, s4
	;; [unrolled: 1-line block ×3, first 2 shown]
	v_add3_u32 v0, v6, v0, v8
	v_sub_u32_e32 v5, v5, v9
	v_mul_lo_u32 v9, v5, s6
	v_mul_lo_u32 v5, v5, s7
	v_add3_u32 v2, v7, v2, v3
	v_add3_u32 v0, v11, v0, v9
	;; [unrolled: 1-line block ×3, first 2 shown]
	s_cbranch_scc0 .LBB13_184
	s_branch .LBB13_188
.LBB13_185:
                                        ; implicit-def: $vgpr0
                                        ; implicit-def: $vgpr2
	s_branch .LBB13_192
.LBB13_186:
	v_mov_b32_e32 v0, 0
	v_mov_b32_e32 v2, 0
	s_branch .LBB13_191
.LBB13_187:
	s_mov_b32 s50, 0
	v_mov_b32_e32 v0, 0
	v_mov_b32_e32 v2, 0
	;; [unrolled: 1-line block ×3, first 2 shown]
.LBB13_188:
	s_and_b32 s4, s56, 3
	s_cmp_eq_u32 s4, 0
	s_cbranch_scc1 .LBB13_191
; %bb.189:
	s_lshl_b32 s0, s50, 3
	s_add_u32 s0, s34, s0
	s_addc_u32 s1, s35, 0
	s_add_u32 s0, s0, 0xc4
	s_addc_u32 s1, s1, 0
	s_mul_i32 s2, s50, 12
	s_add_u32 s2, s34, s2
	s_addc_u32 s3, s35, 0
.LBB13_190:                             ; =>This Inner Loop Header: Depth=1
	s_load_dwordx2 s[6:7], s[2:3], 0x4
	s_load_dword s5, s[2:3], 0xc
	s_load_dwordx2 s[8:9], s[0:1], 0x0
	s_add_u32 s2, s2, 12
	s_addc_u32 s3, s3, 0
	s_waitcnt lgkmcnt(0)
	v_mul_hi_u32 v3, s7, v1
	s_add_u32 s0, s0, 8
	s_addc_u32 s1, s1, 0
	s_add_i32 s4, s4, -1
	v_add_u32_e32 v3, v1, v3
	v_lshrrev_b32_e32 v5, s5, v3
	v_mul_lo_u32 v3, v5, s6
	s_cmp_lg_u32 s4, 0
	v_sub_u32_e32 v3, v1, v3
	v_mad_u64_u32 v[0:1], s[6:7], v3, s8, v[0:1]
	v_mad_u64_u32 v[2:3], s[6:7], v3, s9, v[2:3]
	v_mov_b32_e32 v1, v5
	s_cbranch_scc1 .LBB13_190
.LBB13_191:
	s_cbranch_execnz .LBB13_194
.LBB13_192:
	s_waitcnt lgkmcnt(0)
	v_mul_hi_u32 v0, s25, v4
	s_andn2_b64 vcc, exec, s[42:43]
	v_add_u32_e32 v0, v4, v0
	v_lshrrev_b32_e32 v1, s26, v0
	v_mul_lo_u32 v0, v1, s24
	v_sub_u32_e32 v2, v4, v0
	v_mul_lo_u32 v0, v2, s20
	v_mul_lo_u32 v2, v2, s21
	s_cbranch_vccnz .LBB13_194
; %bb.193:
	v_mul_hi_u32 v3, s40, v1
	v_add_u32_e32 v3, v1, v3
	v_lshrrev_b32_e32 v3, s41, v3
	v_mul_lo_u32 v3, v3, s27
	v_sub_u32_e32 v3, v1, v3
	v_mad_u64_u32 v[0:1], s[0:1], v3, s22, v[0:1]
	v_mad_u64_u32 v[2:3], s[0:1], v3, s23, v[2:3]
.LBB13_194:
	s_waitcnt lgkmcnt(0)
	global_load_dword v1, v2, s[18:19]
	s_mov_b32 s0, 0x7f800000
	v_mov_b32_e32 v2, 0
	s_waitcnt vmcnt(0)
	v_cmp_neq_f32_e64 s[0:1], |v1|, s0
	s_and_saveexec_b64 s[6:7], s[0:1]
	s_cbranch_execz .LBB13_204
; %bb.195:
	v_cmp_nlt_f32_e64 s[0:1], |v1|, 0.5
                                        ; implicit-def: $vgpr2
	s_and_saveexec_b64 s[2:3], s[0:1]
	s_xor_b64 s[8:9], exec, s[2:3]
	s_cbranch_execz .LBB13_201
; %bb.196:
	s_brev_b32 s0, 18
	v_and_b32_e32 v2, 0x7fffffff, v1
	v_cmp_nlt_f32_e64 s[0:1], |v1|, s0
                                        ; implicit-def: $vgpr3
                                        ; implicit-def: $vgpr4
	s_and_saveexec_b64 s[2:3], s[0:1]
	s_xor_b64 s[10:11], exec, s[2:3]
	s_cbranch_execz .LBB13_198
; %bb.197:
	v_and_b32_e32 v3, 0x7fffff, v2
	v_or_b32_e32 v12, 0x800000, v3
	s_mov_b32 s0, 0xfe5163ab
	v_mad_u64_u32 v[3:4], s[0:1], v12, s0, 0
	v_mov_b32_e32 v5, 0
	s_mov_b32 s0, 0x3c439041
	v_mad_u64_u32 v[6:7], s[0:1], v12, s0, v[4:5]
	s_mov_b32 s0, 0xdb629599
	v_not_b32_e32 v11, 63
	v_mov_b32_e32 v4, v7
	v_mad_u64_u32 v[7:8], s[0:1], v12, s0, v[4:5]
	s_mov_b32 s0, 0xf534ddc0
	v_not_b32_e32 v14, 31
	v_mov_b32_e32 v4, v8
	v_mad_u64_u32 v[8:9], s[0:1], v12, s0, v[4:5]
	v_lshrrev_b32_e32 v4, 23, v2
	v_add_u32_e32 v13, 0xffffff88, v4
	v_mov_b32_e32 v4, v9
	s_mov_b32 s0, 0xfc2757d1
	v_mad_u64_u32 v[9:10], s[0:1], v12, s0, v[4:5]
	v_cmp_lt_u32_e32 vcc, 63, v13
	v_cndmask_b32_e32 v4, 0, v11, vcc
	v_add_u32_e32 v13, v4, v13
	v_mov_b32_e32 v4, v10
	s_mov_b32 s0, 0x4e441529
	v_mad_u64_u32 v[10:11], s[0:1], v12, s0, v[4:5]
	v_cmp_lt_u32_e64 s[0:1], 31, v13
	v_cndmask_b32_e64 v4, 0, v14, s[0:1]
	v_add_u32_e32 v13, v4, v13
	v_mov_b32_e32 v4, v11
	s_mov_b32 s2, 0xa2f9836e
	v_mad_u64_u32 v[4:5], s[2:3], v12, s2, v[4:5]
	v_cmp_lt_u32_e64 s[2:3], 31, v13
	v_cndmask_b32_e64 v11, 0, v14, s[2:3]
	v_cndmask_b32_e32 v12, v10, v8, vcc
	v_cndmask_b32_e32 v4, v4, v9, vcc
	;; [unrolled: 1-line block ×3, first 2 shown]
	v_add_u32_e32 v11, v11, v13
	v_cndmask_b32_e64 v13, v4, v12, s[0:1]
	v_cndmask_b32_e64 v4, v5, v4, s[0:1]
	v_cndmask_b32_e32 v5, v9, v7, vcc
	v_cndmask_b32_e64 v9, v12, v5, s[0:1]
	v_cndmask_b32_e64 v4, v4, v13, s[2:3]
	;; [unrolled: 1-line block ×3, first 2 shown]
	v_sub_u32_e32 v12, 32, v11
	v_alignbit_b32 v13, v4, v10, v12
	v_cmp_eq_u32_e64 s[4:5], 0, v11
	v_cndmask_b32_e64 v11, v13, v4, s[4:5]
	v_cndmask_b32_e32 v4, v8, v6, vcc
	v_cndmask_b32_e64 v5, v5, v4, s[0:1]
	v_cndmask_b32_e64 v6, v9, v5, s[2:3]
	v_alignbit_b32 v8, v10, v6, v12
	v_cndmask_b32_e32 v3, v7, v3, vcc
	v_cndmask_b32_e64 v8, v8, v10, s[4:5]
	v_bfe_u32 v13, v11, 29, 1
	v_cndmask_b32_e64 v3, v4, v3, s[0:1]
	v_alignbit_b32 v9, v11, v8, 30
	v_sub_u32_e32 v14, 0, v13
	v_cndmask_b32_e64 v3, v5, v3, s[2:3]
	v_xor_b32_e32 v9, v9, v14
	v_alignbit_b32 v4, v6, v3, v12
	v_cndmask_b32_e64 v4, v4, v6, s[4:5]
	v_ffbh_u32_e32 v6, v9
	v_alignbit_b32 v5, v8, v4, 30
	v_min_u32_e32 v6, 32, v6
	v_alignbit_b32 v3, v4, v3, 30
	v_xor_b32_e32 v5, v5, v14
	v_sub_u32_e32 v7, 31, v6
	v_xor_b32_e32 v3, v3, v14
	v_alignbit_b32 v8, v9, v5, v7
	v_alignbit_b32 v3, v5, v3, v7
	;; [unrolled: 1-line block ×3, first 2 shown]
	v_ffbh_u32_e32 v5, v4
	v_min_u32_e32 v5, 32, v5
	v_lshrrev_b32_e32 v10, 29, v11
	v_not_b32_e32 v7, v5
	v_alignbit_b32 v3, v4, v3, v7
	v_lshlrev_b32_e32 v4, 31, v10
	v_or_b32_e32 v7, 0x33000000, v4
	v_add_lshl_u32 v5, v5, v6, 23
	v_lshrrev_b32_e32 v3, 9, v3
	v_sub_u32_e32 v5, v7, v5
	v_or_b32_e32 v4, 0.5, v4
	v_lshlrev_b32_e32 v6, 23, v6
	v_or_b32_e32 v3, v5, v3
	v_lshrrev_b32_e32 v5, 9, v8
	v_sub_u32_e32 v4, v4, v6
	v_or_b32_e32 v4, v5, v4
	s_mov_b32 s0, 0x3fc90fda
	v_mul_f32_e32 v5, 0x3fc90fda, v4
	v_fma_f32 v6, v4, s0, -v5
	v_fmac_f32_e32 v6, 0x33a22168, v4
	v_fmac_f32_e32 v6, 0x3fc90fda, v3
	v_lshrrev_b32_e32 v3, 30, v11
	v_add_f32_e32 v4, v5, v6
	v_add_u32_e32 v3, v13, v3
.LBB13_198:
	s_andn2_saveexec_b64 s[0:1], s[10:11]
	s_cbranch_execz .LBB13_200
; %bb.199:
	s_mov_b32 s2, 0x3f22f983
	v_mul_f32_e64 v3, |v1|, s2
	v_rndne_f32_e32 v5, v3
	s_mov_b32 s2, 0xbfc90fda
	v_cvt_i32_f32_e32 v3, v5
	v_fma_f32 v4, v5, s2, |v1|
	v_fmac_f32_e32 v4, 0xb3a22168, v5
	v_fmac_f32_e32 v4, 0xa7c234c4, v5
.LBB13_200:
	s_or_b64 exec, exec, s[0:1]
	v_mul_f32_e32 v5, v4, v4
	v_mov_b32_e32 v6, 0x3c0881c4
	v_fmac_f32_e32 v6, 0xb94c1982, v5
	v_mov_b32_e32 v7, 0xbe2aaa9d
	v_fmac_f32_e32 v7, v5, v6
	v_mul_f32_e32 v6, v5, v7
	v_fmac_f32_e32 v4, v4, v6
	v_mov_b32_e32 v6, 0xbab64f3b
	v_fmac_f32_e32 v6, 0x37d75334, v5
	v_mov_b32_e32 v7, 0x3d2aabf7
	;; [unrolled: 2-line block ×3, first 2 shown]
	v_fmac_f32_e32 v6, v5, v7
	v_fma_f32 v5, v5, v6, 1.0
	v_and_b32_e32 v6, 1, v3
	v_lshlrev_b32_e32 v3, 30, v3
	v_cmp_eq_u32_e32 vcc, 0, v6
	v_and_b32_e32 v3, 0x80000000, v3
	v_xor_b32_e32 v2, v2, v1
	v_cndmask_b32_e32 v4, v5, v4, vcc
	v_xor_b32_e32 v2, v2, v3
	s_movk_i32 s0, 0x1f8
	v_xor_b32_e32 v2, v2, v4
	v_mov_b32_e32 v3, 0x7fc00000
	v_cmp_class_f32_e64 vcc, v1, s0
	v_cndmask_b32_e32 v2, v3, v2, vcc
	v_div_scale_f32 v3, s[0:1], v1, v1, v2
	v_div_scale_f32 v4, vcc, v2, v1, v2
	v_rcp_f32_e32 v5, v3
	v_fma_f32 v6, -v3, v5, 1.0
	v_fmac_f32_e32 v5, v6, v5
	v_mul_f32_e32 v6, v4, v5
	v_fma_f32 v7, -v3, v6, v4
	v_fmac_f32_e32 v6, v7, v5
	v_fma_f32 v3, -v3, v6, v4
	v_div_fmas_f32 v3, v3, v5, v6
	v_div_fixup_f32 v2, v3, v1, v2
                                        ; implicit-def: $vgpr1
.LBB13_201:
	s_andn2_saveexec_b64 s[0:1], s[8:9]
	s_cbranch_execz .LBB13_203
; %bb.202:
	v_mul_f32_e32 v1, v1, v1
	v_mov_b32_e32 v2, 0xb2d7322b
	v_fmac_f32_e32 v2, 0x2f309231, v1
	v_mov_b32_e32 v3, 0x3638ef1d
	v_fmac_f32_e32 v3, v1, v2
	v_mov_b32_e32 v2, 0xb9500d01
	v_fmac_f32_e32 v2, v1, v3
	v_mov_b32_e32 v3, 0x3c088889
	v_fmac_f32_e32 v3, v1, v2
	v_mov_b32_e32 v2, 0xbe2aaaab
	v_fmac_f32_e32 v2, v1, v3
	v_fma_f32 v2, v1, v2, 1.0
.LBB13_203:
	s_or_b64 exec, exec, s[0:1]
.LBB13_204:
	s_or_b64 exec, exec, s[6:7]
	global_store_dword v0, v2, s[16:17]
	s_or_b64 exec, exec, s[48:49]
                                        ; implicit-def: $vgpr10
                                        ; implicit-def: $vgpr4
	s_andn2_saveexec_b64 s[0:1], s[38:39]
	s_cbranch_execz .LBB13_161
	s_branch .LBB13_8
	.section	.rodata,"a",@progbits
	.p2align	6, 0x0
	.amdhsa_kernel _ZN2at6native32elementwise_kernel_manual_unrollILi128ELi4EZNS0_22gpu_kernel_impl_nocastIZZZNS0_12_GLOBAL__N_131spherical_bessel_j0_kernel_cudaERNS_18TensorIteratorBaseEENKUlvE_clEvENKUlvE0_clEvEUlfE_EEvS5_RKT_EUlibE_EEviT1_
		.amdhsa_group_segment_fixed_size 0
		.amdhsa_private_segment_fixed_size 0
		.amdhsa_kernarg_size 360
		.amdhsa_user_sgpr_count 6
		.amdhsa_user_sgpr_private_segment_buffer 1
		.amdhsa_user_sgpr_dispatch_ptr 0
		.amdhsa_user_sgpr_queue_ptr 0
		.amdhsa_user_sgpr_kernarg_segment_ptr 1
		.amdhsa_user_sgpr_dispatch_id 0
		.amdhsa_user_sgpr_flat_scratch_init 0
		.amdhsa_user_sgpr_private_segment_size 0
		.amdhsa_uses_dynamic_stack 0
		.amdhsa_system_sgpr_private_segment_wavefront_offset 0
		.amdhsa_system_sgpr_workgroup_id_x 1
		.amdhsa_system_sgpr_workgroup_id_y 0
		.amdhsa_system_sgpr_workgroup_id_z 0
		.amdhsa_system_sgpr_workgroup_info 0
		.amdhsa_system_vgpr_workitem_id 0
		.amdhsa_next_free_vgpr 22
		.amdhsa_next_free_sgpr 60
		.amdhsa_reserve_vcc 1
		.amdhsa_reserve_flat_scratch 0
		.amdhsa_float_round_mode_32 0
		.amdhsa_float_round_mode_16_64 0
		.amdhsa_float_denorm_mode_32 3
		.amdhsa_float_denorm_mode_16_64 3
		.amdhsa_dx10_clamp 1
		.amdhsa_ieee_mode 1
		.amdhsa_fp16_overflow 0
		.amdhsa_exception_fp_ieee_invalid_op 0
		.amdhsa_exception_fp_denorm_src 0
		.amdhsa_exception_fp_ieee_div_zero 0
		.amdhsa_exception_fp_ieee_overflow 0
		.amdhsa_exception_fp_ieee_underflow 0
		.amdhsa_exception_fp_ieee_inexact 0
		.amdhsa_exception_int_div_zero 0
	.end_amdhsa_kernel
	.section	.text._ZN2at6native32elementwise_kernel_manual_unrollILi128ELi4EZNS0_22gpu_kernel_impl_nocastIZZZNS0_12_GLOBAL__N_131spherical_bessel_j0_kernel_cudaERNS_18TensorIteratorBaseEENKUlvE_clEvENKUlvE0_clEvEUlfE_EEvS5_RKT_EUlibE_EEviT1_,"axG",@progbits,_ZN2at6native32elementwise_kernel_manual_unrollILi128ELi4EZNS0_22gpu_kernel_impl_nocastIZZZNS0_12_GLOBAL__N_131spherical_bessel_j0_kernel_cudaERNS_18TensorIteratorBaseEENKUlvE_clEvENKUlvE0_clEvEUlfE_EEvS5_RKT_EUlibE_EEviT1_,comdat
.Lfunc_end13:
	.size	_ZN2at6native32elementwise_kernel_manual_unrollILi128ELi4EZNS0_22gpu_kernel_impl_nocastIZZZNS0_12_GLOBAL__N_131spherical_bessel_j0_kernel_cudaERNS_18TensorIteratorBaseEENKUlvE_clEvENKUlvE0_clEvEUlfE_EEvS5_RKT_EUlibE_EEviT1_, .Lfunc_end13-_ZN2at6native32elementwise_kernel_manual_unrollILi128ELi4EZNS0_22gpu_kernel_impl_nocastIZZZNS0_12_GLOBAL__N_131spherical_bessel_j0_kernel_cudaERNS_18TensorIteratorBaseEENKUlvE_clEvENKUlvE0_clEvEUlfE_EEvS5_RKT_EUlibE_EEviT1_
                                        ; -- End function
	.set _ZN2at6native32elementwise_kernel_manual_unrollILi128ELi4EZNS0_22gpu_kernel_impl_nocastIZZZNS0_12_GLOBAL__N_131spherical_bessel_j0_kernel_cudaERNS_18TensorIteratorBaseEENKUlvE_clEvENKUlvE0_clEvEUlfE_EEvS5_RKT_EUlibE_EEviT1_.num_vgpr, 22
	.set _ZN2at6native32elementwise_kernel_manual_unrollILi128ELi4EZNS0_22gpu_kernel_impl_nocastIZZZNS0_12_GLOBAL__N_131spherical_bessel_j0_kernel_cudaERNS_18TensorIteratorBaseEENKUlvE_clEvENKUlvE0_clEvEUlfE_EEvS5_RKT_EUlibE_EEviT1_.num_agpr, 0
	.set _ZN2at6native32elementwise_kernel_manual_unrollILi128ELi4EZNS0_22gpu_kernel_impl_nocastIZZZNS0_12_GLOBAL__N_131spherical_bessel_j0_kernel_cudaERNS_18TensorIteratorBaseEENKUlvE_clEvENKUlvE0_clEvEUlfE_EEvS5_RKT_EUlibE_EEviT1_.numbered_sgpr, 60
	.set _ZN2at6native32elementwise_kernel_manual_unrollILi128ELi4EZNS0_22gpu_kernel_impl_nocastIZZZNS0_12_GLOBAL__N_131spherical_bessel_j0_kernel_cudaERNS_18TensorIteratorBaseEENKUlvE_clEvENKUlvE0_clEvEUlfE_EEvS5_RKT_EUlibE_EEviT1_.num_named_barrier, 0
	.set _ZN2at6native32elementwise_kernel_manual_unrollILi128ELi4EZNS0_22gpu_kernel_impl_nocastIZZZNS0_12_GLOBAL__N_131spherical_bessel_j0_kernel_cudaERNS_18TensorIteratorBaseEENKUlvE_clEvENKUlvE0_clEvEUlfE_EEvS5_RKT_EUlibE_EEviT1_.private_seg_size, 0
	.set _ZN2at6native32elementwise_kernel_manual_unrollILi128ELi4EZNS0_22gpu_kernel_impl_nocastIZZZNS0_12_GLOBAL__N_131spherical_bessel_j0_kernel_cudaERNS_18TensorIteratorBaseEENKUlvE_clEvENKUlvE0_clEvEUlfE_EEvS5_RKT_EUlibE_EEviT1_.uses_vcc, 1
	.set _ZN2at6native32elementwise_kernel_manual_unrollILi128ELi4EZNS0_22gpu_kernel_impl_nocastIZZZNS0_12_GLOBAL__N_131spherical_bessel_j0_kernel_cudaERNS_18TensorIteratorBaseEENKUlvE_clEvENKUlvE0_clEvEUlfE_EEvS5_RKT_EUlibE_EEviT1_.uses_flat_scratch, 0
	.set _ZN2at6native32elementwise_kernel_manual_unrollILi128ELi4EZNS0_22gpu_kernel_impl_nocastIZZZNS0_12_GLOBAL__N_131spherical_bessel_j0_kernel_cudaERNS_18TensorIteratorBaseEENKUlvE_clEvENKUlvE0_clEvEUlfE_EEvS5_RKT_EUlibE_EEviT1_.has_dyn_sized_stack, 0
	.set _ZN2at6native32elementwise_kernel_manual_unrollILi128ELi4EZNS0_22gpu_kernel_impl_nocastIZZZNS0_12_GLOBAL__N_131spherical_bessel_j0_kernel_cudaERNS_18TensorIteratorBaseEENKUlvE_clEvENKUlvE0_clEvEUlfE_EEvS5_RKT_EUlibE_EEviT1_.has_recursion, 0
	.set _ZN2at6native32elementwise_kernel_manual_unrollILi128ELi4EZNS0_22gpu_kernel_impl_nocastIZZZNS0_12_GLOBAL__N_131spherical_bessel_j0_kernel_cudaERNS_18TensorIteratorBaseEENKUlvE_clEvENKUlvE0_clEvEUlfE_EEvS5_RKT_EUlibE_EEviT1_.has_indirect_call, 0
	.section	.AMDGPU.csdata,"",@progbits
; Kernel info:
; codeLenInByte = 14072
; TotalNumSgprs: 64
; NumVgprs: 22
; ScratchSize: 0
; MemoryBound: 0
; FloatMode: 240
; IeeeMode: 1
; LDSByteSize: 0 bytes/workgroup (compile time only)
; SGPRBlocks: 7
; VGPRBlocks: 5
; NumSGPRsForWavesPerEU: 64
; NumVGPRsForWavesPerEU: 22
; Occupancy: 10
; WaveLimiterHint : 1
; COMPUTE_PGM_RSRC2:SCRATCH_EN: 0
; COMPUTE_PGM_RSRC2:USER_SGPR: 6
; COMPUTE_PGM_RSRC2:TRAP_HANDLER: 0
; COMPUTE_PGM_RSRC2:TGID_X_EN: 1
; COMPUTE_PGM_RSRC2:TGID_Y_EN: 0
; COMPUTE_PGM_RSRC2:TGID_Z_EN: 0
; COMPUTE_PGM_RSRC2:TIDIG_COMP_CNT: 0
	.section	.text._ZN2at6native32elementwise_kernel_manual_unrollILi128ELi4EZNS0_15gpu_kernel_implIZZZNS0_12_GLOBAL__N_131spherical_bessel_j0_kernel_cudaERNS_18TensorIteratorBaseEENKUlvE_clEvENKUlvE0_clEvEUlfE_EEvS5_RKT_EUlibE_EEviT1_,"axG",@progbits,_ZN2at6native32elementwise_kernel_manual_unrollILi128ELi4EZNS0_15gpu_kernel_implIZZZNS0_12_GLOBAL__N_131spherical_bessel_j0_kernel_cudaERNS_18TensorIteratorBaseEENKUlvE_clEvENKUlvE0_clEvEUlfE_EEvS5_RKT_EUlibE_EEviT1_,comdat
	.globl	_ZN2at6native32elementwise_kernel_manual_unrollILi128ELi4EZNS0_15gpu_kernel_implIZZZNS0_12_GLOBAL__N_131spherical_bessel_j0_kernel_cudaERNS_18TensorIteratorBaseEENKUlvE_clEvENKUlvE0_clEvEUlfE_EEvS5_RKT_EUlibE_EEviT1_ ; -- Begin function _ZN2at6native32elementwise_kernel_manual_unrollILi128ELi4EZNS0_15gpu_kernel_implIZZZNS0_12_GLOBAL__N_131spherical_bessel_j0_kernel_cudaERNS_18TensorIteratorBaseEENKUlvE_clEvENKUlvE0_clEvEUlfE_EEvS5_RKT_EUlibE_EEviT1_
	.p2align	8
	.type	_ZN2at6native32elementwise_kernel_manual_unrollILi128ELi4EZNS0_15gpu_kernel_implIZZZNS0_12_GLOBAL__N_131spherical_bessel_j0_kernel_cudaERNS_18TensorIteratorBaseEENKUlvE_clEvENKUlvE0_clEvEUlfE_EEvS5_RKT_EUlibE_EEviT1_,@function
_ZN2at6native32elementwise_kernel_manual_unrollILi128ELi4EZNS0_15gpu_kernel_implIZZZNS0_12_GLOBAL__N_131spherical_bessel_j0_kernel_cudaERNS_18TensorIteratorBaseEENKUlvE_clEvENKUlvE0_clEvEUlfE_EEvS5_RKT_EUlibE_EEviT1_: ; @_ZN2at6native32elementwise_kernel_manual_unrollILi128ELi4EZNS0_15gpu_kernel_implIZZZNS0_12_GLOBAL__N_131spherical_bessel_j0_kernel_cudaERNS_18TensorIteratorBaseEENKUlvE_clEvENKUlvE0_clEvEUlfE_EEvS5_RKT_EUlibE_EEviT1_
; %bb.0:
	v_mov_b32_e32 v1, 0
	global_load_ushort v1, v1, s[4:5] offset:33
	s_load_dwordx4 s[8:11], s[4:5], 0x8
	s_load_dwordx2 s[12:13], s[4:5], 0x18
	s_load_dword s40, s[4:5], 0x0
	v_lshl_or_b32 v7, s6, 9, v0
	v_or_b32_e32 v0, 0x180, v7
	s_mov_b64 s[14:15], 0
	s_mov_b64 s[16:17], 0
	s_waitcnt lgkmcnt(0)
	v_cmp_le_i32_e32 vcc, s40, v0
	s_waitcnt vmcnt(0)
	v_readfirstlane_b32 s33, v1
	s_and_b32 s0, 0xffff, s33
	s_lshr_b32 s42, s0, 8
	s_and_saveexec_b64 s[0:1], vcc
	s_xor_b64 s[6:7], exec, s[0:1]
	s_cbranch_execz .LBB14_1066
; %bb.1:
	v_cmp_gt_i32_e32 vcc, s40, v7
	s_mov_b64 s[2:3], -1
	s_mov_b64 s[24:25], 0
	s_mov_b64 s[18:19], 0
	s_and_saveexec_b64 s[20:21], vcc
	s_cbranch_execz .LBB14_261
; %bb.2:
	v_mul_lo_u32 v0, v7, s13
	v_mov_b32_e32 v1, s11
	s_and_b32 s16, 0xffff, s42
	s_cmp_lt_i32 s16, 11
	v_ashrrev_i32_e32 v2, 31, v0
	v_add_co_u32_e32 v0, vcc, s10, v0
	v_addc_co_u32_e32 v1, vcc, v1, v2, vcc
	s_cbranch_scc1 .LBB14_9
; %bb.3:
	s_cmp_gt_i32 s16, 25
	s_cbranch_scc0 .LBB14_28
; %bb.4:
	s_cmp_gt_i32 s16, 28
	s_cbranch_scc0 .LBB14_32
	;; [unrolled: 3-line block ×4, first 2 shown]
; %bb.7:
	s_cmp_eq_u32 s16, 46
	s_mov_b64 s[2:3], 0
	s_cbranch_scc0 .LBB14_37
; %bb.8:
	global_load_dword v2, v[0:1], off
	s_mov_b64 s[0:1], -1
	s_waitcnt vmcnt(0)
	v_lshlrev_b32_e32 v2, 16, v2
	s_branch .LBB14_39
.LBB14_9:
                                        ; implicit-def: $vgpr2
	s_mov_b64 s[0:1], 0
	s_and_b64 vcc, exec, s[2:3]
	s_cbranch_vccnz .LBB14_212
.LBB14_10:
	s_andn2_b64 vcc, exec, s[0:1]
	s_cbranch_vccnz .LBB14_259
.LBB14_11:
	s_mov_b32 s0, 0x7f800000
	s_waitcnt vmcnt(0)
	v_cmp_neq_f32_e64 s[0:1], |v2|, s0
	v_mov_b32_e32 v0, 0
	s_and_saveexec_b64 s[16:17], s[0:1]
	s_cbranch_execz .LBB14_21
; %bb.12:
	v_cmp_nlt_f32_e64 s[0:1], |v2|, 0.5
                                        ; implicit-def: $vgpr0
	s_and_saveexec_b64 s[2:3], s[0:1]
	s_xor_b64 s[22:23], exec, s[2:3]
	s_cbranch_execz .LBB14_18
; %bb.13:
	s_brev_b32 s0, 18
	v_and_b32_e32 v0, 0x7fffffff, v2
	v_cmp_nlt_f32_e64 s[0:1], |v2|, s0
                                        ; implicit-def: $vgpr1
                                        ; implicit-def: $vgpr3
	s_and_saveexec_b64 s[2:3], s[0:1]
	s_xor_b64 s[26:27], exec, s[2:3]
	s_cbranch_execz .LBB14_15
; %bb.14:
	v_and_b32_e32 v1, 0x7fffff, v0
	v_or_b32_e32 v1, 0x800000, v1
	s_mov_b32 s0, 0xfe5163ab
	v_mad_u64_u32 v[3:4], s[0:1], v1, s0, 0
	v_mov_b32_e32 v5, 0
	s_mov_b32 s0, 0x3c439041
	v_mad_u64_u32 v[8:9], s[0:1], v1, s0, v[4:5]
	s_mov_b32 s0, 0xdb629599
	v_not_b32_e32 v6, 63
	v_mov_b32_e32 v4, v9
	v_mad_u64_u32 v[9:10], s[0:1], v1, s0, v[4:5]
	s_mov_b32 s0, 0xf534ddc0
	v_not_b32_e32 v14, 31
	v_mov_b32_e32 v4, v10
	v_mad_u64_u32 v[10:11], s[0:1], v1, s0, v[4:5]
	v_lshrrev_b32_e32 v4, 23, v0
	v_add_u32_e32 v13, 0xffffff88, v4
	v_mov_b32_e32 v4, v11
	s_mov_b32 s0, 0xfc2757d1
	v_mad_u64_u32 v[11:12], s[0:1], v1, s0, v[4:5]
	v_cmp_lt_u32_e32 vcc, 63, v13
	v_cndmask_b32_e32 v4, 0, v6, vcc
	v_add_u32_e32 v6, v4, v13
	v_mov_b32_e32 v4, v12
	s_mov_b32 s0, 0x4e441529
	v_mad_u64_u32 v[12:13], s[0:1], v1, s0, v[4:5]
	v_cmp_lt_u32_e64 s[0:1], 31, v6
	v_cndmask_b32_e64 v4, 0, v14, s[0:1]
	v_add_u32_e32 v6, v4, v6
	v_mov_b32_e32 v4, v13
	s_mov_b32 s2, 0xa2f9836e
	v_mad_u64_u32 v[4:5], s[2:3], v1, s2, v[4:5]
	v_cmp_lt_u32_e64 s[2:3], 31, v6
	v_cndmask_b32_e64 v1, 0, v14, s[2:3]
	v_add_u32_e32 v1, v1, v6
	v_cndmask_b32_e32 v6, v12, v10, vcc
	v_cndmask_b32_e32 v4, v4, v11, vcc
	;; [unrolled: 1-line block ×3, first 2 shown]
	v_cndmask_b32_e64 v13, v4, v6, s[0:1]
	v_cndmask_b32_e64 v4, v5, v4, s[0:1]
	v_cndmask_b32_e32 v5, v11, v9, vcc
	v_cndmask_b32_e64 v6, v6, v5, s[0:1]
	v_cndmask_b32_e64 v4, v4, v13, s[2:3]
	;; [unrolled: 1-line block ×3, first 2 shown]
	v_sub_u32_e32 v12, 32, v1
	v_alignbit_b32 v13, v4, v11, v12
	v_cmp_eq_u32_e64 s[4:5], 0, v1
	v_cndmask_b32_e64 v1, v13, v4, s[4:5]
	v_cndmask_b32_e32 v4, v10, v8, vcc
	v_cndmask_b32_e64 v5, v5, v4, s[0:1]
	v_cndmask_b32_e64 v6, v6, v5, s[2:3]
	v_alignbit_b32 v8, v11, v6, v12
	v_cndmask_b32_e32 v3, v9, v3, vcc
	v_cndmask_b32_e64 v8, v8, v11, s[4:5]
	v_bfe_u32 v13, v1, 29, 1
	v_cndmask_b32_e64 v3, v4, v3, s[0:1]
	v_alignbit_b32 v10, v1, v8, 30
	v_sub_u32_e32 v14, 0, v13
	v_cndmask_b32_e64 v3, v5, v3, s[2:3]
	v_xor_b32_e32 v10, v10, v14
	v_alignbit_b32 v4, v6, v3, v12
	v_cndmask_b32_e64 v4, v4, v6, s[4:5]
	v_ffbh_u32_e32 v6, v10
	v_alignbit_b32 v5, v8, v4, 30
	v_min_u32_e32 v6, 32, v6
	v_alignbit_b32 v3, v4, v3, 30
	v_xor_b32_e32 v5, v5, v14
	v_sub_u32_e32 v8, 31, v6
	v_xor_b32_e32 v3, v3, v14
	v_alignbit_b32 v9, v10, v5, v8
	v_alignbit_b32 v3, v5, v3, v8
	;; [unrolled: 1-line block ×3, first 2 shown]
	v_ffbh_u32_e32 v5, v4
	v_min_u32_e32 v5, 32, v5
	v_lshrrev_b32_e32 v11, 29, v1
	v_not_b32_e32 v8, v5
	v_alignbit_b32 v3, v4, v3, v8
	v_lshlrev_b32_e32 v4, 31, v11
	v_or_b32_e32 v8, 0x33000000, v4
	v_add_lshl_u32 v5, v5, v6, 23
	v_lshrrev_b32_e32 v3, 9, v3
	v_sub_u32_e32 v5, v8, v5
	v_or_b32_e32 v4, 0.5, v4
	v_lshlrev_b32_e32 v6, 23, v6
	v_or_b32_e32 v3, v5, v3
	v_lshrrev_b32_e32 v5, 9, v9
	v_sub_u32_e32 v4, v4, v6
	v_or_b32_e32 v4, v5, v4
	s_mov_b32 s0, 0x3fc90fda
	v_mul_f32_e32 v5, 0x3fc90fda, v4
	v_fma_f32 v6, v4, s0, -v5
	v_fmac_f32_e32 v6, 0x33a22168, v4
	v_fmac_f32_e32 v6, 0x3fc90fda, v3
	v_lshrrev_b32_e32 v1, 30, v1
	v_add_f32_e32 v3, v5, v6
	v_add_u32_e32 v1, v13, v1
.LBB14_15:
	s_andn2_saveexec_b64 s[0:1], s[26:27]
	s_cbranch_execz .LBB14_17
; %bb.16:
	s_mov_b32 s2, 0x3f22f983
	v_mul_f32_e64 v1, |v2|, s2
	v_rndne_f32_e32 v4, v1
	s_mov_b32 s2, 0xbfc90fda
	v_cvt_i32_f32_e32 v1, v4
	v_fma_f32 v3, v4, s2, |v2|
	v_fmac_f32_e32 v3, 0xb3a22168, v4
	v_fmac_f32_e32 v3, 0xa7c234c4, v4
.LBB14_17:
	s_or_b64 exec, exec, s[0:1]
	v_mul_f32_e32 v4, v3, v3
	v_mov_b32_e32 v5, 0x3c0881c4
	v_fmac_f32_e32 v5, 0xb94c1982, v4
	v_mov_b32_e32 v6, 0xbe2aaa9d
	v_fmac_f32_e32 v6, v4, v5
	v_mul_f32_e32 v5, v4, v6
	v_fmac_f32_e32 v3, v3, v5
	v_mov_b32_e32 v5, 0xbab64f3b
	v_fmac_f32_e32 v5, 0x37d75334, v4
	v_mov_b32_e32 v6, 0x3d2aabf7
	;; [unrolled: 2-line block ×3, first 2 shown]
	v_fmac_f32_e32 v5, v4, v6
	v_fma_f32 v4, v4, v5, 1.0
	v_and_b32_e32 v5, 1, v1
	v_lshlrev_b32_e32 v1, 30, v1
	v_cmp_eq_u32_e32 vcc, 0, v5
	v_and_b32_e32 v1, 0x80000000, v1
	v_xor_b32_e32 v0, v0, v2
	v_cndmask_b32_e32 v3, v4, v3, vcc
	v_xor_b32_e32 v0, v0, v1
	s_movk_i32 s0, 0x1f8
	v_xor_b32_e32 v0, v0, v3
	v_mov_b32_e32 v1, 0x7fc00000
	v_cmp_class_f32_e64 vcc, v2, s0
	v_cndmask_b32_e32 v0, v1, v0, vcc
	v_div_scale_f32 v1, s[0:1], v2, v2, v0
	v_div_scale_f32 v3, vcc, v0, v2, v0
	v_rcp_f32_e32 v4, v1
	v_fma_f32 v5, -v1, v4, 1.0
	v_fmac_f32_e32 v4, v5, v4
	v_mul_f32_e32 v5, v3, v4
	v_fma_f32 v6, -v1, v5, v3
	v_fmac_f32_e32 v5, v6, v4
	v_fma_f32 v1, -v1, v5, v3
	v_div_fmas_f32 v1, v1, v4, v5
	v_div_fixup_f32 v0, v1, v2, v0
                                        ; implicit-def: $vgpr2
.LBB14_18:
	s_andn2_saveexec_b64 s[0:1], s[22:23]
	s_cbranch_execz .LBB14_20
; %bb.19:
	v_mul_f32_e32 v0, v2, v2
	v_mov_b32_e32 v1, 0xb2d7322b
	v_fmac_f32_e32 v1, 0x2f309231, v0
	v_mov_b32_e32 v2, 0x3638ef1d
	v_fmac_f32_e32 v2, v0, v1
	;; [unrolled: 2-line block ×5, first 2 shown]
	v_fma_f32 v0, v0, v1, 1.0
.LBB14_20:
	s_or_b64 exec, exec, s[0:1]
.LBB14_21:
	s_or_b64 exec, exec, s[16:17]
	v_mul_lo_u32 v1, v7, s12
	v_mov_b32_e32 v3, s9
	s_and_b32 s22, s33, 0xff
	s_cmp_lt_i32 s22, 11
	v_ashrrev_i32_e32 v4, 31, v1
	v_add_co_u32_e32 v2, vcc, s8, v1
	v_addc_co_u32_e32 v3, vcc, v3, v4, vcc
	s_cbranch_scc1 .LBB14_29
; %bb.22:
	s_and_b32 s23, 0xffff, s22
	s_cmp_gt_i32 s23, 25
	s_cbranch_scc0 .LBB14_33
; %bb.23:
	s_cmp_gt_i32 s23, 28
	s_cbranch_scc0 .LBB14_35
; %bb.24:
	;; [unrolled: 3-line block ×4, first 2 shown]
	s_mov_b64 s[4:5], 0
	s_mov_b64 s[0:1], -1
	s_cmp_eq_u32 s23, 46
	s_mov_b64 s[2:3], 0
	s_cbranch_scc0 .LBB14_43
; %bb.27:
	v_bfe_u32 v1, v0, 16, 1
	s_movk_i32 s0, 0x7fff
	v_add3_u32 v1, v0, v1, s0
	v_cmp_o_f32_e32 vcc, v0, v0
	v_mov_b32_e32 v4, 0x7fc0
	v_cndmask_b32_sdwa v1, v4, v1, vcc dst_sel:DWORD dst_unused:UNUSED_PAD src0_sel:DWORD src1_sel:WORD_1
	global_store_dword v[2:3], v1, off
	s_mov_b64 s[2:3], -1
	s_mov_b64 s[0:1], 0
	s_branch .LBB14_43
.LBB14_28:
	s_mov_b64 s[0:1], 0
                                        ; implicit-def: $vgpr2
	s_and_b64 vcc, exec, s[2:3]
	s_cbranch_vccnz .LBB14_177
	s_branch .LBB14_211
.LBB14_29:
	s_mov_b64 s[0:1], 0
	s_mov_b64 s[2:3], 0
	s_cbranch_execnz .LBB14_112
.LBB14_30:
	s_andn2_b64 vcc, exec, s[2:3]
	s_cbranch_vccnz .LBB14_150
.LBB14_31:
	v_add_u32_e32 v7, 0x80, v7
	s_mov_b64 s[2:3], -1
	s_branch .LBB14_260
.LBB14_32:
	s_mov_b64 s[0:1], 0
                                        ; implicit-def: $vgpr2
	s_branch .LBB14_158
.LBB14_33:
	s_mov_b64 s[4:5], -1
	s_mov_b64 s[0:1], 0
	s_mov_b64 s[2:3], 0
	s_branch .LBB14_70
.LBB14_34:
	s_mov_b64 s[0:1], 0
                                        ; implicit-def: $vgpr2
	s_branch .LBB14_153
.LBB14_35:
	s_mov_b64 s[4:5], -1
	s_mov_b64 s[0:1], 0
	s_mov_b64 s[2:3], 0
	s_branch .LBB14_53
.LBB14_36:
	s_mov_b64 s[4:5], -1
	s_mov_b64 s[0:1], 0
	s_mov_b64 s[2:3], 0
	s_branch .LBB14_49
.LBB14_37:
	s_mov_b64 s[18:19], -1
.LBB14_38:
	s_mov_b64 s[0:1], 0
                                        ; implicit-def: $vgpr2
.LBB14_39:
	s_and_b64 vcc, exec, s[2:3]
	s_cbranch_vccz .LBB14_152
; %bb.40:
	s_cmp_eq_u32 s16, 44
	s_cbranch_scc0 .LBB14_151
; %bb.41:
	global_load_ubyte v2, v[0:1], off
	s_movk_i32 s2, 0xff
	v_mov_b32_e32 v3, 0x7f800001
	v_mov_b32_e32 v4, 0x400000
	s_mov_b64 s[0:1], -1
	s_mov_b64 s[18:19], 0
	s_waitcnt vmcnt(0)
	v_lshlrev_b32_e32 v5, 23, v2
	v_cmp_ne_u32_e32 vcc, s2, v2
	v_cndmask_b32_e32 v3, v3, v5, vcc
	v_cmp_ne_u32_e32 vcc, 0, v2
	v_cndmask_b32_e32 v2, v4, v3, vcc
	s_branch .LBB14_152
.LBB14_42:
	s_mov_b64 s[4:5], -1
	s_mov_b64 s[0:1], 0
	s_mov_b64 s[2:3], 0
.LBB14_43:
	s_and_b64 vcc, exec, s[4:5]
	s_cbranch_vccz .LBB14_48
; %bb.44:
	s_cmp_eq_u32 s23, 44
	s_mov_b64 s[0:1], -1
	s_cbranch_scc0 .LBB14_48
; %bb.45:
	v_bfe_u32 v1, v0, 23, 8
	s_movk_i32 s0, 0xff
	v_cmp_ne_u32_e32 vcc, s0, v1
	v_mov_b32_e32 v4, 0xff
	s_and_saveexec_b64 s[2:3], vcc
; %bb.46:
	s_mov_b32 s0, 0x3fffff
	v_and_b32_e32 v5, 0x400000, v0
	v_and_or_b32 v1, v0, s0, v1
	v_cmp_ne_u32_e32 vcc, 0, v5
	v_cmp_ne_u32_e64 s[0:1], 0, v1
	s_and_b64 s[0:1], vcc, s[0:1]
	v_lshrrev_b32_e32 v4, 23, v0
	v_cndmask_b32_e64 v1, 0, 1, s[0:1]
	v_add_u32_e32 v4, v4, v1
; %bb.47:
	s_or_b64 exec, exec, s[2:3]
	s_mov_b64 s[2:3], -1
	s_mov_b64 s[0:1], 0
	global_store_byte v[2:3], v4, off
.LBB14_48:
	s_mov_b64 s[4:5], 0
.LBB14_49:
	s_and_b64 vcc, exec, s[4:5]
	s_cbranch_vccz .LBB14_52
; %bb.50:
	s_cmp_eq_u32 s23, 29
	s_mov_b64 s[0:1], -1
	s_cbranch_scc0 .LBB14_52
; %bb.51:
	v_trunc_f32_e32 v1, v0
	v_mul_f32_e32 v4, 0x2f800000, v1
	v_floor_f32_e32 v4, v4
	v_fmac_f32_e32 v1, 0xcf800000, v4
	v_cvt_u32_f32_e32 v5, v4
	v_cvt_u32_f32_e32 v4, v1
	s_mov_b64 s[2:3], -1
	s_mov_b64 s[0:1], 0
	s_mov_b64 s[4:5], 0
	global_store_dwordx2 v[2:3], v[4:5], off
	s_branch .LBB14_53
.LBB14_52:
	s_mov_b64 s[4:5], 0
.LBB14_53:
	s_and_b64 vcc, exec, s[4:5]
	s_cbranch_vccz .LBB14_69
; %bb.54:
	s_cmp_lt_i32 s23, 27
	s_mov_b64 s[2:3], -1
	s_cbranch_scc1 .LBB14_60
; %bb.55:
	v_cvt_u32_f32_e32 v1, v0
	s_cmp_gt_i32 s23, 27
	s_cbranch_scc0 .LBB14_57
; %bb.56:
	s_mov_b64 s[2:3], 0
	global_store_dword v[2:3], v1, off
.LBB14_57:
	s_andn2_b64 vcc, exec, s[2:3]
	s_cbranch_vccnz .LBB14_59
; %bb.58:
	global_store_short v[2:3], v1, off
.LBB14_59:
	s_mov_b64 s[2:3], 0
.LBB14_60:
	s_andn2_b64 vcc, exec, s[2:3]
	s_cbranch_vccnz .LBB14_68
; %bb.61:
	v_and_b32_e32 v1, 0x7fffffff, v0
	s_mov_b32 s2, 0x43800000
	v_cmp_gt_u32_e32 vcc, s2, v1
	v_mov_b32_e32 v4, 0x80
	s_and_saveexec_b64 s[2:3], vcc
	s_cbranch_execz .LBB14_67
; %bb.62:
	s_mov_b32 s4, 0x3bffffff
	v_cmp_lt_u32_e32 vcc, s4, v1
	s_mov_b64 s[4:5], 0
                                        ; implicit-def: $vgpr1
	s_and_saveexec_b64 s[16:17], vcc
	s_xor_b64 s[16:17], exec, s[16:17]
	s_cbranch_execz .LBB14_298
; %bb.63:
	v_bfe_u32 v1, v0, 20, 1
	s_mov_b32 s26, 0x487ffff
	v_add3_u32 v1, v0, v1, s26
	s_mov_b64 s[4:5], exec
	v_lshrrev_b32_e32 v1, 20, v1
	s_andn2_saveexec_b64 s[16:17], s[16:17]
	s_cbranch_execnz .LBB14_299
.LBB14_64:
	s_or_b64 exec, exec, s[16:17]
	v_mov_b32_e32 v4, 0
	s_and_saveexec_b64 s[16:17], s[4:5]
.LBB14_65:
	v_lshrrev_b32_e32 v4, 24, v0
	s_movk_i32 s4, 0x80
	v_and_or_b32 v4, v4, s4, v1
.LBB14_66:
	s_or_b64 exec, exec, s[16:17]
.LBB14_67:
	s_or_b64 exec, exec, s[2:3]
	global_store_byte v[2:3], v4, off
.LBB14_68:
	s_mov_b64 s[2:3], -1
.LBB14_69:
	s_mov_b64 s[4:5], 0
.LBB14_70:
	s_and_b64 vcc, exec, s[4:5]
	s_cbranch_vccz .LBB14_111
; %bb.71:
	s_cmp_gt_i32 s23, 22
	s_mov_b64 s[4:5], -1
	s_cbranch_scc0 .LBB14_103
; %bb.72:
	s_cmp_lt_i32 s23, 24
	s_mov_b64 s[2:3], -1
	s_cbranch_scc1 .LBB14_92
; %bb.73:
	s_cmp_gt_i32 s23, 24
	s_cbranch_scc0 .LBB14_81
; %bb.74:
	v_and_b32_e32 v1, 0x7fffffff, v0
	s_mov_b32 s2, 0x47800000
	v_cmp_gt_u32_e32 vcc, s2, v1
	v_mov_b32_e32 v4, 0x80
	s_and_saveexec_b64 s[2:3], vcc
	s_cbranch_execz .LBB14_80
; %bb.75:
	s_mov_b32 s4, 0x37ffffff
	v_cmp_lt_u32_e32 vcc, s4, v1
	s_mov_b64 s[4:5], 0
                                        ; implicit-def: $vgpr1
	s_and_saveexec_b64 s[16:17], vcc
	s_xor_b64 s[16:17], exec, s[16:17]
	s_cbranch_execz .LBB14_302
; %bb.76:
	v_bfe_u32 v1, v0, 21, 1
	s_mov_b32 s26, 0x88fffff
	v_add3_u32 v1, v0, v1, s26
	s_mov_b64 s[4:5], exec
	v_lshrrev_b32_e32 v1, 21, v1
	s_andn2_saveexec_b64 s[16:17], s[16:17]
	s_cbranch_execnz .LBB14_303
.LBB14_77:
	s_or_b64 exec, exec, s[16:17]
	v_mov_b32_e32 v4, 0
	s_and_saveexec_b64 s[16:17], s[4:5]
.LBB14_78:
	v_lshrrev_b32_e32 v4, 24, v0
	s_movk_i32 s4, 0x80
	v_and_or_b32 v4, v4, s4, v1
.LBB14_79:
	s_or_b64 exec, exec, s[16:17]
.LBB14_80:
	s_or_b64 exec, exec, s[2:3]
	s_mov_b64 s[2:3], 0
	global_store_byte v[2:3], v4, off
.LBB14_81:
	s_and_b64 vcc, exec, s[2:3]
	s_cbranch_vccz .LBB14_91
; %bb.82:
	v_and_b32_e32 v4, 0x7fffffff, v0
	s_mov_b32 s2, 0x43f00000
	v_cmp_gt_u32_e32 vcc, s2, v4
                                        ; implicit-def: $vgpr1
	s_and_saveexec_b64 s[2:3], vcc
	s_xor_b64 s[2:3], exec, s[2:3]
	s_cbranch_execz .LBB14_88
; %bb.83:
	s_mov_b32 s4, 0x3c7fffff
	v_cmp_lt_u32_e32 vcc, s4, v4
                                        ; implicit-def: $vgpr1
	s_and_saveexec_b64 s[4:5], vcc
	s_xor_b64 s[4:5], exec, s[4:5]
; %bb.84:
	v_bfe_u32 v1, v0, 20, 1
	s_mov_b32 s16, 0x407ffff
	v_add3_u32 v1, v0, v1, s16
	v_lshrrev_b32_e32 v4, 20, v1
	v_and_b32_e32 v1, 0xff00000, v1
	s_mov_b32 s16, 0x7f00000
	v_mov_b32_e32 v5, 0x7e
	v_cmp_ne_u32_e32 vcc, s16, v1
	v_cndmask_b32_e32 v1, v5, v4, vcc
; %bb.85:
	s_andn2_saveexec_b64 s[4:5], s[4:5]
; %bb.86:
	s_mov_b32 s16, 0x46800000
	v_add_f32_e64 v1, |v0|, s16
; %bb.87:
	s_or_b64 exec, exec, s[4:5]
                                        ; implicit-def: $vgpr4
.LBB14_88:
	s_andn2_saveexec_b64 s[2:3], s[2:3]
; %bb.89:
	s_mov_b32 s4, 0x7f800000
	v_mov_b32_e32 v1, 0x7e
	v_mov_b32_e32 v5, 0x7f
	v_cmp_lt_u32_e32 vcc, s4, v4
	v_cndmask_b32_e32 v1, v1, v5, vcc
; %bb.90:
	s_or_b64 exec, exec, s[2:3]
	v_lshrrev_b32_e32 v4, 24, v0
	s_movk_i32 s2, 0x80
	v_and_or_b32 v1, v4, s2, v1
	global_store_byte v[2:3], v1, off
.LBB14_91:
	s_mov_b64 s[2:3], 0
.LBB14_92:
	s_andn2_b64 vcc, exec, s[2:3]
	s_cbranch_vccnz .LBB14_102
; %bb.93:
	v_and_b32_e32 v4, 0x7fffffff, v0
	s_mov_b32 s2, 0x47800000
	v_cmp_gt_u32_e32 vcc, s2, v4
                                        ; implicit-def: $vgpr1
	s_and_saveexec_b64 s[2:3], vcc
	s_xor_b64 s[2:3], exec, s[2:3]
	s_cbranch_execz .LBB14_99
; %bb.94:
	s_mov_b32 s4, 0x387fffff
	v_cmp_lt_u32_e32 vcc, s4, v4
                                        ; implicit-def: $vgpr1
	s_and_saveexec_b64 s[4:5], vcc
	s_xor_b64 s[4:5], exec, s[4:5]
; %bb.95:
	v_bfe_u32 v1, v0, 21, 1
	s_mov_b32 s16, 0x80fffff
	v_add3_u32 v1, v0, v1, s16
	v_lshrrev_b32_e32 v1, 21, v1
; %bb.96:
	s_andn2_saveexec_b64 s[4:5], s[4:5]
; %bb.97:
	s_mov_b32 s16, 0x43000000
	v_add_f32_e64 v1, |v0|, s16
; %bb.98:
	s_or_b64 exec, exec, s[4:5]
                                        ; implicit-def: $vgpr4
.LBB14_99:
	s_andn2_saveexec_b64 s[2:3], s[2:3]
; %bb.100:
	s_mov_b32 s4, 0x7f800000
	v_mov_b32_e32 v1, 0x7c
	v_mov_b32_e32 v5, 0x7f
	v_cmp_lt_u32_e32 vcc, s4, v4
	v_cndmask_b32_e32 v1, v1, v5, vcc
; %bb.101:
	s_or_b64 exec, exec, s[2:3]
	v_lshrrev_b32_e32 v4, 24, v0
	s_movk_i32 s2, 0x80
	v_and_or_b32 v1, v4, s2, v1
	global_store_byte v[2:3], v1, off
.LBB14_102:
	s_mov_b64 s[4:5], 0
	s_mov_b64 s[2:3], -1
.LBB14_103:
	s_andn2_b64 vcc, exec, s[4:5]
	s_cbranch_vccnz .LBB14_111
; %bb.104:
	s_cmp_gt_i32 s23, 14
	s_mov_b64 s[4:5], -1
	s_cbranch_scc0 .LBB14_108
; %bb.105:
	s_cmp_eq_u32 s23, 15
	s_mov_b64 s[0:1], -1
	s_cbranch_scc0 .LBB14_107
; %bb.106:
	v_bfe_u32 v1, v0, 16, 1
	s_movk_i32 s0, 0x7fff
	v_add3_u32 v1, v0, v1, s0
	v_cmp_o_f32_e32 vcc, v0, v0
	v_mov_b32_e32 v4, 0x7fc0
	v_cndmask_b32_sdwa v1, v4, v1, vcc dst_sel:DWORD dst_unused:UNUSED_PAD src0_sel:DWORD src1_sel:WORD_1
	global_store_short v[2:3], v1, off
	s_mov_b64 s[2:3], -1
	s_mov_b64 s[0:1], 0
.LBB14_107:
	s_mov_b64 s[4:5], 0
.LBB14_108:
	s_and_b64 vcc, exec, s[4:5]
	s_cbranch_vccz .LBB14_111
; %bb.109:
	s_cmp_eq_u32 s23, 11
	s_mov_b64 s[0:1], -1
	s_cbranch_scc0 .LBB14_111
; %bb.110:
	v_cmp_neq_f32_e32 vcc, 0, v0
	v_cndmask_b32_e64 v1, 0, 1, vcc
	s_mov_b64 s[2:3], -1
	s_mov_b64 s[0:1], 0
	global_store_byte v[2:3], v1, off
.LBB14_111:
	s_branch .LBB14_30
.LBB14_112:
	s_and_b32 s4, 0xffff, s22
	s_cmp_lt_i32 s4, 5
	s_mov_b64 s[2:3], -1
	s_cbranch_scc1 .LBB14_133
; %bb.113:
	s_cmp_lt_i32 s4, 8
	s_cbranch_scc1 .LBB14_123
; %bb.114:
	s_cmp_lt_i32 s4, 9
	s_cbranch_scc1 .LBB14_120
; %bb.115:
	s_cmp_gt_i32 s4, 9
	s_cbranch_scc0 .LBB14_117
; %bb.116:
	v_cvt_f64_f32_e32 v[8:9], v0
	v_mov_b32_e32 v10, 0
	v_mov_b32_e32 v11, v10
	s_mov_b64 s[2:3], 0
	global_store_dwordx4 v[2:3], v[8:11], off
.LBB14_117:
	s_andn2_b64 vcc, exec, s[2:3]
	s_cbranch_vccnz .LBB14_119
; %bb.118:
	v_mov_b32_e32 v1, 0
	global_store_dwordx2 v[2:3], v[0:1], off
.LBB14_119:
	s_mov_b64 s[2:3], 0
.LBB14_120:
	s_andn2_b64 vcc, exec, s[2:3]
	s_cbranch_vccnz .LBB14_122
; %bb.121:
	v_cvt_f16_f32_e32 v1, v0
	global_store_dword v[2:3], v1, off
.LBB14_122:
	s_mov_b64 s[2:3], 0
.LBB14_123:
	s_andn2_b64 vcc, exec, s[2:3]
	s_cbranch_vccnz .LBB14_132
; %bb.124:
	s_cmp_lt_i32 s4, 6
	s_mov_b64 s[2:3], -1
	s_cbranch_scc1 .LBB14_130
; %bb.125:
	s_cmp_gt_i32 s4, 6
	s_cbranch_scc0 .LBB14_127
; %bb.126:
	v_cvt_f64_f32_e32 v[4:5], v0
	s_mov_b64 s[2:3], 0
	global_store_dwordx2 v[2:3], v[4:5], off
.LBB14_127:
	s_andn2_b64 vcc, exec, s[2:3]
	s_cbranch_vccnz .LBB14_129
; %bb.128:
	global_store_dword v[2:3], v0, off
.LBB14_129:
	s_mov_b64 s[2:3], 0
.LBB14_130:
	s_andn2_b64 vcc, exec, s[2:3]
	s_cbranch_vccnz .LBB14_132
; %bb.131:
	v_cvt_f16_f32_e32 v1, v0
	global_store_short v[2:3], v1, off
.LBB14_132:
	s_mov_b64 s[2:3], 0
.LBB14_133:
	s_andn2_b64 vcc, exec, s[2:3]
	s_cbranch_vccnz .LBB14_149
; %bb.134:
	s_cmp_lt_i32 s4, 2
	s_mov_b64 s[2:3], -1
	s_cbranch_scc1 .LBB14_144
; %bb.135:
	s_cmp_lt_i32 s4, 3
	s_cbranch_scc1 .LBB14_141
; %bb.136:
	s_cmp_gt_i32 s4, 3
	s_cbranch_scc0 .LBB14_138
; %bb.137:
	v_trunc_f32_e32 v1, v0
	s_mov_b32 s2, 0x2f800000
	v_mul_f32_e64 v4, |v1|, s2
	v_floor_f32_e32 v4, v4
	s_mov_b32 s2, 0xcf800000
	v_cvt_u32_f32_e32 v5, v4
	v_fma_f32 v4, v4, s2, |v1|
	v_cvt_u32_f32_e32 v4, v4
	v_ashrrev_i32_e32 v1, 31, v1
	v_xor_b32_e32 v5, v5, v1
	s_mov_b64 s[2:3], 0
	v_xor_b32_e32 v4, v4, v1
	v_sub_co_u32_e32 v4, vcc, v4, v1
	v_subb_co_u32_e32 v5, vcc, v5, v1, vcc
	global_store_dwordx2 v[2:3], v[4:5], off
.LBB14_138:
	s_andn2_b64 vcc, exec, s[2:3]
	s_cbranch_vccnz .LBB14_140
; %bb.139:
	v_cvt_i32_f32_e32 v1, v0
	global_store_dword v[2:3], v1, off
.LBB14_140:
	s_mov_b64 s[2:3], 0
.LBB14_141:
	s_andn2_b64 vcc, exec, s[2:3]
	s_cbranch_vccnz .LBB14_143
; %bb.142:
	v_cvt_i32_f32_e32 v1, v0
	global_store_short v[2:3], v1, off
.LBB14_143:
	s_mov_b64 s[2:3], 0
.LBB14_144:
	s_andn2_b64 vcc, exec, s[2:3]
	s_cbranch_vccnz .LBB14_149
; %bb.145:
	s_cmp_gt_i32 s4, 0
	s_mov_b64 s[2:3], -1
	s_cbranch_scc0 .LBB14_147
; %bb.146:
	v_cvt_i32_f32_e32 v1, v0
	s_mov_b64 s[2:3], 0
	global_store_byte v[2:3], v1, off
.LBB14_147:
	s_andn2_b64 vcc, exec, s[2:3]
	s_cbranch_vccnz .LBB14_149
; %bb.148:
	v_trunc_f32_e32 v0, v0
	s_mov_b32 s2, 0x2f800000
	v_mul_f32_e64 v1, |v0|, s2
	v_floor_f32_e32 v1, v1
	s_mov_b32 s2, 0xcf800000
	v_fma_f32 v1, v1, s2, |v0|
	v_cvt_u32_f32_e32 v1, v1
	v_ashrrev_i32_e32 v0, 31, v0
	v_xor_b32_e32 v1, v1, v0
	v_sub_u32_e32 v0, v1, v0
	global_store_byte v[2:3], v0, off
.LBB14_149:
	s_branch .LBB14_31
.LBB14_150:
	s_mov_b64 s[2:3], 0
                                        ; implicit-def: $vgpr7
	s_branch .LBB14_260
.LBB14_151:
	s_mov_b64 s[18:19], -1
                                        ; implicit-def: $vgpr2
.LBB14_152:
	s_mov_b64 s[2:3], 0
.LBB14_153:
	s_and_b64 vcc, exec, s[2:3]
	s_cbranch_vccz .LBB14_157
; %bb.154:
	s_cmp_eq_u32 s16, 29
	s_cbranch_scc0 .LBB14_156
; %bb.155:
	global_load_dwordx2 v[2:3], v[0:1], off
	s_mov_b64 s[0:1], -1
	s_mov_b64 s[18:19], 0
	s_mov_b64 s[2:3], 0
	s_waitcnt vmcnt(0)
	v_ffbh_u32_e32 v4, v3
	v_min_u32_e32 v4, 32, v4
	v_lshlrev_b64 v[2:3], v4, v[2:3]
	v_min_u32_e32 v2, 1, v2
	v_or_b32_e32 v2, v3, v2
	v_cvt_f32_u32_e32 v2, v2
	v_sub_u32_e32 v3, 32, v4
	v_ldexp_f32 v2, v2, v3
	s_branch .LBB14_158
.LBB14_156:
	s_mov_b64 s[18:19], -1
                                        ; implicit-def: $vgpr2
.LBB14_157:
	s_mov_b64 s[2:3], 0
.LBB14_158:
	s_and_b64 vcc, exec, s[2:3]
	s_cbranch_vccz .LBB14_176
; %bb.159:
	s_cmp_lt_i32 s16, 27
	s_cbranch_scc1 .LBB14_162
; %bb.160:
	s_cmp_gt_i32 s16, 27
	s_cbranch_scc0 .LBB14_163
; %bb.161:
	global_load_dword v2, v[0:1], off
	s_mov_b64 s[0:1], 0
	s_waitcnt vmcnt(0)
	v_cvt_f32_u32_e32 v2, v2
	s_branch .LBB14_164
.LBB14_162:
	s_mov_b64 s[0:1], -1
                                        ; implicit-def: $vgpr2
	s_branch .LBB14_167
.LBB14_163:
	s_mov_b64 s[0:1], -1
                                        ; implicit-def: $vgpr2
.LBB14_164:
	s_andn2_b64 vcc, exec, s[0:1]
	s_cbranch_vccnz .LBB14_166
; %bb.165:
	global_load_ushort v2, v[0:1], off
	s_waitcnt vmcnt(0)
	v_cvt_f32_u32_e32 v2, v2
.LBB14_166:
	s_mov_b64 s[0:1], 0
.LBB14_167:
	s_andn2_b64 vcc, exec, s[0:1]
	s_cbranch_vccnz .LBB14_175
; %bb.168:
	global_load_ubyte v3, v[0:1], off
	s_movk_i32 s0, 0x7f
	s_waitcnt vmcnt(0)
	v_cmp_lt_i16_e32 vcc, s0, v3
	s_mov_b64 s[0:1], 0
	s_and_saveexec_b64 s[2:3], vcc
	s_xor_b64 s[2:3], exec, s[2:3]
	s_cbranch_execz .LBB14_188
; %bb.169:
	s_movk_i32 s0, 0x80
	v_cmp_eq_u16_e32 vcc, s0, v3
	s_mov_b64 s[0:1], -1
	s_and_saveexec_b64 s[4:5], vcc
; %bb.170:
	s_xor_b64 s[0:1], exec, -1
; %bb.171:
	s_or_b64 exec, exec, s[4:5]
	s_and_b64 s[0:1], s[0:1], exec
	s_or_saveexec_b64 s[2:3], s[2:3]
	v_mov_b32_e32 v2, 0x7f800001
	s_xor_b64 exec, exec, s[2:3]
	s_cbranch_execnz .LBB14_189
.LBB14_172:
	s_or_b64 exec, exec, s[2:3]
	s_and_saveexec_b64 s[2:3], s[0:1]
	s_cbranch_execz .LBB14_174
.LBB14_173:
	v_lshlrev_b32_e32 v2, 24, v3
	v_and_b32_e32 v3, 0xffff, v3
	v_and_b32_e32 v4, 7, v3
	v_ffbh_u32_e32 v6, v4
	v_min_u32_e32 v6, 32, v6
	v_subrev_u32_e32 v8, 28, v6
	v_bfe_u32 v5, v3, 3, 4
	v_lshlrev_b32_e32 v3, v8, v3
	v_sub_u32_e32 v6, 29, v6
	v_and_b32_e32 v3, 7, v3
	v_cmp_eq_u32_e32 vcc, 0, v5
	v_cndmask_b32_e32 v5, v5, v6, vcc
	v_cndmask_b32_e32 v3, v4, v3, vcc
	v_mov_b32_e32 v4, 0x3b800000
	v_lshlrev_b32_e32 v3, 20, v3
	v_and_b32_e32 v2, 0x80000000, v2
	v_lshl_add_u32 v4, v5, 23, v4
	v_or3_b32 v2, v2, v4, v3
.LBB14_174:
	s_or_b64 exec, exec, s[2:3]
.LBB14_175:
	s_mov_b64 s[0:1], -1
.LBB14_176:
	s_branch .LBB14_211
.LBB14_177:
	s_cmp_gt_i32 s16, 22
	s_cbranch_scc0 .LBB14_187
; %bb.178:
	s_cmp_lt_i32 s16, 24
	s_cbranch_scc1 .LBB14_190
; %bb.179:
	s_cmp_gt_i32 s16, 24
	s_cbranch_scc0 .LBB14_191
; %bb.180:
	global_load_ubyte v3, v[0:1], off
	s_movk_i32 s0, 0x7f
	s_waitcnt vmcnt(0)
	v_cmp_lt_i16_e32 vcc, s0, v3
	s_mov_b64 s[0:1], 0
	s_and_saveexec_b64 s[2:3], vcc
	s_xor_b64 s[2:3], exec, s[2:3]
	s_cbranch_execz .LBB14_203
; %bb.181:
	s_movk_i32 s0, 0x80
	v_cmp_eq_u16_e32 vcc, s0, v3
	s_mov_b64 s[0:1], -1
	s_and_saveexec_b64 s[4:5], vcc
; %bb.182:
	s_xor_b64 s[0:1], exec, -1
; %bb.183:
	s_or_b64 exec, exec, s[4:5]
	s_and_b64 s[0:1], s[0:1], exec
	s_or_saveexec_b64 s[2:3], s[2:3]
	v_mov_b32_e32 v2, 0x7f800001
	s_xor_b64 exec, exec, s[2:3]
	s_cbranch_execnz .LBB14_204
.LBB14_184:
	s_or_b64 exec, exec, s[2:3]
	s_and_saveexec_b64 s[2:3], s[0:1]
	s_cbranch_execz .LBB14_186
.LBB14_185:
	v_lshlrev_b32_e32 v2, 24, v3
	v_and_b32_e32 v3, 0xffff, v3
	v_and_b32_e32 v4, 3, v3
	v_ffbh_u32_e32 v6, v4
	v_min_u32_e32 v6, 32, v6
	v_subrev_u32_e32 v8, 29, v6
	v_bfe_u32 v5, v3, 2, 5
	v_lshlrev_b32_e32 v3, v8, v3
	v_sub_u32_e32 v6, 30, v6
	v_and_b32_e32 v3, 3, v3
	v_cmp_eq_u32_e32 vcc, 0, v5
	v_cndmask_b32_e32 v5, v5, v6, vcc
	v_cndmask_b32_e32 v3, v4, v3, vcc
	v_mov_b32_e32 v4, 0x37800000
	v_lshlrev_b32_e32 v3, 21, v3
	v_and_b32_e32 v2, 0x80000000, v2
	v_lshl_add_u32 v4, v5, 23, v4
	v_or3_b32 v2, v2, v4, v3
.LBB14_186:
	s_or_b64 exec, exec, s[2:3]
	s_mov_b64 s[0:1], 0
	s_branch .LBB14_192
.LBB14_187:
	s_mov_b64 s[2:3], -1
                                        ; implicit-def: $vgpr2
	s_branch .LBB14_198
.LBB14_188:
	s_or_saveexec_b64 s[2:3], s[2:3]
	v_mov_b32_e32 v2, 0x7f800001
	s_xor_b64 exec, exec, s[2:3]
	s_cbranch_execz .LBB14_172
.LBB14_189:
	v_cmp_ne_u16_e32 vcc, 0, v3
	s_andn2_b64 s[0:1], s[0:1], exec
	s_and_b64 s[4:5], vcc, exec
	v_mov_b32_e32 v2, 0
	s_or_b64 s[0:1], s[0:1], s[4:5]
	s_or_b64 exec, exec, s[2:3]
	s_and_saveexec_b64 s[2:3], s[0:1]
	s_cbranch_execnz .LBB14_173
	s_branch .LBB14_174
.LBB14_190:
	s_mov_b64 s[0:1], -1
                                        ; implicit-def: $vgpr2
	s_branch .LBB14_195
.LBB14_191:
	s_mov_b64 s[0:1], -1
                                        ; implicit-def: $vgpr2
.LBB14_192:
	s_and_b64 vcc, exec, s[0:1]
	s_cbranch_vccz .LBB14_194
; %bb.193:
	global_load_ubyte v2, v[0:1], off
	s_mov_b32 s0, 0x7f800000
	s_waitcnt vmcnt(0)
	v_lshlrev_b32_e32 v2, 24, v2
	v_and_b32_e32 v3, 0x7f000000, v2
	v_ffbh_u32_e32 v4, v3
	v_min_u32_e32 v4, 32, v4
	v_sub_u32_e64 v4, v4, 4 clamp
	v_lshlrev_b32_e32 v6, v4, v3
	v_lshlrev_b32_e32 v4, 23, v4
	v_lshrrev_b32_e32 v6, 4, v6
	v_add_u32_e32 v5, 0x1000000, v3
	v_sub_u32_e32 v4, v6, v4
	v_ashrrev_i32_e32 v5, 8, v5
	v_add_u32_e32 v4, 0x3c000000, v4
	v_and_or_b32 v4, v5, s0, v4
	v_cmp_ne_u32_e32 vcc, 0, v3
	v_cndmask_b32_e32 v3, 0, v4, vcc
	s_brev_b32 s0, 1
	v_and_or_b32 v2, v2, s0, v3
.LBB14_194:
	s_mov_b64 s[0:1], 0
.LBB14_195:
	s_andn2_b64 vcc, exec, s[0:1]
	s_cbranch_vccnz .LBB14_197
; %bb.196:
	global_load_ubyte v2, v[0:1], off
	s_movk_i32 s0, 0x7f00
	s_brev_b32 s1, 16
	s_waitcnt vmcnt(0)
	v_lshlrev_b16_e32 v3, 8, v2
	v_lshlrev_b32_e32 v2, 25, v2
	v_lshrrev_b32_e32 v4, 4, v2
	v_and_or_b32 v5, v3, s0, 0.5
	v_or_b32_e32 v4, 0x70000000, v4
	v_add_f32_e32 v5, -0.5, v5
	v_mul_f32_e32 v4, 0x7800000, v4
	v_cmp_gt_u32_e32 vcc, s1, v2
	v_bfe_i32 v3, v3, 0, 16
	v_cndmask_b32_e32 v2, v4, v5, vcc
	s_brev_b32 s0, 1
	v_and_or_b32 v2, v3, s0, v2
.LBB14_197:
	s_mov_b64 s[2:3], 0
	s_mov_b64 s[0:1], -1
.LBB14_198:
	s_andn2_b64 vcc, exec, s[2:3]
	s_cbranch_vccnz .LBB14_211
; %bb.199:
	s_cmp_gt_i32 s16, 14
	s_cbranch_scc0 .LBB14_202
; %bb.200:
	s_cmp_eq_u32 s16, 15
	s_cbranch_scc0 .LBB14_205
; %bb.201:
	global_load_ushort v2, v[0:1], off
	s_mov_b64 s[0:1], -1
	s_mov_b64 s[18:19], 0
	s_waitcnt vmcnt(0)
	v_lshlrev_b32_e32 v2, 16, v2
	s_branch .LBB14_206
.LBB14_202:
	s_mov_b64 s[2:3], -1
                                        ; implicit-def: $vgpr2
	s_branch .LBB14_207
.LBB14_203:
	s_or_saveexec_b64 s[2:3], s[2:3]
	v_mov_b32_e32 v2, 0x7f800001
	s_xor_b64 exec, exec, s[2:3]
	s_cbranch_execz .LBB14_184
.LBB14_204:
	v_cmp_ne_u16_e32 vcc, 0, v3
	s_andn2_b64 s[0:1], s[0:1], exec
	s_and_b64 s[4:5], vcc, exec
	v_mov_b32_e32 v2, 0
	s_or_b64 s[0:1], s[0:1], s[4:5]
	s_or_b64 exec, exec, s[2:3]
	s_and_saveexec_b64 s[2:3], s[0:1]
	s_cbranch_execnz .LBB14_185
	s_branch .LBB14_186
.LBB14_205:
	s_mov_b64 s[18:19], -1
                                        ; implicit-def: $vgpr2
.LBB14_206:
	s_mov_b64 s[2:3], 0
.LBB14_207:
	s_and_b64 vcc, exec, s[2:3]
	s_cbranch_vccz .LBB14_211
; %bb.208:
	s_cmp_eq_u32 s16, 11
	s_cbranch_scc0 .LBB14_210
; %bb.209:
	global_load_ubyte v2, v[0:1], off
	s_mov_b64 s[0:1], -1
	s_mov_b64 s[18:19], 0
	s_waitcnt vmcnt(0)
	v_cmp_ne_u16_e32 vcc, 0, v2
	v_cndmask_b32_e64 v2, 0, 1.0, vcc
	s_branch .LBB14_211
.LBB14_210:
	s_mov_b64 s[18:19], -1
                                        ; implicit-def: $vgpr2
.LBB14_211:
	s_branch .LBB14_10
.LBB14_212:
	s_cmp_lt_i32 s16, 5
	s_cbranch_scc1 .LBB14_217
; %bb.213:
	s_cmp_lt_i32 s16, 8
	s_cbranch_scc1 .LBB14_218
; %bb.214:
	;; [unrolled: 3-line block ×3, first 2 shown]
	s_cmp_gt_i32 s16, 9
	s_cbranch_scc0 .LBB14_220
; %bb.216:
	global_load_dwordx2 v[2:3], v[0:1], off
	s_mov_b64 s[0:1], 0
	s_waitcnt vmcnt(0)
	v_cvt_f32_f64_e32 v2, v[2:3]
	s_branch .LBB14_221
.LBB14_217:
                                        ; implicit-def: $vgpr2
	s_branch .LBB14_239
.LBB14_218:
	s_mov_b64 s[0:1], -1
                                        ; implicit-def: $vgpr2
	s_branch .LBB14_227
.LBB14_219:
	s_mov_b64 s[0:1], -1
                                        ; implicit-def: $vgpr2
	s_branch .LBB14_224
.LBB14_220:
	s_mov_b64 s[0:1], -1
                                        ; implicit-def: $vgpr2
.LBB14_221:
	s_andn2_b64 vcc, exec, s[0:1]
	s_cbranch_vccnz .LBB14_223
; %bb.222:
	global_load_dword v2, v[0:1], off
.LBB14_223:
	s_mov_b64 s[0:1], 0
.LBB14_224:
	s_andn2_b64 vcc, exec, s[0:1]
	s_cbranch_vccnz .LBB14_226
; %bb.225:
	global_load_dword v2, v[0:1], off
	s_waitcnt vmcnt(0)
	v_cvt_f32_f16_e32 v2, v2
.LBB14_226:
	s_mov_b64 s[0:1], 0
.LBB14_227:
	s_andn2_b64 vcc, exec, s[0:1]
	s_cbranch_vccnz .LBB14_238
; %bb.228:
	s_cmp_lt_i32 s16, 6
	s_cbranch_scc1 .LBB14_231
; %bb.229:
	s_cmp_gt_i32 s16, 6
	s_cbranch_scc0 .LBB14_232
; %bb.230:
	global_load_dwordx2 v[2:3], v[0:1], off
	s_mov_b64 s[0:1], 0
	s_waitcnt vmcnt(0)
	v_cvt_f32_f64_e32 v2, v[2:3]
	s_branch .LBB14_233
.LBB14_231:
	s_mov_b64 s[0:1], -1
                                        ; implicit-def: $vgpr2
	s_branch .LBB14_236
.LBB14_232:
	s_mov_b64 s[0:1], -1
                                        ; implicit-def: $vgpr2
.LBB14_233:
	s_andn2_b64 vcc, exec, s[0:1]
	s_cbranch_vccnz .LBB14_235
; %bb.234:
	global_load_dword v2, v[0:1], off
.LBB14_235:
	s_mov_b64 s[0:1], 0
.LBB14_236:
	s_andn2_b64 vcc, exec, s[0:1]
	s_cbranch_vccnz .LBB14_238
; %bb.237:
	global_load_ushort v2, v[0:1], off
	s_waitcnt vmcnt(0)
	v_cvt_f32_f16_e32 v2, v2
.LBB14_238:
	s_cbranch_execnz .LBB14_258
.LBB14_239:
	s_cmp_lt_i32 s16, 2
	s_cbranch_scc1 .LBB14_243
; %bb.240:
	s_cmp_lt_i32 s16, 3
	s_cbranch_scc1 .LBB14_244
; %bb.241:
	s_cmp_gt_i32 s16, 3
	s_cbranch_scc0 .LBB14_245
; %bb.242:
	global_load_dwordx2 v[2:3], v[0:1], off
	s_mov_b64 s[0:1], 0
	s_waitcnt vmcnt(0)
	v_xor_b32_e32 v5, v2, v3
	v_ffbh_i32_e32 v4, v3
	v_ashrrev_i32_e32 v5, 31, v5
	v_add_u32_e32 v4, -1, v4
	v_add_u32_e32 v5, 32, v5
	v_min_u32_e32 v4, v4, v5
	v_lshlrev_b64 v[2:3], v4, v[2:3]
	v_min_u32_e32 v2, 1, v2
	v_or_b32_e32 v2, v3, v2
	v_cvt_f32_i32_e32 v2, v2
	v_sub_u32_e32 v3, 32, v4
	v_ldexp_f32 v2, v2, v3
	s_branch .LBB14_246
.LBB14_243:
	s_mov_b64 s[0:1], -1
                                        ; implicit-def: $vgpr2
	s_branch .LBB14_252
.LBB14_244:
	s_mov_b64 s[0:1], -1
                                        ; implicit-def: $vgpr2
	s_branch .LBB14_249
.LBB14_245:
	s_mov_b64 s[0:1], -1
                                        ; implicit-def: $vgpr2
.LBB14_246:
	s_andn2_b64 vcc, exec, s[0:1]
	s_cbranch_vccnz .LBB14_248
; %bb.247:
	global_load_dword v2, v[0:1], off
	s_waitcnt vmcnt(0)
	v_cvt_f32_i32_e32 v2, v2
.LBB14_248:
	s_mov_b64 s[0:1], 0
.LBB14_249:
	s_andn2_b64 vcc, exec, s[0:1]
	s_cbranch_vccnz .LBB14_251
; %bb.250:
	global_load_sshort v2, v[0:1], off
	s_waitcnt vmcnt(0)
	v_cvt_f32_i32_e32 v2, v2
.LBB14_251:
	s_mov_b64 s[0:1], 0
.LBB14_252:
	s_andn2_b64 vcc, exec, s[0:1]
	s_cbranch_vccnz .LBB14_258
; %bb.253:
	s_cmp_gt_i32 s16, 0
	s_cbranch_scc0 .LBB14_255
; %bb.254:
	global_load_sbyte v2, v[0:1], off
	s_mov_b64 s[0:1], 0
	s_waitcnt vmcnt(0)
	v_cvt_f32_i32_e32 v2, v2
	s_branch .LBB14_256
.LBB14_255:
	s_mov_b64 s[0:1], -1
                                        ; implicit-def: $vgpr2
.LBB14_256:
	s_andn2_b64 vcc, exec, s[0:1]
	s_cbranch_vccnz .LBB14_258
; %bb.257:
	global_load_ubyte v0, v[0:1], off
	s_waitcnt vmcnt(0)
	v_cvt_f32_ubyte0_e32 v2, v0
.LBB14_258:
	s_branch .LBB14_11
.LBB14_259:
	s_mov_b64 s[0:1], 0
                                        ; implicit-def: $vgpr7
	s_mov_b64 s[2:3], 0
.LBB14_260:
	s_and_b64 s[16:17], s[0:1], exec
	s_and_b64 s[18:19], s[18:19], exec
	s_orn2_b64 s[2:3], s[2:3], exec
.LBB14_261:
	s_or_b64 exec, exec, s[20:21]
	s_mov_b64 s[4:5], 0
	s_mov_b64 s[0:1], 0
                                        ; implicit-def: $vgpr0_vgpr1
                                        ; implicit-def: $vgpr4
	s_and_saveexec_b64 s[20:21], s[2:3]
	s_cbranch_execz .LBB14_270
; %bb.262:
	v_cmp_gt_i32_e32 vcc, s40, v7
	s_mov_b64 s[0:1], -1
	s_mov_b64 s[22:23], s[18:19]
	s_mov_b64 s[24:25], s[16:17]
	s_and_saveexec_b64 s[26:27], vcc
	s_cbranch_execz .LBB14_532
; %bb.263:
	v_mul_lo_u32 v0, v7, s13
	v_mov_b32_e32 v1, s11
	s_and_b32 s24, 0xffff, s42
	s_cmp_lt_i32 s24, 11
	s_waitcnt vmcnt(0)
	v_ashrrev_i32_e32 v2, 31, v0
	v_add_co_u32_e32 v0, vcc, s10, v0
	v_addc_co_u32_e32 v1, vcc, v1, v2, vcc
	s_cbranch_scc1 .LBB14_273
; %bb.264:
	s_cmp_gt_i32 s24, 25
	s_cbranch_scc0 .LBB14_292
; %bb.265:
	s_cmp_gt_i32 s24, 28
	s_cbranch_scc0 .LBB14_294
	;; [unrolled: 3-line block ×4, first 2 shown]
; %bb.268:
	s_cmp_eq_u32 s24, 46
	s_mov_b64 s[2:3], 0
	s_cbranch_scc0 .LBB14_304
; %bb.269:
	global_load_dword v2, v[0:1], off
	s_mov_b64 s[22:23], 0
	s_waitcnt vmcnt(0)
	v_lshlrev_b32_e32 v2, 16, v2
	s_branch .LBB14_305
.LBB14_270:
	s_or_b64 exec, exec, s[20:21]
	s_mov_b64 s[20:21], 0
	s_and_saveexec_b64 s[2:3], s[18:19]
	s_cbranch_execnz .LBB14_888
.LBB14_271:
	s_or_b64 exec, exec, s[2:3]
	s_and_saveexec_b64 s[2:3], s[24:25]
	s_xor_b64 s[2:3], exec, s[2:3]
	s_cbranch_execz .LBB14_889
.LBB14_272:
	global_load_ubyte v2, v[0:1], off
	s_or_b64 s[0:1], s[0:1], exec
	s_waitcnt vmcnt(0)
	v_cmp_ne_u16_e32 vcc, 0, v2
	v_cndmask_b32_e64 v4, 0, 1.0, vcc
	s_or_b64 exec, exec, s[2:3]
	s_and_saveexec_b64 s[2:3], s[4:5]
	s_cbranch_execz .LBB14_935
	s_branch .LBB14_890
.LBB14_273:
	s_mov_b64 s[0:1], 0
                                        ; implicit-def: $vgpr2
	s_mov_b64 s[22:23], s[18:19]
	s_cbranch_execnz .LBB14_482
.LBB14_274:
	s_andn2_b64 vcc, exec, s[0:1]
	s_cbranch_vccnz .LBB14_530
.LBB14_275:
	s_mov_b32 s0, 0x7f800000
	s_waitcnt vmcnt(0)
	v_cmp_neq_f32_e64 s[0:1], |v2|, s0
	v_mov_b32_e32 v0, 0
	s_and_saveexec_b64 s[24:25], s[0:1]
	s_cbranch_execz .LBB14_285
; %bb.276:
	v_cmp_nlt_f32_e64 s[0:1], |v2|, 0.5
                                        ; implicit-def: $vgpr0
	s_and_saveexec_b64 s[2:3], s[0:1]
	s_xor_b64 s[28:29], exec, s[2:3]
	s_cbranch_execz .LBB14_282
; %bb.277:
	s_brev_b32 s0, 18
	v_and_b32_e32 v0, 0x7fffffff, v2
	v_cmp_nlt_f32_e64 s[0:1], |v2|, s0
                                        ; implicit-def: $vgpr1
                                        ; implicit-def: $vgpr3
	s_and_saveexec_b64 s[2:3], s[0:1]
	s_xor_b64 s[30:31], exec, s[2:3]
	s_cbranch_execz .LBB14_279
; %bb.278:
	v_and_b32_e32 v1, 0x7fffff, v0
	v_or_b32_e32 v1, 0x800000, v1
	s_mov_b32 s0, 0xfe5163ab
	v_mad_u64_u32 v[3:4], s[0:1], v1, s0, 0
	v_mov_b32_e32 v5, 0
	s_mov_b32 s0, 0x3c439041
	v_mad_u64_u32 v[8:9], s[0:1], v1, s0, v[4:5]
	s_mov_b32 s0, 0xdb629599
	v_not_b32_e32 v6, 63
	v_mov_b32_e32 v4, v9
	v_mad_u64_u32 v[9:10], s[0:1], v1, s0, v[4:5]
	s_mov_b32 s0, 0xf534ddc0
	v_not_b32_e32 v14, 31
	v_mov_b32_e32 v4, v10
	v_mad_u64_u32 v[10:11], s[0:1], v1, s0, v[4:5]
	v_lshrrev_b32_e32 v4, 23, v0
	v_add_u32_e32 v13, 0xffffff88, v4
	v_mov_b32_e32 v4, v11
	s_mov_b32 s0, 0xfc2757d1
	v_mad_u64_u32 v[11:12], s[0:1], v1, s0, v[4:5]
	v_cmp_lt_u32_e32 vcc, 63, v13
	v_cndmask_b32_e32 v4, 0, v6, vcc
	v_add_u32_e32 v6, v4, v13
	v_mov_b32_e32 v4, v12
	s_mov_b32 s0, 0x4e441529
	v_mad_u64_u32 v[12:13], s[0:1], v1, s0, v[4:5]
	v_cmp_lt_u32_e64 s[0:1], 31, v6
	v_cndmask_b32_e64 v4, 0, v14, s[0:1]
	v_add_u32_e32 v6, v4, v6
	v_mov_b32_e32 v4, v13
	s_mov_b32 s2, 0xa2f9836e
	v_mad_u64_u32 v[4:5], s[2:3], v1, s2, v[4:5]
	v_cmp_lt_u32_e64 s[2:3], 31, v6
	v_cndmask_b32_e64 v1, 0, v14, s[2:3]
	v_add_u32_e32 v1, v1, v6
	v_cndmask_b32_e32 v6, v12, v10, vcc
	v_cndmask_b32_e32 v4, v4, v11, vcc
	;; [unrolled: 1-line block ×3, first 2 shown]
	v_cndmask_b32_e64 v13, v4, v6, s[0:1]
	v_cndmask_b32_e64 v4, v5, v4, s[0:1]
	v_cndmask_b32_e32 v5, v11, v9, vcc
	v_cndmask_b32_e64 v6, v6, v5, s[0:1]
	v_cndmask_b32_e64 v4, v4, v13, s[2:3]
	;; [unrolled: 1-line block ×3, first 2 shown]
	v_sub_u32_e32 v12, 32, v1
	v_alignbit_b32 v13, v4, v11, v12
	v_cmp_eq_u32_e64 s[4:5], 0, v1
	v_cndmask_b32_e64 v1, v13, v4, s[4:5]
	v_cndmask_b32_e32 v4, v10, v8, vcc
	v_cndmask_b32_e64 v5, v5, v4, s[0:1]
	v_cndmask_b32_e64 v6, v6, v5, s[2:3]
	v_alignbit_b32 v8, v11, v6, v12
	v_cndmask_b32_e32 v3, v9, v3, vcc
	v_cndmask_b32_e64 v8, v8, v11, s[4:5]
	v_bfe_u32 v13, v1, 29, 1
	v_cndmask_b32_e64 v3, v4, v3, s[0:1]
	v_alignbit_b32 v10, v1, v8, 30
	v_sub_u32_e32 v14, 0, v13
	v_cndmask_b32_e64 v3, v5, v3, s[2:3]
	v_xor_b32_e32 v10, v10, v14
	v_alignbit_b32 v4, v6, v3, v12
	v_cndmask_b32_e64 v4, v4, v6, s[4:5]
	v_ffbh_u32_e32 v6, v10
	v_alignbit_b32 v5, v8, v4, 30
	v_min_u32_e32 v6, 32, v6
	v_alignbit_b32 v3, v4, v3, 30
	v_xor_b32_e32 v5, v5, v14
	v_sub_u32_e32 v8, 31, v6
	v_xor_b32_e32 v3, v3, v14
	v_alignbit_b32 v9, v10, v5, v8
	v_alignbit_b32 v3, v5, v3, v8
	;; [unrolled: 1-line block ×3, first 2 shown]
	v_ffbh_u32_e32 v5, v4
	v_min_u32_e32 v5, 32, v5
	v_lshrrev_b32_e32 v11, 29, v1
	v_not_b32_e32 v8, v5
	v_alignbit_b32 v3, v4, v3, v8
	v_lshlrev_b32_e32 v4, 31, v11
	v_or_b32_e32 v8, 0x33000000, v4
	v_add_lshl_u32 v5, v5, v6, 23
	v_lshrrev_b32_e32 v3, 9, v3
	v_sub_u32_e32 v5, v8, v5
	v_or_b32_e32 v4, 0.5, v4
	v_lshlrev_b32_e32 v6, 23, v6
	v_or_b32_e32 v3, v5, v3
	v_lshrrev_b32_e32 v5, 9, v9
	v_sub_u32_e32 v4, v4, v6
	v_or_b32_e32 v4, v5, v4
	s_mov_b32 s0, 0x3fc90fda
	v_mul_f32_e32 v5, 0x3fc90fda, v4
	v_fma_f32 v6, v4, s0, -v5
	v_fmac_f32_e32 v6, 0x33a22168, v4
	v_fmac_f32_e32 v6, 0x3fc90fda, v3
	v_lshrrev_b32_e32 v1, 30, v1
	v_add_f32_e32 v3, v5, v6
	v_add_u32_e32 v1, v13, v1
.LBB14_279:
	s_andn2_saveexec_b64 s[0:1], s[30:31]
	s_cbranch_execz .LBB14_281
; %bb.280:
	s_mov_b32 s2, 0x3f22f983
	v_mul_f32_e64 v1, |v2|, s2
	v_rndne_f32_e32 v4, v1
	s_mov_b32 s2, 0xbfc90fda
	v_cvt_i32_f32_e32 v1, v4
	v_fma_f32 v3, v4, s2, |v2|
	v_fmac_f32_e32 v3, 0xb3a22168, v4
	v_fmac_f32_e32 v3, 0xa7c234c4, v4
.LBB14_281:
	s_or_b64 exec, exec, s[0:1]
	v_mul_f32_e32 v4, v3, v3
	v_mov_b32_e32 v5, 0x3c0881c4
	v_fmac_f32_e32 v5, 0xb94c1982, v4
	v_mov_b32_e32 v6, 0xbe2aaa9d
	v_fmac_f32_e32 v6, v4, v5
	v_mul_f32_e32 v5, v4, v6
	v_fmac_f32_e32 v3, v3, v5
	v_mov_b32_e32 v5, 0xbab64f3b
	v_fmac_f32_e32 v5, 0x37d75334, v4
	v_mov_b32_e32 v6, 0x3d2aabf7
	;; [unrolled: 2-line block ×3, first 2 shown]
	v_fmac_f32_e32 v5, v4, v6
	v_fma_f32 v4, v4, v5, 1.0
	v_and_b32_e32 v5, 1, v1
	v_lshlrev_b32_e32 v1, 30, v1
	v_cmp_eq_u32_e32 vcc, 0, v5
	v_and_b32_e32 v1, 0x80000000, v1
	v_xor_b32_e32 v0, v0, v2
	v_cndmask_b32_e32 v3, v4, v3, vcc
	v_xor_b32_e32 v0, v0, v1
	s_movk_i32 s0, 0x1f8
	v_xor_b32_e32 v0, v0, v3
	v_mov_b32_e32 v1, 0x7fc00000
	v_cmp_class_f32_e64 vcc, v2, s0
	v_cndmask_b32_e32 v0, v1, v0, vcc
	v_div_scale_f32 v1, s[0:1], v2, v2, v0
	v_div_scale_f32 v3, vcc, v0, v2, v0
	v_rcp_f32_e32 v4, v1
	v_fma_f32 v5, -v1, v4, 1.0
	v_fmac_f32_e32 v4, v5, v4
	v_mul_f32_e32 v5, v3, v4
	v_fma_f32 v6, -v1, v5, v3
	v_fmac_f32_e32 v5, v6, v4
	v_fma_f32 v1, -v1, v5, v3
	v_div_fmas_f32 v1, v1, v4, v5
	v_div_fixup_f32 v0, v1, v2, v0
                                        ; implicit-def: $vgpr2
.LBB14_282:
	s_andn2_saveexec_b64 s[0:1], s[28:29]
	s_cbranch_execz .LBB14_284
; %bb.283:
	v_mul_f32_e32 v0, v2, v2
	v_mov_b32_e32 v1, 0xb2d7322b
	v_fmac_f32_e32 v1, 0x2f309231, v0
	v_mov_b32_e32 v2, 0x3638ef1d
	v_fmac_f32_e32 v2, v0, v1
	;; [unrolled: 2-line block ×5, first 2 shown]
	v_fma_f32 v0, v0, v1, 1.0
.LBB14_284:
	s_or_b64 exec, exec, s[0:1]
.LBB14_285:
	s_or_b64 exec, exec, s[24:25]
	v_mul_lo_u32 v1, v7, s12
	v_mov_b32_e32 v3, s9
	s_and_b32 s28, s33, 0xff
	s_cmp_lt_i32 s28, 11
	v_ashrrev_i32_e32 v4, 31, v1
	v_add_co_u32_e32 v2, vcc, s8, v1
	v_addc_co_u32_e32 v3, vcc, v3, v4, vcc
	s_cbranch_scc1 .LBB14_293
; %bb.286:
	s_and_b32 s29, 0xffff, s28
	s_cmp_gt_i32 s29, 25
	s_cbranch_scc0 .LBB14_295
; %bb.287:
	s_cmp_gt_i32 s29, 28
	s_cbranch_scc0 .LBB14_297
; %bb.288:
	;; [unrolled: 3-line block ×4, first 2 shown]
	s_mov_b64 s[4:5], 0
	s_mov_b64 s[0:1], -1
	s_cmp_eq_u32 s29, 46
	s_mov_b64 s[2:3], 0
	s_cbranch_scc0 .LBB14_309
; %bb.291:
	v_bfe_u32 v1, v0, 16, 1
	s_movk_i32 s0, 0x7fff
	v_add3_u32 v1, v0, v1, s0
	v_cmp_o_f32_e32 vcc, v0, v0
	v_mov_b32_e32 v4, 0x7fc0
	v_cndmask_b32_sdwa v1, v4, v1, vcc dst_sel:DWORD dst_unused:UNUSED_PAD src0_sel:DWORD src1_sel:WORD_1
	global_store_dword v[2:3], v1, off
	s_mov_b64 s[2:3], -1
	s_mov_b64 s[0:1], 0
	s_branch .LBB14_309
.LBB14_292:
	s_mov_b64 s[2:3], -1
	s_mov_b64 s[0:1], 0
	s_mov_b64 s[22:23], s[18:19]
                                        ; implicit-def: $vgpr2
	s_branch .LBB14_446
.LBB14_293:
	s_mov_b64 s[4:5], -1
	s_mov_b64 s[2:3], 0
	s_mov_b64 s[0:1], s[16:17]
	s_branch .LBB14_378
.LBB14_294:
	s_mov_b64 s[2:3], -1
	s_mov_b64 s[0:1], 0
	s_mov_b64 s[22:23], s[18:19]
                                        ; implicit-def: $vgpr2
	s_branch .LBB14_427
.LBB14_295:
	s_mov_b64 s[4:5], -1
	s_mov_b64 s[2:3], 0
	s_mov_b64 s[0:1], s[16:17]
	s_branch .LBB14_336
.LBB14_296:
	s_mov_b64 s[2:3], -1
	s_mov_b64 s[0:1], 0
	s_mov_b64 s[22:23], s[18:19]
                                        ; implicit-def: $vgpr2
	s_branch .LBB14_422
.LBB14_297:
	s_mov_b64 s[4:5], -1
	s_mov_b64 s[2:3], 0
	s_mov_b64 s[0:1], s[16:17]
	s_branch .LBB14_319
.LBB14_298:
	s_andn2_saveexec_b64 s[16:17], s[16:17]
	s_cbranch_execz .LBB14_64
.LBB14_299:
	s_mov_b32 s26, 0x46000000
	v_add_f32_e64 v1, |v0|, s26
	v_and_b32_e32 v1, 0xff, v1
	v_cmp_ne_u32_e32 vcc, 0, v1
	s_andn2_b64 s[4:5], s[4:5], exec
	s_and_b64 s[26:27], vcc, exec
	s_or_b64 s[4:5], s[4:5], s[26:27]
	s_or_b64 exec, exec, s[16:17]
	v_mov_b32_e32 v4, 0
	s_and_saveexec_b64 s[16:17], s[4:5]
	s_cbranch_execnz .LBB14_65
	s_branch .LBB14_66
.LBB14_300:
	s_mov_b64 s[2:3], -1
	s_mov_b64 s[0:1], 0
	s_mov_b64 s[22:23], s[18:19]
                                        ; implicit-def: $vgpr2
	s_branch .LBB14_305
.LBB14_301:
	s_mov_b64 s[4:5], -1
	s_mov_b64 s[2:3], 0
	s_mov_b64 s[0:1], s[16:17]
	s_branch .LBB14_315
.LBB14_302:
	s_andn2_saveexec_b64 s[16:17], s[16:17]
	s_cbranch_execz .LBB14_77
.LBB14_303:
	s_mov_b32 s26, 0x42800000
	v_add_f32_e64 v1, |v0|, s26
	v_and_b32_e32 v1, 0xff, v1
	v_cmp_ne_u32_e32 vcc, 0, v1
	s_andn2_b64 s[4:5], s[4:5], exec
	s_and_b64 s[26:27], vcc, exec
	s_or_b64 s[4:5], s[4:5], s[26:27]
	s_or_b64 exec, exec, s[16:17]
	v_mov_b32_e32 v4, 0
	s_and_saveexec_b64 s[16:17], s[4:5]
	s_cbranch_execnz .LBB14_78
	s_branch .LBB14_79
.LBB14_304:
	s_mov_b64 s[22:23], -1
                                        ; implicit-def: $vgpr2
	s_mov_b64 s[0:1], 0
.LBB14_305:
	s_and_b64 vcc, exec, s[2:3]
	s_cbranch_vccz .LBB14_421
; %bb.306:
	s_cmp_eq_u32 s24, 44
	s_cbranch_scc0 .LBB14_420
; %bb.307:
	global_load_ubyte v2, v[0:1], off
	s_movk_i32 s2, 0xff
	v_mov_b32_e32 v3, 0x7f800001
	v_mov_b32_e32 v4, 0x400000
	s_mov_b64 s[0:1], -1
	s_mov_b64 s[22:23], 0
	s_waitcnt vmcnt(0)
	v_lshlrev_b32_e32 v5, 23, v2
	v_cmp_ne_u32_e32 vcc, s2, v2
	v_cndmask_b32_e32 v3, v3, v5, vcc
	v_cmp_ne_u32_e32 vcc, 0, v2
	v_cndmask_b32_e32 v2, v4, v3, vcc
	s_branch .LBB14_421
.LBB14_308:
	s_mov_b64 s[4:5], -1
	s_mov_b64 s[2:3], 0
	s_mov_b64 s[0:1], s[16:17]
.LBB14_309:
	s_and_b64 vcc, exec, s[4:5]
	s_cbranch_vccz .LBB14_314
; %bb.310:
	s_cmp_eq_u32 s29, 44
	s_mov_b64 s[0:1], -1
	s_cbranch_scc0 .LBB14_314
; %bb.311:
	v_bfe_u32 v1, v0, 23, 8
	s_movk_i32 s0, 0xff
	v_cmp_ne_u32_e32 vcc, s0, v1
	v_mov_b32_e32 v4, 0xff
	s_and_saveexec_b64 s[2:3], vcc
; %bb.312:
	s_mov_b32 s0, 0x3fffff
	v_and_b32_e32 v5, 0x400000, v0
	v_and_or_b32 v1, v0, s0, v1
	v_cmp_ne_u32_e32 vcc, 0, v5
	v_cmp_ne_u32_e64 s[0:1], 0, v1
	s_and_b64 s[0:1], vcc, s[0:1]
	v_lshrrev_b32_e32 v4, 23, v0
	v_cndmask_b32_e64 v1, 0, 1, s[0:1]
	v_add_u32_e32 v4, v4, v1
; %bb.313:
	s_or_b64 exec, exec, s[2:3]
	s_mov_b64 s[2:3], -1
	s_mov_b64 s[0:1], 0
	global_store_byte v[2:3], v4, off
.LBB14_314:
	s_mov_b64 s[4:5], 0
.LBB14_315:
	s_and_b64 vcc, exec, s[4:5]
	s_cbranch_vccz .LBB14_318
; %bb.316:
	s_cmp_eq_u32 s29, 29
	s_mov_b64 s[0:1], -1
	s_cbranch_scc0 .LBB14_318
; %bb.317:
	v_trunc_f32_e32 v1, v0
	v_mul_f32_e32 v4, 0x2f800000, v1
	v_floor_f32_e32 v4, v4
	v_fmac_f32_e32 v1, 0xcf800000, v4
	v_cvt_u32_f32_e32 v5, v4
	v_cvt_u32_f32_e32 v4, v1
	s_mov_b64 s[2:3], -1
	s_mov_b64 s[0:1], 0
	s_mov_b64 s[4:5], 0
	global_store_dwordx2 v[2:3], v[4:5], off
	s_branch .LBB14_319
.LBB14_318:
	s_mov_b64 s[4:5], 0
.LBB14_319:
	s_and_b64 vcc, exec, s[4:5]
	s_cbranch_vccz .LBB14_335
; %bb.320:
	s_cmp_lt_i32 s29, 27
	s_mov_b64 s[2:3], -1
	s_cbranch_scc1 .LBB14_326
; %bb.321:
	v_cvt_u32_f32_e32 v1, v0
	s_cmp_gt_i32 s29, 27
	s_cbranch_scc0 .LBB14_323
; %bb.322:
	s_mov_b64 s[2:3], 0
	global_store_dword v[2:3], v1, off
.LBB14_323:
	s_andn2_b64 vcc, exec, s[2:3]
	s_cbranch_vccnz .LBB14_325
; %bb.324:
	global_store_short v[2:3], v1, off
.LBB14_325:
	s_mov_b64 s[2:3], 0
.LBB14_326:
	s_andn2_b64 vcc, exec, s[2:3]
	s_cbranch_vccnz .LBB14_334
; %bb.327:
	v_and_b32_e32 v1, 0x7fffffff, v0
	s_mov_b32 s2, 0x43800000
	v_cmp_gt_u32_e32 vcc, s2, v1
	v_mov_b32_e32 v4, 0x80
	s_and_saveexec_b64 s[2:3], vcc
	s_cbranch_execz .LBB14_333
; %bb.328:
	s_mov_b32 s4, 0x3bffffff
	v_cmp_lt_u32_e32 vcc, s4, v1
	s_mov_b64 s[4:5], 0
                                        ; implicit-def: $vgpr1
	s_and_saveexec_b64 s[24:25], vcc
	s_xor_b64 s[24:25], exec, s[24:25]
	s_cbranch_execz .LBB14_545
; %bb.329:
	v_bfe_u32 v1, v0, 20, 1
	s_mov_b32 s30, 0x487ffff
	v_add3_u32 v1, v0, v1, s30
	s_mov_b64 s[4:5], exec
	v_lshrrev_b32_e32 v1, 20, v1
	s_andn2_saveexec_b64 s[24:25], s[24:25]
	s_cbranch_execnz .LBB14_546
.LBB14_330:
	s_or_b64 exec, exec, s[24:25]
	v_mov_b32_e32 v4, 0
	s_and_saveexec_b64 s[24:25], s[4:5]
.LBB14_331:
	v_lshrrev_b32_e32 v4, 24, v0
	s_movk_i32 s4, 0x80
	v_and_or_b32 v4, v4, s4, v1
.LBB14_332:
	s_or_b64 exec, exec, s[24:25]
.LBB14_333:
	s_or_b64 exec, exec, s[2:3]
	global_store_byte v[2:3], v4, off
.LBB14_334:
	s_mov_b64 s[2:3], -1
.LBB14_335:
	s_mov_b64 s[4:5], 0
.LBB14_336:
	s_and_b64 vcc, exec, s[4:5]
	s_cbranch_vccz .LBB14_377
; %bb.337:
	s_cmp_gt_i32 s29, 22
	s_mov_b64 s[4:5], -1
	s_cbranch_scc0 .LBB14_369
; %bb.338:
	s_cmp_lt_i32 s29, 24
	s_mov_b64 s[2:3], -1
	s_cbranch_scc1 .LBB14_358
; %bb.339:
	s_cmp_gt_i32 s29, 24
	s_cbranch_scc0 .LBB14_347
; %bb.340:
	v_and_b32_e32 v1, 0x7fffffff, v0
	s_mov_b32 s2, 0x47800000
	v_cmp_gt_u32_e32 vcc, s2, v1
	v_mov_b32_e32 v4, 0x80
	s_and_saveexec_b64 s[2:3], vcc
	s_cbranch_execz .LBB14_346
; %bb.341:
	s_mov_b32 s4, 0x37ffffff
	v_cmp_lt_u32_e32 vcc, s4, v1
	s_mov_b64 s[4:5], 0
                                        ; implicit-def: $vgpr1
	s_and_saveexec_b64 s[24:25], vcc
	s_xor_b64 s[24:25], exec, s[24:25]
	s_cbranch_execz .LBB14_548
; %bb.342:
	v_bfe_u32 v1, v0, 21, 1
	s_mov_b32 s30, 0x88fffff
	v_add3_u32 v1, v0, v1, s30
	s_mov_b64 s[4:5], exec
	v_lshrrev_b32_e32 v1, 21, v1
	s_andn2_saveexec_b64 s[24:25], s[24:25]
	s_cbranch_execnz .LBB14_549
.LBB14_343:
	s_or_b64 exec, exec, s[24:25]
	v_mov_b32_e32 v4, 0
	s_and_saveexec_b64 s[24:25], s[4:5]
.LBB14_344:
	v_lshrrev_b32_e32 v4, 24, v0
	s_movk_i32 s4, 0x80
	v_and_or_b32 v4, v4, s4, v1
.LBB14_345:
	s_or_b64 exec, exec, s[24:25]
.LBB14_346:
	s_or_b64 exec, exec, s[2:3]
	s_mov_b64 s[2:3], 0
	global_store_byte v[2:3], v4, off
.LBB14_347:
	s_and_b64 vcc, exec, s[2:3]
	s_cbranch_vccz .LBB14_357
; %bb.348:
	v_and_b32_e32 v4, 0x7fffffff, v0
	s_mov_b32 s2, 0x43f00000
	v_cmp_gt_u32_e32 vcc, s2, v4
                                        ; implicit-def: $vgpr1
	s_and_saveexec_b64 s[2:3], vcc
	s_xor_b64 s[2:3], exec, s[2:3]
	s_cbranch_execz .LBB14_354
; %bb.349:
	s_mov_b32 s4, 0x3c7fffff
	v_cmp_lt_u32_e32 vcc, s4, v4
                                        ; implicit-def: $vgpr1
	s_and_saveexec_b64 s[4:5], vcc
	s_xor_b64 s[4:5], exec, s[4:5]
; %bb.350:
	v_bfe_u32 v1, v0, 20, 1
	s_mov_b32 s24, 0x407ffff
	v_add3_u32 v1, v0, v1, s24
	v_lshrrev_b32_e32 v4, 20, v1
	v_and_b32_e32 v1, 0xff00000, v1
	s_mov_b32 s24, 0x7f00000
	v_mov_b32_e32 v5, 0x7e
	v_cmp_ne_u32_e32 vcc, s24, v1
	v_cndmask_b32_e32 v1, v5, v4, vcc
; %bb.351:
	s_andn2_saveexec_b64 s[4:5], s[4:5]
; %bb.352:
	s_mov_b32 s24, 0x46800000
	v_add_f32_e64 v1, |v0|, s24
; %bb.353:
	s_or_b64 exec, exec, s[4:5]
                                        ; implicit-def: $vgpr4
.LBB14_354:
	s_andn2_saveexec_b64 s[2:3], s[2:3]
; %bb.355:
	s_mov_b32 s4, 0x7f800000
	v_mov_b32_e32 v1, 0x7e
	v_mov_b32_e32 v5, 0x7f
	v_cmp_lt_u32_e32 vcc, s4, v4
	v_cndmask_b32_e32 v1, v1, v5, vcc
; %bb.356:
	s_or_b64 exec, exec, s[2:3]
	v_lshrrev_b32_e32 v4, 24, v0
	s_movk_i32 s2, 0x80
	v_and_or_b32 v1, v4, s2, v1
	global_store_byte v[2:3], v1, off
.LBB14_357:
	s_mov_b64 s[2:3], 0
.LBB14_358:
	s_andn2_b64 vcc, exec, s[2:3]
	s_cbranch_vccnz .LBB14_368
; %bb.359:
	v_and_b32_e32 v4, 0x7fffffff, v0
	s_mov_b32 s2, 0x47800000
	v_cmp_gt_u32_e32 vcc, s2, v4
                                        ; implicit-def: $vgpr1
	s_and_saveexec_b64 s[2:3], vcc
	s_xor_b64 s[2:3], exec, s[2:3]
	s_cbranch_execz .LBB14_365
; %bb.360:
	s_mov_b32 s4, 0x387fffff
	v_cmp_lt_u32_e32 vcc, s4, v4
                                        ; implicit-def: $vgpr1
	s_and_saveexec_b64 s[4:5], vcc
	s_xor_b64 s[4:5], exec, s[4:5]
; %bb.361:
	v_bfe_u32 v1, v0, 21, 1
	s_mov_b32 s24, 0x80fffff
	v_add3_u32 v1, v0, v1, s24
	v_lshrrev_b32_e32 v1, 21, v1
; %bb.362:
	s_andn2_saveexec_b64 s[4:5], s[4:5]
; %bb.363:
	s_mov_b32 s24, 0x43000000
	v_add_f32_e64 v1, |v0|, s24
; %bb.364:
	s_or_b64 exec, exec, s[4:5]
                                        ; implicit-def: $vgpr4
.LBB14_365:
	s_andn2_saveexec_b64 s[2:3], s[2:3]
; %bb.366:
	s_mov_b32 s4, 0x7f800000
	v_mov_b32_e32 v1, 0x7c
	v_mov_b32_e32 v5, 0x7f
	v_cmp_lt_u32_e32 vcc, s4, v4
	v_cndmask_b32_e32 v1, v1, v5, vcc
; %bb.367:
	s_or_b64 exec, exec, s[2:3]
	v_lshrrev_b32_e32 v4, 24, v0
	s_movk_i32 s2, 0x80
	v_and_or_b32 v1, v4, s2, v1
	global_store_byte v[2:3], v1, off
.LBB14_368:
	s_mov_b64 s[4:5], 0
	s_mov_b64 s[2:3], -1
.LBB14_369:
	s_andn2_b64 vcc, exec, s[4:5]
	s_cbranch_vccnz .LBB14_377
; %bb.370:
	s_cmp_gt_i32 s29, 14
	s_mov_b64 s[4:5], -1
	s_cbranch_scc0 .LBB14_374
; %bb.371:
	s_cmp_eq_u32 s29, 15
	s_mov_b64 s[0:1], -1
	s_cbranch_scc0 .LBB14_373
; %bb.372:
	v_bfe_u32 v1, v0, 16, 1
	s_movk_i32 s0, 0x7fff
	v_add3_u32 v1, v0, v1, s0
	v_cmp_o_f32_e32 vcc, v0, v0
	v_mov_b32_e32 v4, 0x7fc0
	v_cndmask_b32_sdwa v1, v4, v1, vcc dst_sel:DWORD dst_unused:UNUSED_PAD src0_sel:DWORD src1_sel:WORD_1
	global_store_short v[2:3], v1, off
	s_mov_b64 s[2:3], -1
	s_mov_b64 s[0:1], 0
.LBB14_373:
	s_mov_b64 s[4:5], 0
.LBB14_374:
	s_and_b64 vcc, exec, s[4:5]
	s_cbranch_vccz .LBB14_377
; %bb.375:
	s_cmp_eq_u32 s29, 11
	s_mov_b64 s[0:1], -1
	s_cbranch_scc0 .LBB14_377
; %bb.376:
	v_cmp_neq_f32_e32 vcc, 0, v0
	v_cndmask_b32_e64 v1, 0, 1, vcc
	s_mov_b64 s[2:3], -1
	s_mov_b64 s[0:1], 0
	global_store_byte v[2:3], v1, off
.LBB14_377:
	s_mov_b64 s[4:5], 0
.LBB14_378:
	s_and_b64 vcc, exec, s[4:5]
	s_cbranch_vccz .LBB14_417
; %bb.379:
	s_and_b32 s4, 0xffff, s28
	s_cmp_lt_i32 s4, 5
	s_mov_b64 s[2:3], -1
	s_cbranch_scc1 .LBB14_400
; %bb.380:
	s_cmp_lt_i32 s4, 8
	s_cbranch_scc1 .LBB14_390
; %bb.381:
	s_cmp_lt_i32 s4, 9
	s_cbranch_scc1 .LBB14_387
; %bb.382:
	s_cmp_gt_i32 s4, 9
	s_cbranch_scc0 .LBB14_384
; %bb.383:
	v_cvt_f64_f32_e32 v[8:9], v0
	v_mov_b32_e32 v10, 0
	v_mov_b32_e32 v11, v10
	s_mov_b64 s[2:3], 0
	global_store_dwordx4 v[2:3], v[8:11], off
.LBB14_384:
	s_andn2_b64 vcc, exec, s[2:3]
	s_cbranch_vccnz .LBB14_386
; %bb.385:
	v_mov_b32_e32 v1, 0
	global_store_dwordx2 v[2:3], v[0:1], off
.LBB14_386:
	s_mov_b64 s[2:3], 0
.LBB14_387:
	s_andn2_b64 vcc, exec, s[2:3]
	s_cbranch_vccnz .LBB14_389
; %bb.388:
	v_cvt_f16_f32_e32 v1, v0
	global_store_dword v[2:3], v1, off
.LBB14_389:
	s_mov_b64 s[2:3], 0
.LBB14_390:
	s_andn2_b64 vcc, exec, s[2:3]
	s_cbranch_vccnz .LBB14_399
; %bb.391:
	s_cmp_lt_i32 s4, 6
	s_mov_b64 s[2:3], -1
	s_cbranch_scc1 .LBB14_397
; %bb.392:
	s_cmp_gt_i32 s4, 6
	s_cbranch_scc0 .LBB14_394
; %bb.393:
	v_cvt_f64_f32_e32 v[4:5], v0
	s_mov_b64 s[2:3], 0
	global_store_dwordx2 v[2:3], v[4:5], off
.LBB14_394:
	s_andn2_b64 vcc, exec, s[2:3]
	s_cbranch_vccnz .LBB14_396
; %bb.395:
	global_store_dword v[2:3], v0, off
.LBB14_396:
	s_mov_b64 s[2:3], 0
.LBB14_397:
	s_andn2_b64 vcc, exec, s[2:3]
	s_cbranch_vccnz .LBB14_399
; %bb.398:
	v_cvt_f16_f32_e32 v1, v0
	global_store_short v[2:3], v1, off
.LBB14_399:
	s_mov_b64 s[2:3], 0
.LBB14_400:
	s_andn2_b64 vcc, exec, s[2:3]
	s_cbranch_vccnz .LBB14_416
; %bb.401:
	s_cmp_lt_i32 s4, 2
	s_mov_b64 s[2:3], -1
	s_cbranch_scc1 .LBB14_411
; %bb.402:
	s_cmp_lt_i32 s4, 3
	s_cbranch_scc1 .LBB14_408
; %bb.403:
	s_cmp_gt_i32 s4, 3
	s_cbranch_scc0 .LBB14_405
; %bb.404:
	v_trunc_f32_e32 v1, v0
	s_mov_b32 s2, 0x2f800000
	v_mul_f32_e64 v4, |v1|, s2
	v_floor_f32_e32 v4, v4
	s_mov_b32 s2, 0xcf800000
	v_cvt_u32_f32_e32 v5, v4
	v_fma_f32 v4, v4, s2, |v1|
	v_cvt_u32_f32_e32 v4, v4
	v_ashrrev_i32_e32 v1, 31, v1
	v_xor_b32_e32 v5, v5, v1
	s_mov_b64 s[2:3], 0
	v_xor_b32_e32 v4, v4, v1
	v_sub_co_u32_e32 v4, vcc, v4, v1
	v_subb_co_u32_e32 v5, vcc, v5, v1, vcc
	global_store_dwordx2 v[2:3], v[4:5], off
.LBB14_405:
	s_andn2_b64 vcc, exec, s[2:3]
	s_cbranch_vccnz .LBB14_407
; %bb.406:
	v_cvt_i32_f32_e32 v1, v0
	global_store_dword v[2:3], v1, off
.LBB14_407:
	s_mov_b64 s[2:3], 0
.LBB14_408:
	s_andn2_b64 vcc, exec, s[2:3]
	s_cbranch_vccnz .LBB14_410
; %bb.409:
	v_cvt_i32_f32_e32 v1, v0
	global_store_short v[2:3], v1, off
.LBB14_410:
	s_mov_b64 s[2:3], 0
.LBB14_411:
	s_andn2_b64 vcc, exec, s[2:3]
	s_cbranch_vccnz .LBB14_416
; %bb.412:
	s_cmp_gt_i32 s4, 0
	s_mov_b64 s[2:3], -1
	s_cbranch_scc0 .LBB14_414
; %bb.413:
	v_cvt_i32_f32_e32 v1, v0
	s_mov_b64 s[2:3], 0
	global_store_byte v[2:3], v1, off
.LBB14_414:
	s_andn2_b64 vcc, exec, s[2:3]
	s_cbranch_vccnz .LBB14_416
; %bb.415:
	v_trunc_f32_e32 v0, v0
	s_mov_b32 s2, 0x2f800000
	v_mul_f32_e64 v1, |v0|, s2
	v_floor_f32_e32 v1, v1
	s_mov_b32 s2, 0xcf800000
	v_fma_f32 v1, v1, s2, |v0|
	v_cvt_u32_f32_e32 v1, v1
	v_ashrrev_i32_e32 v0, 31, v0
	v_xor_b32_e32 v1, v1, v0
	v_sub_u32_e32 v0, v1, v0
	global_store_byte v[2:3], v0, off
.LBB14_416:
	s_mov_b64 s[2:3], -1
.LBB14_417:
	s_andn2_b64 vcc, exec, s[2:3]
	s_cbranch_vccnz .LBB14_419
; %bb.418:
	v_add_u32_e32 v7, 0x80, v7
	s_mov_b64 s[2:3], -1
	s_branch .LBB14_531
.LBB14_419:
	s_mov_b64 s[2:3], 0
                                        ; implicit-def: $vgpr7
	s_branch .LBB14_531
.LBB14_420:
	s_mov_b64 s[22:23], -1
                                        ; implicit-def: $vgpr2
.LBB14_421:
	s_mov_b64 s[2:3], 0
.LBB14_422:
	s_and_b64 vcc, exec, s[2:3]
	s_cbranch_vccz .LBB14_426
; %bb.423:
	s_cmp_eq_u32 s24, 29
	s_cbranch_scc0 .LBB14_425
; %bb.424:
	global_load_dwordx2 v[2:3], v[0:1], off
	s_mov_b64 s[0:1], -1
	s_mov_b64 s[22:23], 0
	s_mov_b64 s[2:3], 0
	s_waitcnt vmcnt(0)
	v_ffbh_u32_e32 v4, v3
	v_min_u32_e32 v4, 32, v4
	v_lshlrev_b64 v[2:3], v4, v[2:3]
	v_min_u32_e32 v2, 1, v2
	v_or_b32_e32 v2, v3, v2
	v_cvt_f32_u32_e32 v2, v2
	v_sub_u32_e32 v3, 32, v4
	v_ldexp_f32 v2, v2, v3
	s_branch .LBB14_427
.LBB14_425:
	s_mov_b64 s[22:23], -1
                                        ; implicit-def: $vgpr2
.LBB14_426:
	s_mov_b64 s[2:3], 0
.LBB14_427:
	s_and_b64 vcc, exec, s[2:3]
	s_cbranch_vccz .LBB14_445
; %bb.428:
	s_cmp_lt_i32 s24, 27
	s_cbranch_scc1 .LBB14_431
; %bb.429:
	s_cmp_gt_i32 s24, 27
	s_cbranch_scc0 .LBB14_432
; %bb.430:
	global_load_dword v2, v[0:1], off
	s_mov_b64 s[0:1], 0
	s_waitcnt vmcnt(0)
	v_cvt_f32_u32_e32 v2, v2
	s_branch .LBB14_433
.LBB14_431:
	s_mov_b64 s[0:1], -1
                                        ; implicit-def: $vgpr2
	s_branch .LBB14_436
.LBB14_432:
	s_mov_b64 s[0:1], -1
                                        ; implicit-def: $vgpr2
.LBB14_433:
	s_andn2_b64 vcc, exec, s[0:1]
	s_cbranch_vccnz .LBB14_435
; %bb.434:
	global_load_ushort v2, v[0:1], off
	s_waitcnt vmcnt(0)
	v_cvt_f32_u32_e32 v2, v2
.LBB14_435:
	s_mov_b64 s[0:1], 0
.LBB14_436:
	s_andn2_b64 vcc, exec, s[0:1]
	s_cbranch_vccnz .LBB14_444
; %bb.437:
	global_load_ubyte v3, v[0:1], off
	s_movk_i32 s0, 0x7f
	s_waitcnt vmcnt(0)
	v_cmp_lt_i16_e32 vcc, s0, v3
	s_mov_b64 s[0:1], 0
	s_and_saveexec_b64 s[2:3], vcc
	s_xor_b64 s[2:3], exec, s[2:3]
	s_cbranch_execz .LBB14_458
; %bb.438:
	s_movk_i32 s0, 0x80
	v_cmp_eq_u16_e32 vcc, s0, v3
	s_mov_b64 s[0:1], -1
	s_and_saveexec_b64 s[4:5], vcc
; %bb.439:
	s_xor_b64 s[0:1], exec, -1
; %bb.440:
	s_or_b64 exec, exec, s[4:5]
	s_and_b64 s[0:1], s[0:1], exec
	s_or_saveexec_b64 s[2:3], s[2:3]
	v_mov_b32_e32 v2, 0x7f800001
	s_xor_b64 exec, exec, s[2:3]
	s_cbranch_execnz .LBB14_459
.LBB14_441:
	s_or_b64 exec, exec, s[2:3]
	s_and_saveexec_b64 s[2:3], s[0:1]
	s_cbranch_execz .LBB14_443
.LBB14_442:
	v_lshlrev_b32_e32 v2, 24, v3
	v_and_b32_e32 v3, 0xffff, v3
	v_and_b32_e32 v4, 7, v3
	v_ffbh_u32_e32 v6, v4
	v_min_u32_e32 v6, 32, v6
	v_subrev_u32_e32 v8, 28, v6
	v_bfe_u32 v5, v3, 3, 4
	v_lshlrev_b32_e32 v3, v8, v3
	v_sub_u32_e32 v6, 29, v6
	v_and_b32_e32 v3, 7, v3
	v_cmp_eq_u32_e32 vcc, 0, v5
	v_cndmask_b32_e32 v5, v5, v6, vcc
	v_cndmask_b32_e32 v3, v4, v3, vcc
	v_mov_b32_e32 v4, 0x3b800000
	v_lshlrev_b32_e32 v3, 20, v3
	v_and_b32_e32 v2, 0x80000000, v2
	v_lshl_add_u32 v4, v5, 23, v4
	v_or3_b32 v2, v2, v4, v3
.LBB14_443:
	s_or_b64 exec, exec, s[2:3]
.LBB14_444:
	s_mov_b64 s[0:1], -1
.LBB14_445:
	s_mov_b64 s[2:3], 0
.LBB14_446:
	s_and_b64 vcc, exec, s[2:3]
	s_cbranch_vccz .LBB14_481
; %bb.447:
	s_cmp_gt_i32 s24, 22
	s_cbranch_scc0 .LBB14_457
; %bb.448:
	s_cmp_lt_i32 s24, 24
	s_cbranch_scc1 .LBB14_460
; %bb.449:
	s_cmp_gt_i32 s24, 24
	s_cbranch_scc0 .LBB14_461
; %bb.450:
	global_load_ubyte v3, v[0:1], off
	s_movk_i32 s0, 0x7f
	s_waitcnt vmcnt(0)
	v_cmp_lt_i16_e32 vcc, s0, v3
	s_mov_b64 s[0:1], 0
	s_and_saveexec_b64 s[2:3], vcc
	s_xor_b64 s[2:3], exec, s[2:3]
	s_cbranch_execz .LBB14_473
; %bb.451:
	s_movk_i32 s0, 0x80
	v_cmp_eq_u16_e32 vcc, s0, v3
	s_mov_b64 s[0:1], -1
	s_and_saveexec_b64 s[4:5], vcc
; %bb.452:
	s_xor_b64 s[0:1], exec, -1
; %bb.453:
	s_or_b64 exec, exec, s[4:5]
	s_and_b64 s[0:1], s[0:1], exec
	s_or_saveexec_b64 s[2:3], s[2:3]
	v_mov_b32_e32 v2, 0x7f800001
	s_xor_b64 exec, exec, s[2:3]
	s_cbranch_execnz .LBB14_474
.LBB14_454:
	s_or_b64 exec, exec, s[2:3]
	s_and_saveexec_b64 s[2:3], s[0:1]
	s_cbranch_execz .LBB14_456
.LBB14_455:
	v_lshlrev_b32_e32 v2, 24, v3
	v_and_b32_e32 v3, 0xffff, v3
	v_and_b32_e32 v4, 3, v3
	v_ffbh_u32_e32 v6, v4
	v_min_u32_e32 v6, 32, v6
	v_subrev_u32_e32 v8, 29, v6
	v_bfe_u32 v5, v3, 2, 5
	v_lshlrev_b32_e32 v3, v8, v3
	v_sub_u32_e32 v6, 30, v6
	v_and_b32_e32 v3, 3, v3
	v_cmp_eq_u32_e32 vcc, 0, v5
	v_cndmask_b32_e32 v5, v5, v6, vcc
	v_cndmask_b32_e32 v3, v4, v3, vcc
	v_mov_b32_e32 v4, 0x37800000
	v_lshlrev_b32_e32 v3, 21, v3
	v_and_b32_e32 v2, 0x80000000, v2
	v_lshl_add_u32 v4, v5, 23, v4
	v_or3_b32 v2, v2, v4, v3
.LBB14_456:
	s_or_b64 exec, exec, s[2:3]
	s_mov_b64 s[0:1], 0
	s_branch .LBB14_462
.LBB14_457:
	s_mov_b64 s[2:3], -1
                                        ; implicit-def: $vgpr2
	s_branch .LBB14_468
.LBB14_458:
	s_or_saveexec_b64 s[2:3], s[2:3]
	v_mov_b32_e32 v2, 0x7f800001
	s_xor_b64 exec, exec, s[2:3]
	s_cbranch_execz .LBB14_441
.LBB14_459:
	v_cmp_ne_u16_e32 vcc, 0, v3
	s_andn2_b64 s[0:1], s[0:1], exec
	s_and_b64 s[4:5], vcc, exec
	v_mov_b32_e32 v2, 0
	s_or_b64 s[0:1], s[0:1], s[4:5]
	s_or_b64 exec, exec, s[2:3]
	s_and_saveexec_b64 s[2:3], s[0:1]
	s_cbranch_execnz .LBB14_442
	s_branch .LBB14_443
.LBB14_460:
	s_mov_b64 s[0:1], -1
                                        ; implicit-def: $vgpr2
	s_branch .LBB14_465
.LBB14_461:
	s_mov_b64 s[0:1], -1
                                        ; implicit-def: $vgpr2
.LBB14_462:
	s_and_b64 vcc, exec, s[0:1]
	s_cbranch_vccz .LBB14_464
; %bb.463:
	global_load_ubyte v2, v[0:1], off
	s_mov_b32 s0, 0x7f800000
	s_waitcnt vmcnt(0)
	v_lshlrev_b32_e32 v2, 24, v2
	v_and_b32_e32 v3, 0x7f000000, v2
	v_ffbh_u32_e32 v4, v3
	v_min_u32_e32 v4, 32, v4
	v_sub_u32_e64 v4, v4, 4 clamp
	v_lshlrev_b32_e32 v6, v4, v3
	v_lshlrev_b32_e32 v4, 23, v4
	v_lshrrev_b32_e32 v6, 4, v6
	v_add_u32_e32 v5, 0x1000000, v3
	v_sub_u32_e32 v4, v6, v4
	v_ashrrev_i32_e32 v5, 8, v5
	v_add_u32_e32 v4, 0x3c000000, v4
	v_and_or_b32 v4, v5, s0, v4
	v_cmp_ne_u32_e32 vcc, 0, v3
	v_cndmask_b32_e32 v3, 0, v4, vcc
	s_brev_b32 s0, 1
	v_and_or_b32 v2, v2, s0, v3
.LBB14_464:
	s_mov_b64 s[0:1], 0
.LBB14_465:
	s_andn2_b64 vcc, exec, s[0:1]
	s_cbranch_vccnz .LBB14_467
; %bb.466:
	global_load_ubyte v2, v[0:1], off
	s_movk_i32 s0, 0x7f00
	s_brev_b32 s1, 16
	s_waitcnt vmcnt(0)
	v_lshlrev_b16_e32 v3, 8, v2
	v_lshlrev_b32_e32 v2, 25, v2
	v_lshrrev_b32_e32 v4, 4, v2
	v_and_or_b32 v5, v3, s0, 0.5
	v_or_b32_e32 v4, 0x70000000, v4
	v_add_f32_e32 v5, -0.5, v5
	v_mul_f32_e32 v4, 0x7800000, v4
	v_cmp_gt_u32_e32 vcc, s1, v2
	v_bfe_i32 v3, v3, 0, 16
	v_cndmask_b32_e32 v2, v4, v5, vcc
	s_brev_b32 s0, 1
	v_and_or_b32 v2, v3, s0, v2
.LBB14_467:
	s_mov_b64 s[2:3], 0
	s_mov_b64 s[0:1], -1
.LBB14_468:
	s_andn2_b64 vcc, exec, s[2:3]
	s_cbranch_vccnz .LBB14_481
; %bb.469:
	s_cmp_gt_i32 s24, 14
	s_cbranch_scc0 .LBB14_472
; %bb.470:
	s_cmp_eq_u32 s24, 15
	s_cbranch_scc0 .LBB14_475
; %bb.471:
	global_load_ushort v2, v[0:1], off
	s_mov_b64 s[0:1], -1
	s_mov_b64 s[22:23], 0
	s_waitcnt vmcnt(0)
	v_lshlrev_b32_e32 v2, 16, v2
	s_branch .LBB14_476
.LBB14_472:
	s_mov_b64 s[2:3], -1
                                        ; implicit-def: $vgpr2
	s_branch .LBB14_477
.LBB14_473:
	s_or_saveexec_b64 s[2:3], s[2:3]
	v_mov_b32_e32 v2, 0x7f800001
	s_xor_b64 exec, exec, s[2:3]
	s_cbranch_execz .LBB14_454
.LBB14_474:
	v_cmp_ne_u16_e32 vcc, 0, v3
	s_andn2_b64 s[0:1], s[0:1], exec
	s_and_b64 s[4:5], vcc, exec
	v_mov_b32_e32 v2, 0
	s_or_b64 s[0:1], s[0:1], s[4:5]
	s_or_b64 exec, exec, s[2:3]
	s_and_saveexec_b64 s[2:3], s[0:1]
	s_cbranch_execnz .LBB14_455
	s_branch .LBB14_456
.LBB14_475:
	s_mov_b64 s[22:23], -1
                                        ; implicit-def: $vgpr2
.LBB14_476:
	s_mov_b64 s[2:3], 0
.LBB14_477:
	s_and_b64 vcc, exec, s[2:3]
	s_cbranch_vccz .LBB14_481
; %bb.478:
	s_cmp_eq_u32 s24, 11
	s_cbranch_scc0 .LBB14_480
; %bb.479:
	global_load_ubyte v2, v[0:1], off
	s_mov_b64 s[0:1], -1
	s_mov_b64 s[22:23], 0
	s_waitcnt vmcnt(0)
	v_cmp_ne_u16_e32 vcc, 0, v2
	v_cndmask_b32_e64 v2, 0, 1.0, vcc
	s_branch .LBB14_481
.LBB14_480:
	s_mov_b64 s[22:23], -1
                                        ; implicit-def: $vgpr2
.LBB14_481:
	s_branch .LBB14_274
.LBB14_482:
	s_cmp_lt_i32 s24, 5
	s_cbranch_scc1 .LBB14_487
; %bb.483:
	s_cmp_lt_i32 s24, 8
	s_cbranch_scc1 .LBB14_488
; %bb.484:
	;; [unrolled: 3-line block ×3, first 2 shown]
	s_cmp_gt_i32 s24, 9
	s_cbranch_scc0 .LBB14_490
; %bb.486:
	global_load_dwordx2 v[2:3], v[0:1], off
	s_mov_b64 s[0:1], 0
	s_waitcnt vmcnt(0)
	v_cvt_f32_f64_e32 v2, v[2:3]
	s_branch .LBB14_491
.LBB14_487:
	s_mov_b64 s[0:1], -1
                                        ; implicit-def: $vgpr2
	s_branch .LBB14_509
.LBB14_488:
	s_mov_b64 s[0:1], -1
                                        ; implicit-def: $vgpr2
	s_branch .LBB14_497
.LBB14_489:
	s_mov_b64 s[0:1], -1
                                        ; implicit-def: $vgpr2
	s_branch .LBB14_494
.LBB14_490:
	s_mov_b64 s[0:1], -1
                                        ; implicit-def: $vgpr2
.LBB14_491:
	s_andn2_b64 vcc, exec, s[0:1]
	s_cbranch_vccnz .LBB14_493
; %bb.492:
	global_load_dword v2, v[0:1], off
.LBB14_493:
	s_mov_b64 s[0:1], 0
.LBB14_494:
	s_andn2_b64 vcc, exec, s[0:1]
	s_cbranch_vccnz .LBB14_496
; %bb.495:
	global_load_dword v2, v[0:1], off
	s_waitcnt vmcnt(0)
	v_cvt_f32_f16_e32 v2, v2
.LBB14_496:
	s_mov_b64 s[0:1], 0
.LBB14_497:
	s_andn2_b64 vcc, exec, s[0:1]
	s_cbranch_vccnz .LBB14_508
; %bb.498:
	s_cmp_lt_i32 s24, 6
	s_cbranch_scc1 .LBB14_501
; %bb.499:
	s_cmp_gt_i32 s24, 6
	s_cbranch_scc0 .LBB14_502
; %bb.500:
	global_load_dwordx2 v[2:3], v[0:1], off
	s_mov_b64 s[0:1], 0
	s_waitcnt vmcnt(0)
	v_cvt_f32_f64_e32 v2, v[2:3]
	s_branch .LBB14_503
.LBB14_501:
	s_mov_b64 s[0:1], -1
                                        ; implicit-def: $vgpr2
	s_branch .LBB14_506
.LBB14_502:
	s_mov_b64 s[0:1], -1
                                        ; implicit-def: $vgpr2
.LBB14_503:
	s_andn2_b64 vcc, exec, s[0:1]
	s_cbranch_vccnz .LBB14_505
; %bb.504:
	global_load_dword v2, v[0:1], off
.LBB14_505:
	s_mov_b64 s[0:1], 0
.LBB14_506:
	s_andn2_b64 vcc, exec, s[0:1]
	s_cbranch_vccnz .LBB14_508
; %bb.507:
	global_load_ushort v2, v[0:1], off
	s_waitcnt vmcnt(0)
	v_cvt_f32_f16_e32 v2, v2
.LBB14_508:
	s_mov_b64 s[0:1], 0
.LBB14_509:
	s_andn2_b64 vcc, exec, s[0:1]
	s_cbranch_vccnz .LBB14_529
; %bb.510:
	s_cmp_lt_i32 s24, 2
	s_cbranch_scc1 .LBB14_514
; %bb.511:
	s_cmp_lt_i32 s24, 3
	s_cbranch_scc1 .LBB14_515
; %bb.512:
	s_cmp_gt_i32 s24, 3
	s_cbranch_scc0 .LBB14_516
; %bb.513:
	global_load_dwordx2 v[2:3], v[0:1], off
	s_mov_b64 s[0:1], 0
	s_waitcnt vmcnt(0)
	v_xor_b32_e32 v5, v2, v3
	v_ffbh_i32_e32 v4, v3
	v_ashrrev_i32_e32 v5, 31, v5
	v_add_u32_e32 v4, -1, v4
	v_add_u32_e32 v5, 32, v5
	v_min_u32_e32 v4, v4, v5
	v_lshlrev_b64 v[2:3], v4, v[2:3]
	v_min_u32_e32 v2, 1, v2
	v_or_b32_e32 v2, v3, v2
	v_cvt_f32_i32_e32 v2, v2
	v_sub_u32_e32 v3, 32, v4
	v_ldexp_f32 v2, v2, v3
	s_branch .LBB14_517
.LBB14_514:
	s_mov_b64 s[0:1], -1
                                        ; implicit-def: $vgpr2
	s_branch .LBB14_523
.LBB14_515:
	s_mov_b64 s[0:1], -1
                                        ; implicit-def: $vgpr2
	s_branch .LBB14_520
.LBB14_516:
	s_mov_b64 s[0:1], -1
                                        ; implicit-def: $vgpr2
.LBB14_517:
	s_andn2_b64 vcc, exec, s[0:1]
	s_cbranch_vccnz .LBB14_519
; %bb.518:
	global_load_dword v2, v[0:1], off
	s_waitcnt vmcnt(0)
	v_cvt_f32_i32_e32 v2, v2
.LBB14_519:
	s_mov_b64 s[0:1], 0
.LBB14_520:
	s_andn2_b64 vcc, exec, s[0:1]
	s_cbranch_vccnz .LBB14_522
; %bb.521:
	global_load_sshort v2, v[0:1], off
	s_waitcnt vmcnt(0)
	v_cvt_f32_i32_e32 v2, v2
.LBB14_522:
	s_mov_b64 s[0:1], 0
.LBB14_523:
	s_andn2_b64 vcc, exec, s[0:1]
	s_cbranch_vccnz .LBB14_529
; %bb.524:
	s_cmp_gt_i32 s24, 0
	s_cbranch_scc0 .LBB14_526
; %bb.525:
	global_load_sbyte v2, v[0:1], off
	s_mov_b64 s[0:1], 0
	s_waitcnt vmcnt(0)
	v_cvt_f32_i32_e32 v2, v2
	s_branch .LBB14_527
.LBB14_526:
	s_mov_b64 s[0:1], -1
                                        ; implicit-def: $vgpr2
.LBB14_527:
	s_andn2_b64 vcc, exec, s[0:1]
	s_cbranch_vccnz .LBB14_529
; %bb.528:
	global_load_ubyte v0, v[0:1], off
	s_waitcnt vmcnt(0)
	v_cvt_f32_ubyte0_e32 v2, v0
.LBB14_529:
	s_branch .LBB14_275
.LBB14_530:
	s_mov_b64 s[2:3], 0
                                        ; implicit-def: $vgpr7
	s_mov_b64 s[0:1], s[16:17]
.LBB14_531:
	s_andn2_b64 s[4:5], s[16:17], exec
	s_and_b64 s[0:1], s[0:1], exec
	s_or_b64 s[24:25], s[4:5], s[0:1]
	s_andn2_b64 s[0:1], s[18:19], exec
	s_and_b64 s[4:5], s[22:23], exec
	s_or_b64 s[22:23], s[0:1], s[4:5]
	s_orn2_b64 s[0:1], s[2:3], exec
.LBB14_532:
	s_or_b64 exec, exec, s[26:27]
	s_mov_b64 s[2:3], 0
	s_mov_b64 s[4:5], 0
	;; [unrolled: 1-line block ×3, first 2 shown]
                                        ; implicit-def: $vgpr0_vgpr1
                                        ; implicit-def: $vgpr4
	s_and_saveexec_b64 s[26:27], s[0:1]
	s_cbranch_execz .LBB14_887
; %bb.533:
	v_cmp_gt_i32_e32 vcc, s40, v7
	s_mov_b64 s[34:35], -1
	s_mov_b64 s[0:1], s[22:23]
	s_mov_b64 s[2:3], s[24:25]
	s_and_saveexec_b64 s[28:29], vcc
	s_cbranch_execz .LBB14_801
; %bb.534:
	v_mul_lo_u32 v0, v7, s13
	v_mov_b32_e32 v1, s11
	s_and_b32 s34, 0xffff, s42
	s_cmp_lt_i32 s34, 11
	s_waitcnt vmcnt(0)
	v_ashrrev_i32_e32 v2, 31, v0
	v_add_co_u32_e32 v0, vcc, s10, v0
	v_addc_co_u32_e32 v1, vcc, v1, v2, vcc
	s_cbranch_scc1 .LBB14_541
; %bb.535:
	s_cmp_gt_i32 s34, 25
	s_cbranch_scc0 .LBB14_542
; %bb.536:
	s_cmp_gt_i32 s34, 28
	s_cbranch_scc0 .LBB14_543
	;; [unrolled: 3-line block ×4, first 2 shown]
; %bb.539:
	s_cmp_eq_u32 s34, 46
	s_mov_b64 s[2:3], 0
	s_cbranch_scc0 .LBB14_550
; %bb.540:
	global_load_dword v2, v[0:1], off
	s_mov_b64 s[0:1], -1
	s_mov_b64 s[30:31], 0
	s_waitcnt vmcnt(0)
	v_lshlrev_b32_e32 v2, 16, v2
	s_branch .LBB14_551
.LBB14_541:
	s_mov_b64 s[2:3], -1
	s_mov_b64 s[0:1], 0
                                        ; implicit-def: $vgpr2
	s_mov_b64 s[30:31], s[22:23]
	s_branch .LBB14_616
.LBB14_542:
	s_mov_b64 s[2:3], -1
	s_mov_b64 s[0:1], 0
	s_mov_b64 s[30:31], s[22:23]
                                        ; implicit-def: $vgpr2
	s_branch .LBB14_580
.LBB14_543:
	s_mov_b64 s[2:3], -1
	s_mov_b64 s[0:1], 0
	s_mov_b64 s[30:31], s[22:23]
                                        ; implicit-def: $vgpr2
	s_branch .LBB14_561
.LBB14_544:
	s_mov_b64 s[2:3], -1
	s_mov_b64 s[0:1], 0
	s_mov_b64 s[30:31], s[22:23]
                                        ; implicit-def: $vgpr2
	s_branch .LBB14_556
.LBB14_545:
	s_andn2_saveexec_b64 s[24:25], s[24:25]
	s_cbranch_execz .LBB14_330
.LBB14_546:
	s_mov_b32 s30, 0x46000000
	v_add_f32_e64 v1, |v0|, s30
	v_and_b32_e32 v1, 0xff, v1
	v_cmp_ne_u32_e32 vcc, 0, v1
	s_andn2_b64 s[4:5], s[4:5], exec
	s_and_b64 s[30:31], vcc, exec
	s_or_b64 s[4:5], s[4:5], s[30:31]
	s_or_b64 exec, exec, s[24:25]
	v_mov_b32_e32 v4, 0
	s_and_saveexec_b64 s[24:25], s[4:5]
	s_cbranch_execnz .LBB14_331
	s_branch .LBB14_332
.LBB14_547:
	s_mov_b64 s[2:3], -1
	s_mov_b64 s[0:1], 0
	s_mov_b64 s[30:31], s[22:23]
                                        ; implicit-def: $vgpr2
	s_branch .LBB14_551
.LBB14_548:
	s_andn2_saveexec_b64 s[24:25], s[24:25]
	s_cbranch_execz .LBB14_343
.LBB14_549:
	s_mov_b32 s30, 0x42800000
	v_add_f32_e64 v1, |v0|, s30
	v_and_b32_e32 v1, 0xff, v1
	v_cmp_ne_u32_e32 vcc, 0, v1
	s_andn2_b64 s[4:5], s[4:5], exec
	s_and_b64 s[30:31], vcc, exec
	s_or_b64 s[4:5], s[4:5], s[30:31]
	s_or_b64 exec, exec, s[24:25]
	v_mov_b32_e32 v4, 0
	s_and_saveexec_b64 s[24:25], s[4:5]
	s_cbranch_execnz .LBB14_344
	s_branch .LBB14_345
.LBB14_550:
	s_mov_b64 s[30:31], -1
                                        ; implicit-def: $vgpr2
	s_mov_b64 s[0:1], 0
.LBB14_551:
	s_and_b64 vcc, exec, s[2:3]
	s_cbranch_vccz .LBB14_555
; %bb.552:
	s_cmp_eq_u32 s34, 44
	s_cbranch_scc0 .LBB14_554
; %bb.553:
	global_load_ubyte v2, v[0:1], off
	s_movk_i32 s2, 0xff
	v_mov_b32_e32 v3, 0x7f800001
	v_mov_b32_e32 v4, 0x400000
	s_mov_b64 s[0:1], -1
	s_mov_b64 s[30:31], 0
	s_waitcnt vmcnt(0)
	v_lshlrev_b32_e32 v5, 23, v2
	v_cmp_ne_u32_e32 vcc, s2, v2
	v_cndmask_b32_e32 v3, v3, v5, vcc
	v_cmp_ne_u32_e32 vcc, 0, v2
	v_cndmask_b32_e32 v2, v4, v3, vcc
	s_branch .LBB14_555
.LBB14_554:
	s_mov_b64 s[30:31], -1
                                        ; implicit-def: $vgpr2
.LBB14_555:
	s_mov_b64 s[2:3], 0
.LBB14_556:
	s_and_b64 vcc, exec, s[2:3]
	s_cbranch_vccz .LBB14_560
; %bb.557:
	s_cmp_eq_u32 s34, 29
	s_cbranch_scc0 .LBB14_559
; %bb.558:
	global_load_dwordx2 v[2:3], v[0:1], off
	s_mov_b64 s[0:1], -1
	s_mov_b64 s[30:31], 0
	s_mov_b64 s[2:3], 0
	s_waitcnt vmcnt(0)
	v_ffbh_u32_e32 v4, v3
	v_min_u32_e32 v4, 32, v4
	v_lshlrev_b64 v[2:3], v4, v[2:3]
	v_min_u32_e32 v2, 1, v2
	v_or_b32_e32 v2, v3, v2
	v_cvt_f32_u32_e32 v2, v2
	v_sub_u32_e32 v3, 32, v4
	v_ldexp_f32 v2, v2, v3
	s_branch .LBB14_561
.LBB14_559:
	s_mov_b64 s[30:31], -1
                                        ; implicit-def: $vgpr2
.LBB14_560:
	s_mov_b64 s[2:3], 0
.LBB14_561:
	s_and_b64 vcc, exec, s[2:3]
	s_cbranch_vccz .LBB14_579
; %bb.562:
	s_cmp_lt_i32 s34, 27
	s_cbranch_scc1 .LBB14_565
; %bb.563:
	s_cmp_gt_i32 s34, 27
	s_cbranch_scc0 .LBB14_566
; %bb.564:
	global_load_dword v2, v[0:1], off
	s_mov_b64 s[0:1], 0
	s_waitcnt vmcnt(0)
	v_cvt_f32_u32_e32 v2, v2
	s_branch .LBB14_567
.LBB14_565:
	s_mov_b64 s[0:1], -1
                                        ; implicit-def: $vgpr2
	s_branch .LBB14_570
.LBB14_566:
	s_mov_b64 s[0:1], -1
                                        ; implicit-def: $vgpr2
.LBB14_567:
	s_andn2_b64 vcc, exec, s[0:1]
	s_cbranch_vccnz .LBB14_569
; %bb.568:
	global_load_ushort v2, v[0:1], off
	s_waitcnt vmcnt(0)
	v_cvt_f32_u32_e32 v2, v2
.LBB14_569:
	s_mov_b64 s[0:1], 0
.LBB14_570:
	s_andn2_b64 vcc, exec, s[0:1]
	s_cbranch_vccnz .LBB14_578
; %bb.571:
	global_load_ubyte v3, v[0:1], off
	s_movk_i32 s0, 0x7f
	s_waitcnt vmcnt(0)
	v_cmp_lt_i16_e32 vcc, s0, v3
	s_mov_b64 s[0:1], 0
	s_and_saveexec_b64 s[2:3], vcc
	s_xor_b64 s[2:3], exec, s[2:3]
	s_cbranch_execz .LBB14_592
; %bb.572:
	s_movk_i32 s0, 0x80
	v_cmp_eq_u16_e32 vcc, s0, v3
	s_mov_b64 s[0:1], -1
	s_and_saveexec_b64 s[4:5], vcc
; %bb.573:
	s_xor_b64 s[0:1], exec, -1
; %bb.574:
	s_or_b64 exec, exec, s[4:5]
	s_and_b64 s[0:1], s[0:1], exec
	s_or_saveexec_b64 s[2:3], s[2:3]
	v_mov_b32_e32 v2, 0x7f800001
	s_xor_b64 exec, exec, s[2:3]
	s_cbranch_execnz .LBB14_593
.LBB14_575:
	s_or_b64 exec, exec, s[2:3]
	s_and_saveexec_b64 s[2:3], s[0:1]
	s_cbranch_execz .LBB14_577
.LBB14_576:
	v_lshlrev_b32_e32 v2, 24, v3
	v_and_b32_e32 v3, 0xffff, v3
	v_and_b32_e32 v4, 7, v3
	v_ffbh_u32_e32 v6, v4
	v_min_u32_e32 v6, 32, v6
	v_subrev_u32_e32 v8, 28, v6
	v_bfe_u32 v5, v3, 3, 4
	v_lshlrev_b32_e32 v3, v8, v3
	v_sub_u32_e32 v6, 29, v6
	v_and_b32_e32 v3, 7, v3
	v_cmp_eq_u32_e32 vcc, 0, v5
	v_cndmask_b32_e32 v5, v5, v6, vcc
	v_cndmask_b32_e32 v3, v4, v3, vcc
	v_mov_b32_e32 v4, 0x3b800000
	v_lshlrev_b32_e32 v3, 20, v3
	v_and_b32_e32 v2, 0x80000000, v2
	v_lshl_add_u32 v4, v5, 23, v4
	v_or3_b32 v2, v2, v4, v3
.LBB14_577:
	s_or_b64 exec, exec, s[2:3]
.LBB14_578:
	s_mov_b64 s[0:1], -1
.LBB14_579:
	s_mov_b64 s[2:3], 0
.LBB14_580:
	s_and_b64 vcc, exec, s[2:3]
	s_cbranch_vccz .LBB14_615
; %bb.581:
	s_cmp_gt_i32 s34, 22
	s_cbranch_scc0 .LBB14_591
; %bb.582:
	s_cmp_lt_i32 s34, 24
	s_cbranch_scc1 .LBB14_594
; %bb.583:
	s_cmp_gt_i32 s34, 24
	s_cbranch_scc0 .LBB14_595
; %bb.584:
	global_load_ubyte v3, v[0:1], off
	s_movk_i32 s0, 0x7f
	s_waitcnt vmcnt(0)
	v_cmp_lt_i16_e32 vcc, s0, v3
	s_mov_b64 s[0:1], 0
	s_and_saveexec_b64 s[2:3], vcc
	s_xor_b64 s[2:3], exec, s[2:3]
	s_cbranch_execz .LBB14_607
; %bb.585:
	s_movk_i32 s0, 0x80
	v_cmp_eq_u16_e32 vcc, s0, v3
	s_mov_b64 s[0:1], -1
	s_and_saveexec_b64 s[4:5], vcc
; %bb.586:
	s_xor_b64 s[0:1], exec, -1
; %bb.587:
	s_or_b64 exec, exec, s[4:5]
	s_and_b64 s[0:1], s[0:1], exec
	s_or_saveexec_b64 s[2:3], s[2:3]
	v_mov_b32_e32 v2, 0x7f800001
	s_xor_b64 exec, exec, s[2:3]
	s_cbranch_execnz .LBB14_608
.LBB14_588:
	s_or_b64 exec, exec, s[2:3]
	s_and_saveexec_b64 s[2:3], s[0:1]
	s_cbranch_execz .LBB14_590
.LBB14_589:
	v_lshlrev_b32_e32 v2, 24, v3
	v_and_b32_e32 v3, 0xffff, v3
	v_and_b32_e32 v4, 3, v3
	v_ffbh_u32_e32 v6, v4
	v_min_u32_e32 v6, 32, v6
	v_subrev_u32_e32 v8, 29, v6
	v_bfe_u32 v5, v3, 2, 5
	v_lshlrev_b32_e32 v3, v8, v3
	v_sub_u32_e32 v6, 30, v6
	v_and_b32_e32 v3, 3, v3
	v_cmp_eq_u32_e32 vcc, 0, v5
	v_cndmask_b32_e32 v5, v5, v6, vcc
	v_cndmask_b32_e32 v3, v4, v3, vcc
	v_mov_b32_e32 v4, 0x37800000
	v_lshlrev_b32_e32 v3, 21, v3
	v_and_b32_e32 v2, 0x80000000, v2
	v_lshl_add_u32 v4, v5, 23, v4
	v_or3_b32 v2, v2, v4, v3
.LBB14_590:
	s_or_b64 exec, exec, s[2:3]
	s_mov_b64 s[0:1], 0
	s_branch .LBB14_596
.LBB14_591:
	s_mov_b64 s[2:3], -1
                                        ; implicit-def: $vgpr2
	s_branch .LBB14_602
.LBB14_592:
	s_or_saveexec_b64 s[2:3], s[2:3]
	v_mov_b32_e32 v2, 0x7f800001
	s_xor_b64 exec, exec, s[2:3]
	s_cbranch_execz .LBB14_575
.LBB14_593:
	v_cmp_ne_u16_e32 vcc, 0, v3
	s_andn2_b64 s[0:1], s[0:1], exec
	s_and_b64 s[4:5], vcc, exec
	v_mov_b32_e32 v2, 0
	s_or_b64 s[0:1], s[0:1], s[4:5]
	s_or_b64 exec, exec, s[2:3]
	s_and_saveexec_b64 s[2:3], s[0:1]
	s_cbranch_execnz .LBB14_576
	s_branch .LBB14_577
.LBB14_594:
	s_mov_b64 s[0:1], -1
                                        ; implicit-def: $vgpr2
	s_branch .LBB14_599
.LBB14_595:
	s_mov_b64 s[0:1], -1
                                        ; implicit-def: $vgpr2
.LBB14_596:
	s_and_b64 vcc, exec, s[0:1]
	s_cbranch_vccz .LBB14_598
; %bb.597:
	global_load_ubyte v2, v[0:1], off
	s_mov_b32 s0, 0x7f800000
	s_waitcnt vmcnt(0)
	v_lshlrev_b32_e32 v2, 24, v2
	v_and_b32_e32 v3, 0x7f000000, v2
	v_ffbh_u32_e32 v4, v3
	v_min_u32_e32 v4, 32, v4
	v_sub_u32_e64 v4, v4, 4 clamp
	v_lshlrev_b32_e32 v6, v4, v3
	v_lshlrev_b32_e32 v4, 23, v4
	v_lshrrev_b32_e32 v6, 4, v6
	v_add_u32_e32 v5, 0x1000000, v3
	v_sub_u32_e32 v4, v6, v4
	v_ashrrev_i32_e32 v5, 8, v5
	v_add_u32_e32 v4, 0x3c000000, v4
	v_and_or_b32 v4, v5, s0, v4
	v_cmp_ne_u32_e32 vcc, 0, v3
	v_cndmask_b32_e32 v3, 0, v4, vcc
	s_brev_b32 s0, 1
	v_and_or_b32 v2, v2, s0, v3
.LBB14_598:
	s_mov_b64 s[0:1], 0
.LBB14_599:
	s_andn2_b64 vcc, exec, s[0:1]
	s_cbranch_vccnz .LBB14_601
; %bb.600:
	global_load_ubyte v2, v[0:1], off
	s_movk_i32 s0, 0x7f00
	s_brev_b32 s1, 16
	s_waitcnt vmcnt(0)
	v_lshlrev_b16_e32 v3, 8, v2
	v_lshlrev_b32_e32 v2, 25, v2
	v_lshrrev_b32_e32 v4, 4, v2
	v_and_or_b32 v5, v3, s0, 0.5
	v_or_b32_e32 v4, 0x70000000, v4
	v_add_f32_e32 v5, -0.5, v5
	v_mul_f32_e32 v4, 0x7800000, v4
	v_cmp_gt_u32_e32 vcc, s1, v2
	v_bfe_i32 v3, v3, 0, 16
	v_cndmask_b32_e32 v2, v4, v5, vcc
	s_brev_b32 s0, 1
	v_and_or_b32 v2, v3, s0, v2
.LBB14_601:
	s_mov_b64 s[2:3], 0
	s_mov_b64 s[0:1], -1
.LBB14_602:
	s_andn2_b64 vcc, exec, s[2:3]
	s_cbranch_vccnz .LBB14_615
; %bb.603:
	s_cmp_gt_i32 s34, 14
	s_cbranch_scc0 .LBB14_606
; %bb.604:
	s_cmp_eq_u32 s34, 15
	s_cbranch_scc0 .LBB14_609
; %bb.605:
	global_load_ushort v2, v[0:1], off
	s_mov_b64 s[0:1], -1
	s_mov_b64 s[30:31], 0
	s_waitcnt vmcnt(0)
	v_lshlrev_b32_e32 v2, 16, v2
	s_branch .LBB14_610
.LBB14_606:
	s_mov_b64 s[2:3], -1
                                        ; implicit-def: $vgpr2
	s_branch .LBB14_611
.LBB14_607:
	s_or_saveexec_b64 s[2:3], s[2:3]
	v_mov_b32_e32 v2, 0x7f800001
	s_xor_b64 exec, exec, s[2:3]
	s_cbranch_execz .LBB14_588
.LBB14_608:
	v_cmp_ne_u16_e32 vcc, 0, v3
	s_andn2_b64 s[0:1], s[0:1], exec
	s_and_b64 s[4:5], vcc, exec
	v_mov_b32_e32 v2, 0
	s_or_b64 s[0:1], s[0:1], s[4:5]
	s_or_b64 exec, exec, s[2:3]
	s_and_saveexec_b64 s[2:3], s[0:1]
	s_cbranch_execnz .LBB14_589
	s_branch .LBB14_590
.LBB14_609:
	s_mov_b64 s[30:31], -1
                                        ; implicit-def: $vgpr2
.LBB14_610:
	s_mov_b64 s[2:3], 0
.LBB14_611:
	s_and_b64 vcc, exec, s[2:3]
	s_cbranch_vccz .LBB14_615
; %bb.612:
	s_cmp_eq_u32 s34, 11
	s_cbranch_scc0 .LBB14_614
; %bb.613:
	global_load_ubyte v2, v[0:1], off
	s_mov_b64 s[0:1], -1
	s_mov_b64 s[30:31], 0
	s_waitcnt vmcnt(0)
	v_cmp_ne_u16_e32 vcc, 0, v2
	v_cndmask_b32_e64 v2, 0, 1.0, vcc
	s_branch .LBB14_615
.LBB14_614:
	s_mov_b64 s[30:31], -1
                                        ; implicit-def: $vgpr2
.LBB14_615:
	s_mov_b64 s[2:3], 0
.LBB14_616:
	s_and_b64 vcc, exec, s[2:3]
	s_cbranch_vccz .LBB14_665
; %bb.617:
	s_cmp_lt_i32 s34, 5
	s_cbranch_scc1 .LBB14_622
; %bb.618:
	s_cmp_lt_i32 s34, 8
	s_cbranch_scc1 .LBB14_623
	;; [unrolled: 3-line block ×3, first 2 shown]
; %bb.620:
	s_cmp_gt_i32 s34, 9
	s_cbranch_scc0 .LBB14_625
; %bb.621:
	global_load_dwordx2 v[2:3], v[0:1], off
	s_mov_b64 s[0:1], 0
	s_waitcnt vmcnt(0)
	v_cvt_f32_f64_e32 v2, v[2:3]
	s_branch .LBB14_626
.LBB14_622:
	s_mov_b64 s[0:1], -1
                                        ; implicit-def: $vgpr2
	s_branch .LBB14_644
.LBB14_623:
	s_mov_b64 s[0:1], -1
                                        ; implicit-def: $vgpr2
	s_branch .LBB14_632
.LBB14_624:
	s_mov_b64 s[0:1], -1
                                        ; implicit-def: $vgpr2
	s_branch .LBB14_629
.LBB14_625:
	s_mov_b64 s[0:1], -1
                                        ; implicit-def: $vgpr2
.LBB14_626:
	s_andn2_b64 vcc, exec, s[0:1]
	s_cbranch_vccnz .LBB14_628
; %bb.627:
	global_load_dword v2, v[0:1], off
.LBB14_628:
	s_mov_b64 s[0:1], 0
.LBB14_629:
	s_andn2_b64 vcc, exec, s[0:1]
	s_cbranch_vccnz .LBB14_631
; %bb.630:
	global_load_dword v2, v[0:1], off
	s_waitcnt vmcnt(0)
	v_cvt_f32_f16_e32 v2, v2
.LBB14_631:
	s_mov_b64 s[0:1], 0
.LBB14_632:
	s_andn2_b64 vcc, exec, s[0:1]
	s_cbranch_vccnz .LBB14_643
; %bb.633:
	s_cmp_lt_i32 s34, 6
	s_cbranch_scc1 .LBB14_636
; %bb.634:
	s_cmp_gt_i32 s34, 6
	s_cbranch_scc0 .LBB14_637
; %bb.635:
	global_load_dwordx2 v[2:3], v[0:1], off
	s_mov_b64 s[0:1], 0
	s_waitcnt vmcnt(0)
	v_cvt_f32_f64_e32 v2, v[2:3]
	s_branch .LBB14_638
.LBB14_636:
	s_mov_b64 s[0:1], -1
                                        ; implicit-def: $vgpr2
	s_branch .LBB14_641
.LBB14_637:
	s_mov_b64 s[0:1], -1
                                        ; implicit-def: $vgpr2
.LBB14_638:
	s_andn2_b64 vcc, exec, s[0:1]
	s_cbranch_vccnz .LBB14_640
; %bb.639:
	global_load_dword v2, v[0:1], off
.LBB14_640:
	s_mov_b64 s[0:1], 0
.LBB14_641:
	s_andn2_b64 vcc, exec, s[0:1]
	s_cbranch_vccnz .LBB14_643
; %bb.642:
	global_load_ushort v2, v[0:1], off
	s_waitcnt vmcnt(0)
	v_cvt_f32_f16_e32 v2, v2
.LBB14_643:
	s_mov_b64 s[0:1], 0
.LBB14_644:
	s_andn2_b64 vcc, exec, s[0:1]
	s_cbranch_vccnz .LBB14_664
; %bb.645:
	s_cmp_lt_i32 s34, 2
	s_cbranch_scc1 .LBB14_649
; %bb.646:
	s_cmp_lt_i32 s34, 3
	s_cbranch_scc1 .LBB14_650
; %bb.647:
	s_cmp_gt_i32 s34, 3
	s_cbranch_scc0 .LBB14_651
; %bb.648:
	global_load_dwordx2 v[2:3], v[0:1], off
	s_mov_b64 s[0:1], 0
	s_waitcnt vmcnt(0)
	v_xor_b32_e32 v5, v2, v3
	v_ffbh_i32_e32 v4, v3
	v_ashrrev_i32_e32 v5, 31, v5
	v_add_u32_e32 v4, -1, v4
	v_add_u32_e32 v5, 32, v5
	v_min_u32_e32 v4, v4, v5
	v_lshlrev_b64 v[2:3], v4, v[2:3]
	v_min_u32_e32 v2, 1, v2
	v_or_b32_e32 v2, v3, v2
	v_cvt_f32_i32_e32 v2, v2
	v_sub_u32_e32 v3, 32, v4
	v_ldexp_f32 v2, v2, v3
	s_branch .LBB14_652
.LBB14_649:
	s_mov_b64 s[0:1], -1
                                        ; implicit-def: $vgpr2
	s_branch .LBB14_658
.LBB14_650:
	s_mov_b64 s[0:1], -1
                                        ; implicit-def: $vgpr2
	s_branch .LBB14_655
.LBB14_651:
	s_mov_b64 s[0:1], -1
                                        ; implicit-def: $vgpr2
.LBB14_652:
	s_andn2_b64 vcc, exec, s[0:1]
	s_cbranch_vccnz .LBB14_654
; %bb.653:
	global_load_dword v2, v[0:1], off
	s_waitcnt vmcnt(0)
	v_cvt_f32_i32_e32 v2, v2
.LBB14_654:
	s_mov_b64 s[0:1], 0
.LBB14_655:
	s_andn2_b64 vcc, exec, s[0:1]
	s_cbranch_vccnz .LBB14_657
; %bb.656:
	global_load_sshort v2, v[0:1], off
	s_waitcnt vmcnt(0)
	v_cvt_f32_i32_e32 v2, v2
.LBB14_657:
	s_mov_b64 s[0:1], 0
.LBB14_658:
	s_andn2_b64 vcc, exec, s[0:1]
	s_cbranch_vccnz .LBB14_664
; %bb.659:
	s_cmp_gt_i32 s34, 0
	s_cbranch_scc0 .LBB14_661
; %bb.660:
	global_load_sbyte v2, v[0:1], off
	s_mov_b64 s[0:1], 0
	s_waitcnt vmcnt(0)
	v_cvt_f32_i32_e32 v2, v2
	s_branch .LBB14_662
.LBB14_661:
	s_mov_b64 s[0:1], -1
                                        ; implicit-def: $vgpr2
.LBB14_662:
	s_andn2_b64 vcc, exec, s[0:1]
	s_cbranch_vccnz .LBB14_664
; %bb.663:
	global_load_ubyte v0, v[0:1], off
	s_waitcnt vmcnt(0)
	v_cvt_f32_ubyte0_e32 v2, v0
.LBB14_664:
	s_mov_b64 s[0:1], -1
.LBB14_665:
	s_andn2_b64 vcc, exec, s[0:1]
	s_cbranch_vccnz .LBB14_683
; %bb.666:
	s_mov_b32 s0, 0x7f800000
	s_waitcnt vmcnt(0)
	v_cmp_neq_f32_e64 s[0:1], |v2|, s0
	v_mov_b32_e32 v0, 0
	s_and_saveexec_b64 s[34:35], s[0:1]
	s_cbranch_execz .LBB14_676
; %bb.667:
	v_cmp_nlt_f32_e64 s[0:1], |v2|, 0.5
                                        ; implicit-def: $vgpr0
	s_and_saveexec_b64 s[2:3], s[0:1]
	s_xor_b64 s[36:37], exec, s[2:3]
	s_cbranch_execz .LBB14_673
; %bb.668:
	s_brev_b32 s0, 18
	v_and_b32_e32 v0, 0x7fffffff, v2
	v_cmp_nlt_f32_e64 s[0:1], |v2|, s0
                                        ; implicit-def: $vgpr1
                                        ; implicit-def: $vgpr3
	s_and_saveexec_b64 s[2:3], s[0:1]
	s_xor_b64 s[38:39], exec, s[2:3]
	s_cbranch_execz .LBB14_670
; %bb.669:
	v_and_b32_e32 v1, 0x7fffff, v0
	v_or_b32_e32 v1, 0x800000, v1
	s_mov_b32 s0, 0xfe5163ab
	v_mad_u64_u32 v[3:4], s[0:1], v1, s0, 0
	v_mov_b32_e32 v5, 0
	s_mov_b32 s0, 0x3c439041
	v_mad_u64_u32 v[8:9], s[0:1], v1, s0, v[4:5]
	s_mov_b32 s0, 0xdb629599
	v_not_b32_e32 v6, 63
	v_mov_b32_e32 v4, v9
	v_mad_u64_u32 v[9:10], s[0:1], v1, s0, v[4:5]
	s_mov_b32 s0, 0xf534ddc0
	v_not_b32_e32 v14, 31
	v_mov_b32_e32 v4, v10
	v_mad_u64_u32 v[10:11], s[0:1], v1, s0, v[4:5]
	v_lshrrev_b32_e32 v4, 23, v0
	v_add_u32_e32 v13, 0xffffff88, v4
	v_mov_b32_e32 v4, v11
	s_mov_b32 s0, 0xfc2757d1
	v_mad_u64_u32 v[11:12], s[0:1], v1, s0, v[4:5]
	v_cmp_lt_u32_e32 vcc, 63, v13
	v_cndmask_b32_e32 v4, 0, v6, vcc
	v_add_u32_e32 v6, v4, v13
	v_mov_b32_e32 v4, v12
	s_mov_b32 s0, 0x4e441529
	v_mad_u64_u32 v[12:13], s[0:1], v1, s0, v[4:5]
	v_cmp_lt_u32_e64 s[0:1], 31, v6
	v_cndmask_b32_e64 v4, 0, v14, s[0:1]
	v_add_u32_e32 v6, v4, v6
	v_mov_b32_e32 v4, v13
	s_mov_b32 s2, 0xa2f9836e
	v_mad_u64_u32 v[4:5], s[2:3], v1, s2, v[4:5]
	v_cmp_lt_u32_e64 s[2:3], 31, v6
	v_cndmask_b32_e64 v1, 0, v14, s[2:3]
	v_add_u32_e32 v1, v1, v6
	v_cndmask_b32_e32 v6, v12, v10, vcc
	v_cndmask_b32_e32 v4, v4, v11, vcc
	;; [unrolled: 1-line block ×3, first 2 shown]
	v_cndmask_b32_e64 v13, v4, v6, s[0:1]
	v_cndmask_b32_e64 v4, v5, v4, s[0:1]
	v_cndmask_b32_e32 v5, v11, v9, vcc
	v_cndmask_b32_e64 v6, v6, v5, s[0:1]
	v_cndmask_b32_e64 v4, v4, v13, s[2:3]
	;; [unrolled: 1-line block ×3, first 2 shown]
	v_sub_u32_e32 v12, 32, v1
	v_alignbit_b32 v13, v4, v11, v12
	v_cmp_eq_u32_e64 s[4:5], 0, v1
	v_cndmask_b32_e64 v1, v13, v4, s[4:5]
	v_cndmask_b32_e32 v4, v10, v8, vcc
	v_cndmask_b32_e64 v5, v5, v4, s[0:1]
	v_cndmask_b32_e64 v6, v6, v5, s[2:3]
	v_alignbit_b32 v8, v11, v6, v12
	v_cndmask_b32_e32 v3, v9, v3, vcc
	v_cndmask_b32_e64 v8, v8, v11, s[4:5]
	v_bfe_u32 v13, v1, 29, 1
	v_cndmask_b32_e64 v3, v4, v3, s[0:1]
	v_alignbit_b32 v10, v1, v8, 30
	v_sub_u32_e32 v14, 0, v13
	v_cndmask_b32_e64 v3, v5, v3, s[2:3]
	v_xor_b32_e32 v10, v10, v14
	v_alignbit_b32 v4, v6, v3, v12
	v_cndmask_b32_e64 v4, v4, v6, s[4:5]
	v_ffbh_u32_e32 v6, v10
	v_alignbit_b32 v5, v8, v4, 30
	v_min_u32_e32 v6, 32, v6
	v_alignbit_b32 v3, v4, v3, 30
	v_xor_b32_e32 v5, v5, v14
	v_sub_u32_e32 v8, 31, v6
	v_xor_b32_e32 v3, v3, v14
	v_alignbit_b32 v9, v10, v5, v8
	v_alignbit_b32 v3, v5, v3, v8
	;; [unrolled: 1-line block ×3, first 2 shown]
	v_ffbh_u32_e32 v5, v4
	v_min_u32_e32 v5, 32, v5
	v_lshrrev_b32_e32 v11, 29, v1
	v_not_b32_e32 v8, v5
	v_alignbit_b32 v3, v4, v3, v8
	v_lshlrev_b32_e32 v4, 31, v11
	v_or_b32_e32 v8, 0x33000000, v4
	v_add_lshl_u32 v5, v5, v6, 23
	v_lshrrev_b32_e32 v3, 9, v3
	v_sub_u32_e32 v5, v8, v5
	v_or_b32_e32 v4, 0.5, v4
	v_lshlrev_b32_e32 v6, 23, v6
	v_or_b32_e32 v3, v5, v3
	v_lshrrev_b32_e32 v5, 9, v9
	v_sub_u32_e32 v4, v4, v6
	v_or_b32_e32 v4, v5, v4
	s_mov_b32 s0, 0x3fc90fda
	v_mul_f32_e32 v5, 0x3fc90fda, v4
	v_fma_f32 v6, v4, s0, -v5
	v_fmac_f32_e32 v6, 0x33a22168, v4
	v_fmac_f32_e32 v6, 0x3fc90fda, v3
	v_lshrrev_b32_e32 v1, 30, v1
	v_add_f32_e32 v3, v5, v6
	v_add_u32_e32 v1, v13, v1
.LBB14_670:
	s_andn2_saveexec_b64 s[0:1], s[38:39]
	s_cbranch_execz .LBB14_672
; %bb.671:
	s_mov_b32 s2, 0x3f22f983
	v_mul_f32_e64 v1, |v2|, s2
	v_rndne_f32_e32 v4, v1
	s_mov_b32 s2, 0xbfc90fda
	v_cvt_i32_f32_e32 v1, v4
	v_fma_f32 v3, v4, s2, |v2|
	v_fmac_f32_e32 v3, 0xb3a22168, v4
	v_fmac_f32_e32 v3, 0xa7c234c4, v4
.LBB14_672:
	s_or_b64 exec, exec, s[0:1]
	v_mul_f32_e32 v4, v3, v3
	v_mov_b32_e32 v5, 0x3c0881c4
	v_fmac_f32_e32 v5, 0xb94c1982, v4
	v_mov_b32_e32 v6, 0xbe2aaa9d
	v_fmac_f32_e32 v6, v4, v5
	v_mul_f32_e32 v5, v4, v6
	v_fmac_f32_e32 v3, v3, v5
	v_mov_b32_e32 v5, 0xbab64f3b
	v_fmac_f32_e32 v5, 0x37d75334, v4
	v_mov_b32_e32 v6, 0x3d2aabf7
	;; [unrolled: 2-line block ×3, first 2 shown]
	v_fmac_f32_e32 v5, v4, v6
	v_fma_f32 v4, v4, v5, 1.0
	v_and_b32_e32 v5, 1, v1
	v_lshlrev_b32_e32 v1, 30, v1
	v_cmp_eq_u32_e32 vcc, 0, v5
	v_and_b32_e32 v1, 0x80000000, v1
	v_xor_b32_e32 v0, v0, v2
	v_cndmask_b32_e32 v3, v4, v3, vcc
	v_xor_b32_e32 v0, v0, v1
	s_movk_i32 s0, 0x1f8
	v_xor_b32_e32 v0, v0, v3
	v_mov_b32_e32 v1, 0x7fc00000
	v_cmp_class_f32_e64 vcc, v2, s0
	v_cndmask_b32_e32 v0, v1, v0, vcc
	v_div_scale_f32 v1, s[0:1], v2, v2, v0
	v_div_scale_f32 v3, vcc, v0, v2, v0
	v_rcp_f32_e32 v4, v1
	v_fma_f32 v5, -v1, v4, 1.0
	v_fmac_f32_e32 v4, v5, v4
	v_mul_f32_e32 v5, v3, v4
	v_fma_f32 v6, -v1, v5, v3
	v_fmac_f32_e32 v5, v6, v4
	v_fma_f32 v1, -v1, v5, v3
	v_div_fmas_f32 v1, v1, v4, v5
	v_div_fixup_f32 v0, v1, v2, v0
                                        ; implicit-def: $vgpr2
.LBB14_673:
	s_andn2_saveexec_b64 s[0:1], s[36:37]
	s_cbranch_execz .LBB14_675
; %bb.674:
	v_mul_f32_e32 v0, v2, v2
	v_mov_b32_e32 v1, 0xb2d7322b
	v_fmac_f32_e32 v1, 0x2f309231, v0
	v_mov_b32_e32 v2, 0x3638ef1d
	v_fmac_f32_e32 v2, v0, v1
	;; [unrolled: 2-line block ×5, first 2 shown]
	v_fma_f32 v0, v0, v1, 1.0
.LBB14_675:
	s_or_b64 exec, exec, s[0:1]
.LBB14_676:
	s_or_b64 exec, exec, s[34:35]
	v_mul_lo_u32 v1, v7, s12
	v_mov_b32_e32 v3, s9
	s_and_b32 s36, s33, 0xff
	s_cmp_lt_i32 s36, 11
	v_ashrrev_i32_e32 v4, 31, v1
	v_add_co_u32_e32 v2, vcc, s8, v1
	v_addc_co_u32_e32 v3, vcc, v3, v4, vcc
	s_cbranch_scc1 .LBB14_684
; %bb.677:
	s_and_b32 s37, 0xffff, s36
	s_cmp_gt_i32 s37, 25
	s_cbranch_scc0 .LBB14_685
; %bb.678:
	s_cmp_gt_i32 s37, 28
	s_cbranch_scc0 .LBB14_686
; %bb.679:
	;; [unrolled: 3-line block ×4, first 2 shown]
	s_mov_b64 s[4:5], 0
	s_mov_b64 s[0:1], -1
	s_cmp_eq_u32 s37, 46
	s_mov_b64 s[2:3], 0
	s_cbranch_scc0 .LBB14_689
; %bb.682:
	v_bfe_u32 v1, v0, 16, 1
	s_movk_i32 s0, 0x7fff
	v_add3_u32 v1, v0, v1, s0
	v_cmp_o_f32_e32 vcc, v0, v0
	v_mov_b32_e32 v4, 0x7fc0
	v_cndmask_b32_sdwa v1, v4, v1, vcc dst_sel:DWORD dst_unused:UNUSED_PAD src0_sel:DWORD src1_sel:WORD_1
	global_store_dword v[2:3], v1, off
	s_mov_b64 s[2:3], -1
	s_mov_b64 s[0:1], 0
	s_branch .LBB14_689
.LBB14_683:
	s_mov_b64 s[4:5], 0
                                        ; implicit-def: $vgpr7
	s_mov_b64 s[0:1], s[24:25]
	s_branch .LBB14_800
.LBB14_684:
	s_mov_b64 s[4:5], -1
	s_mov_b64 s[2:3], 0
	s_mov_b64 s[0:1], s[24:25]
	s_branch .LBB14_758
.LBB14_685:
	s_mov_b64 s[4:5], -1
	s_mov_b64 s[2:3], 0
	s_mov_b64 s[0:1], s[24:25]
	s_branch .LBB14_716
.LBB14_686:
	s_mov_b64 s[4:5], -1
	s_mov_b64 s[2:3], 0
	s_mov_b64 s[0:1], s[24:25]
	s_branch .LBB14_699
.LBB14_687:
	s_mov_b64 s[4:5], -1
	s_mov_b64 s[2:3], 0
	s_mov_b64 s[0:1], s[24:25]
	s_branch .LBB14_695
.LBB14_688:
	s_mov_b64 s[4:5], -1
	s_mov_b64 s[2:3], 0
	s_mov_b64 s[0:1], s[24:25]
.LBB14_689:
	s_and_b64 vcc, exec, s[4:5]
	s_cbranch_vccz .LBB14_694
; %bb.690:
	s_cmp_eq_u32 s37, 44
	s_mov_b64 s[0:1], -1
	s_cbranch_scc0 .LBB14_694
; %bb.691:
	v_bfe_u32 v1, v0, 23, 8
	s_movk_i32 s0, 0xff
	v_cmp_ne_u32_e32 vcc, s0, v1
	v_mov_b32_e32 v4, 0xff
	s_and_saveexec_b64 s[2:3], vcc
; %bb.692:
	s_mov_b32 s0, 0x3fffff
	v_and_b32_e32 v5, 0x400000, v0
	v_and_or_b32 v1, v0, s0, v1
	v_cmp_ne_u32_e32 vcc, 0, v5
	v_cmp_ne_u32_e64 s[0:1], 0, v1
	s_and_b64 s[0:1], vcc, s[0:1]
	v_lshrrev_b32_e32 v4, 23, v0
	v_cndmask_b32_e64 v1, 0, 1, s[0:1]
	v_add_u32_e32 v4, v4, v1
; %bb.693:
	s_or_b64 exec, exec, s[2:3]
	s_mov_b64 s[2:3], -1
	s_mov_b64 s[0:1], 0
	global_store_byte v[2:3], v4, off
.LBB14_694:
	s_mov_b64 s[4:5], 0
.LBB14_695:
	s_and_b64 vcc, exec, s[4:5]
	s_cbranch_vccz .LBB14_698
; %bb.696:
	s_cmp_eq_u32 s37, 29
	s_mov_b64 s[0:1], -1
	s_cbranch_scc0 .LBB14_698
; %bb.697:
	v_trunc_f32_e32 v1, v0
	v_mul_f32_e32 v4, 0x2f800000, v1
	v_floor_f32_e32 v4, v4
	v_fmac_f32_e32 v1, 0xcf800000, v4
	v_cvt_u32_f32_e32 v5, v4
	v_cvt_u32_f32_e32 v4, v1
	s_mov_b64 s[2:3], -1
	s_mov_b64 s[0:1], 0
	s_mov_b64 s[4:5], 0
	global_store_dwordx2 v[2:3], v[4:5], off
	s_branch .LBB14_699
.LBB14_698:
	s_mov_b64 s[4:5], 0
.LBB14_699:
	s_and_b64 vcc, exec, s[4:5]
	s_cbranch_vccz .LBB14_715
; %bb.700:
	s_cmp_lt_i32 s37, 27
	s_mov_b64 s[2:3], -1
	s_cbranch_scc1 .LBB14_706
; %bb.701:
	v_cvt_u32_f32_e32 v1, v0
	s_cmp_gt_i32 s37, 27
	s_cbranch_scc0 .LBB14_703
; %bb.702:
	s_mov_b64 s[2:3], 0
	global_store_dword v[2:3], v1, off
.LBB14_703:
	s_andn2_b64 vcc, exec, s[2:3]
	s_cbranch_vccnz .LBB14_705
; %bb.704:
	global_store_short v[2:3], v1, off
.LBB14_705:
	s_mov_b64 s[2:3], 0
.LBB14_706:
	s_andn2_b64 vcc, exec, s[2:3]
	s_cbranch_vccnz .LBB14_714
; %bb.707:
	v_and_b32_e32 v1, 0x7fffffff, v0
	s_mov_b32 s2, 0x43800000
	v_cmp_gt_u32_e32 vcc, s2, v1
	v_mov_b32_e32 v4, 0x80
	s_and_saveexec_b64 s[2:3], vcc
	s_cbranch_execz .LBB14_713
; %bb.708:
	s_mov_b32 s4, 0x3bffffff
	v_cmp_lt_u32_e32 vcc, s4, v1
	s_mov_b64 s[4:5], 0
                                        ; implicit-def: $vgpr1
	s_and_saveexec_b64 s[34:35], vcc
	s_xor_b64 s[34:35], exec, s[34:35]
	s_cbranch_execz .LBB14_814
; %bb.709:
	v_bfe_u32 v1, v0, 20, 1
	s_mov_b32 s38, 0x487ffff
	v_add3_u32 v1, v0, v1, s38
	s_mov_b64 s[4:5], exec
	v_lshrrev_b32_e32 v1, 20, v1
	s_andn2_saveexec_b64 s[34:35], s[34:35]
	s_cbranch_execnz .LBB14_815
.LBB14_710:
	s_or_b64 exec, exec, s[34:35]
	v_mov_b32_e32 v4, 0
	s_and_saveexec_b64 s[34:35], s[4:5]
.LBB14_711:
	v_lshrrev_b32_e32 v4, 24, v0
	s_movk_i32 s4, 0x80
	v_and_or_b32 v4, v4, s4, v1
.LBB14_712:
	s_or_b64 exec, exec, s[34:35]
.LBB14_713:
	s_or_b64 exec, exec, s[2:3]
	global_store_byte v[2:3], v4, off
.LBB14_714:
	s_mov_b64 s[2:3], -1
.LBB14_715:
	s_mov_b64 s[4:5], 0
.LBB14_716:
	s_and_b64 vcc, exec, s[4:5]
	s_cbranch_vccz .LBB14_757
; %bb.717:
	s_cmp_gt_i32 s37, 22
	s_mov_b64 s[4:5], -1
	s_cbranch_scc0 .LBB14_749
; %bb.718:
	s_cmp_lt_i32 s37, 24
	s_mov_b64 s[2:3], -1
	s_cbranch_scc1 .LBB14_738
; %bb.719:
	s_cmp_gt_i32 s37, 24
	s_cbranch_scc0 .LBB14_727
; %bb.720:
	v_and_b32_e32 v1, 0x7fffffff, v0
	s_mov_b32 s2, 0x47800000
	v_cmp_gt_u32_e32 vcc, s2, v1
	v_mov_b32_e32 v4, 0x80
	s_and_saveexec_b64 s[2:3], vcc
	s_cbranch_execz .LBB14_726
; %bb.721:
	s_mov_b32 s4, 0x37ffffff
	v_cmp_lt_u32_e32 vcc, s4, v1
	s_mov_b64 s[4:5], 0
                                        ; implicit-def: $vgpr1
	s_and_saveexec_b64 s[34:35], vcc
	s_xor_b64 s[34:35], exec, s[34:35]
	s_cbranch_execz .LBB14_817
; %bb.722:
	v_bfe_u32 v1, v0, 21, 1
	s_mov_b32 s38, 0x88fffff
	v_add3_u32 v1, v0, v1, s38
	s_mov_b64 s[4:5], exec
	v_lshrrev_b32_e32 v1, 21, v1
	s_andn2_saveexec_b64 s[34:35], s[34:35]
	s_cbranch_execnz .LBB14_818
.LBB14_723:
	s_or_b64 exec, exec, s[34:35]
	v_mov_b32_e32 v4, 0
	s_and_saveexec_b64 s[34:35], s[4:5]
.LBB14_724:
	v_lshrrev_b32_e32 v4, 24, v0
	s_movk_i32 s4, 0x80
	v_and_or_b32 v4, v4, s4, v1
.LBB14_725:
	s_or_b64 exec, exec, s[34:35]
.LBB14_726:
	s_or_b64 exec, exec, s[2:3]
	s_mov_b64 s[2:3], 0
	global_store_byte v[2:3], v4, off
.LBB14_727:
	s_and_b64 vcc, exec, s[2:3]
	s_cbranch_vccz .LBB14_737
; %bb.728:
	v_and_b32_e32 v4, 0x7fffffff, v0
	s_mov_b32 s2, 0x43f00000
	v_cmp_gt_u32_e32 vcc, s2, v4
                                        ; implicit-def: $vgpr1
	s_and_saveexec_b64 s[2:3], vcc
	s_xor_b64 s[2:3], exec, s[2:3]
	s_cbranch_execz .LBB14_734
; %bb.729:
	s_mov_b32 s4, 0x3c7fffff
	v_cmp_lt_u32_e32 vcc, s4, v4
                                        ; implicit-def: $vgpr1
	s_and_saveexec_b64 s[4:5], vcc
	s_xor_b64 s[4:5], exec, s[4:5]
; %bb.730:
	v_bfe_u32 v1, v0, 20, 1
	s_mov_b32 s34, 0x407ffff
	v_add3_u32 v1, v0, v1, s34
	v_lshrrev_b32_e32 v4, 20, v1
	v_and_b32_e32 v1, 0xff00000, v1
	s_mov_b32 s34, 0x7f00000
	v_mov_b32_e32 v5, 0x7e
	v_cmp_ne_u32_e32 vcc, s34, v1
	v_cndmask_b32_e32 v1, v5, v4, vcc
; %bb.731:
	s_andn2_saveexec_b64 s[4:5], s[4:5]
; %bb.732:
	s_mov_b32 s34, 0x46800000
	v_add_f32_e64 v1, |v0|, s34
; %bb.733:
	s_or_b64 exec, exec, s[4:5]
                                        ; implicit-def: $vgpr4
.LBB14_734:
	s_andn2_saveexec_b64 s[2:3], s[2:3]
; %bb.735:
	s_mov_b32 s4, 0x7f800000
	v_mov_b32_e32 v1, 0x7e
	v_mov_b32_e32 v5, 0x7f
	v_cmp_lt_u32_e32 vcc, s4, v4
	v_cndmask_b32_e32 v1, v1, v5, vcc
; %bb.736:
	s_or_b64 exec, exec, s[2:3]
	v_lshrrev_b32_e32 v4, 24, v0
	s_movk_i32 s2, 0x80
	v_and_or_b32 v1, v4, s2, v1
	global_store_byte v[2:3], v1, off
.LBB14_737:
	s_mov_b64 s[2:3], 0
.LBB14_738:
	s_andn2_b64 vcc, exec, s[2:3]
	s_cbranch_vccnz .LBB14_748
; %bb.739:
	v_and_b32_e32 v4, 0x7fffffff, v0
	s_mov_b32 s2, 0x47800000
	v_cmp_gt_u32_e32 vcc, s2, v4
                                        ; implicit-def: $vgpr1
	s_and_saveexec_b64 s[2:3], vcc
	s_xor_b64 s[2:3], exec, s[2:3]
	s_cbranch_execz .LBB14_745
; %bb.740:
	s_mov_b32 s4, 0x387fffff
	v_cmp_lt_u32_e32 vcc, s4, v4
                                        ; implicit-def: $vgpr1
	s_and_saveexec_b64 s[4:5], vcc
	s_xor_b64 s[4:5], exec, s[4:5]
; %bb.741:
	v_bfe_u32 v1, v0, 21, 1
	s_mov_b32 s34, 0x80fffff
	v_add3_u32 v1, v0, v1, s34
	v_lshrrev_b32_e32 v1, 21, v1
; %bb.742:
	s_andn2_saveexec_b64 s[4:5], s[4:5]
; %bb.743:
	s_mov_b32 s34, 0x43000000
	v_add_f32_e64 v1, |v0|, s34
; %bb.744:
	s_or_b64 exec, exec, s[4:5]
                                        ; implicit-def: $vgpr4
.LBB14_745:
	s_andn2_saveexec_b64 s[2:3], s[2:3]
; %bb.746:
	s_mov_b32 s4, 0x7f800000
	v_mov_b32_e32 v1, 0x7c
	v_mov_b32_e32 v5, 0x7f
	v_cmp_lt_u32_e32 vcc, s4, v4
	v_cndmask_b32_e32 v1, v1, v5, vcc
; %bb.747:
	s_or_b64 exec, exec, s[2:3]
	v_lshrrev_b32_e32 v4, 24, v0
	s_movk_i32 s2, 0x80
	v_and_or_b32 v1, v4, s2, v1
	global_store_byte v[2:3], v1, off
.LBB14_748:
	s_mov_b64 s[4:5], 0
	s_mov_b64 s[2:3], -1
.LBB14_749:
	s_andn2_b64 vcc, exec, s[4:5]
	s_cbranch_vccnz .LBB14_757
; %bb.750:
	s_cmp_gt_i32 s37, 14
	s_mov_b64 s[4:5], -1
	s_cbranch_scc0 .LBB14_754
; %bb.751:
	s_cmp_eq_u32 s37, 15
	s_mov_b64 s[0:1], -1
	s_cbranch_scc0 .LBB14_753
; %bb.752:
	v_bfe_u32 v1, v0, 16, 1
	s_movk_i32 s0, 0x7fff
	v_add3_u32 v1, v0, v1, s0
	v_cmp_o_f32_e32 vcc, v0, v0
	v_mov_b32_e32 v4, 0x7fc0
	v_cndmask_b32_sdwa v1, v4, v1, vcc dst_sel:DWORD dst_unused:UNUSED_PAD src0_sel:DWORD src1_sel:WORD_1
	global_store_short v[2:3], v1, off
	s_mov_b64 s[2:3], -1
	s_mov_b64 s[0:1], 0
.LBB14_753:
	s_mov_b64 s[4:5], 0
.LBB14_754:
	s_and_b64 vcc, exec, s[4:5]
	s_cbranch_vccz .LBB14_757
; %bb.755:
	s_cmp_eq_u32 s37, 11
	s_mov_b64 s[0:1], -1
	s_cbranch_scc0 .LBB14_757
; %bb.756:
	v_cmp_neq_f32_e32 vcc, 0, v0
	v_cndmask_b32_e64 v1, 0, 1, vcc
	s_mov_b64 s[2:3], -1
	s_mov_b64 s[0:1], 0
	global_store_byte v[2:3], v1, off
.LBB14_757:
	s_mov_b64 s[4:5], 0
.LBB14_758:
	s_and_b64 vcc, exec, s[4:5]
	s_cbranch_vccz .LBB14_797
; %bb.759:
	s_and_b32 s4, 0xffff, s36
	s_cmp_lt_i32 s4, 5
	s_mov_b64 s[2:3], -1
	s_cbranch_scc1 .LBB14_780
; %bb.760:
	s_cmp_lt_i32 s4, 8
	s_cbranch_scc1 .LBB14_770
; %bb.761:
	s_cmp_lt_i32 s4, 9
	s_cbranch_scc1 .LBB14_767
; %bb.762:
	s_cmp_gt_i32 s4, 9
	s_cbranch_scc0 .LBB14_764
; %bb.763:
	v_cvt_f64_f32_e32 v[8:9], v0
	v_mov_b32_e32 v10, 0
	v_mov_b32_e32 v11, v10
	s_mov_b64 s[2:3], 0
	global_store_dwordx4 v[2:3], v[8:11], off
.LBB14_764:
	s_andn2_b64 vcc, exec, s[2:3]
	s_cbranch_vccnz .LBB14_766
; %bb.765:
	v_mov_b32_e32 v1, 0
	global_store_dwordx2 v[2:3], v[0:1], off
.LBB14_766:
	s_mov_b64 s[2:3], 0
.LBB14_767:
	s_andn2_b64 vcc, exec, s[2:3]
	s_cbranch_vccnz .LBB14_769
; %bb.768:
	v_cvt_f16_f32_e32 v1, v0
	global_store_dword v[2:3], v1, off
.LBB14_769:
	s_mov_b64 s[2:3], 0
.LBB14_770:
	s_andn2_b64 vcc, exec, s[2:3]
	s_cbranch_vccnz .LBB14_779
; %bb.771:
	s_cmp_lt_i32 s4, 6
	s_mov_b64 s[2:3], -1
	s_cbranch_scc1 .LBB14_777
; %bb.772:
	s_cmp_gt_i32 s4, 6
	s_cbranch_scc0 .LBB14_774
; %bb.773:
	v_cvt_f64_f32_e32 v[4:5], v0
	s_mov_b64 s[2:3], 0
	global_store_dwordx2 v[2:3], v[4:5], off
.LBB14_774:
	s_andn2_b64 vcc, exec, s[2:3]
	s_cbranch_vccnz .LBB14_776
; %bb.775:
	global_store_dword v[2:3], v0, off
.LBB14_776:
	s_mov_b64 s[2:3], 0
.LBB14_777:
	s_andn2_b64 vcc, exec, s[2:3]
	s_cbranch_vccnz .LBB14_779
; %bb.778:
	v_cvt_f16_f32_e32 v1, v0
	global_store_short v[2:3], v1, off
.LBB14_779:
	s_mov_b64 s[2:3], 0
.LBB14_780:
	s_andn2_b64 vcc, exec, s[2:3]
	s_cbranch_vccnz .LBB14_796
; %bb.781:
	s_cmp_lt_i32 s4, 2
	s_mov_b64 s[2:3], -1
	s_cbranch_scc1 .LBB14_791
; %bb.782:
	s_cmp_lt_i32 s4, 3
	s_cbranch_scc1 .LBB14_788
; %bb.783:
	s_cmp_gt_i32 s4, 3
	s_cbranch_scc0 .LBB14_785
; %bb.784:
	v_trunc_f32_e32 v1, v0
	s_mov_b32 s2, 0x2f800000
	v_mul_f32_e64 v4, |v1|, s2
	v_floor_f32_e32 v4, v4
	s_mov_b32 s2, 0xcf800000
	v_cvt_u32_f32_e32 v5, v4
	v_fma_f32 v4, v4, s2, |v1|
	v_cvt_u32_f32_e32 v4, v4
	v_ashrrev_i32_e32 v1, 31, v1
	v_xor_b32_e32 v5, v5, v1
	s_mov_b64 s[2:3], 0
	v_xor_b32_e32 v4, v4, v1
	v_sub_co_u32_e32 v4, vcc, v4, v1
	v_subb_co_u32_e32 v5, vcc, v5, v1, vcc
	global_store_dwordx2 v[2:3], v[4:5], off
.LBB14_785:
	s_andn2_b64 vcc, exec, s[2:3]
	s_cbranch_vccnz .LBB14_787
; %bb.786:
	v_cvt_i32_f32_e32 v1, v0
	global_store_dword v[2:3], v1, off
.LBB14_787:
	s_mov_b64 s[2:3], 0
.LBB14_788:
	s_andn2_b64 vcc, exec, s[2:3]
	s_cbranch_vccnz .LBB14_790
; %bb.789:
	v_cvt_i32_f32_e32 v1, v0
	global_store_short v[2:3], v1, off
.LBB14_790:
	s_mov_b64 s[2:3], 0
.LBB14_791:
	s_andn2_b64 vcc, exec, s[2:3]
	s_cbranch_vccnz .LBB14_796
; %bb.792:
	s_cmp_gt_i32 s4, 0
	s_mov_b64 s[2:3], -1
	s_cbranch_scc0 .LBB14_794
; %bb.793:
	v_cvt_i32_f32_e32 v1, v0
	s_mov_b64 s[2:3], 0
	global_store_byte v[2:3], v1, off
.LBB14_794:
	s_andn2_b64 vcc, exec, s[2:3]
	s_cbranch_vccnz .LBB14_796
; %bb.795:
	v_trunc_f32_e32 v0, v0
	s_mov_b32 s2, 0x2f800000
	v_mul_f32_e64 v1, |v0|, s2
	v_floor_f32_e32 v1, v1
	s_mov_b32 s2, 0xcf800000
	v_fma_f32 v1, v1, s2, |v0|
	v_cvt_u32_f32_e32 v1, v1
	v_ashrrev_i32_e32 v0, 31, v0
	v_xor_b32_e32 v1, v1, v0
	v_sub_u32_e32 v0, v1, v0
	global_store_byte v[2:3], v0, off
.LBB14_796:
	s_mov_b64 s[2:3], -1
.LBB14_797:
	s_andn2_b64 vcc, exec, s[2:3]
	s_cbranch_vccnz .LBB14_799
; %bb.798:
	v_add_u32_e32 v7, 0x80, v7
	s_mov_b64 s[4:5], -1
	s_branch .LBB14_800
.LBB14_799:
	s_mov_b64 s[4:5], 0
                                        ; implicit-def: $vgpr7
.LBB14_800:
	s_andn2_b64 s[2:3], s[24:25], exec
	s_and_b64 s[0:1], s[0:1], exec
	s_or_b64 s[2:3], s[2:3], s[0:1]
	s_andn2_b64 s[0:1], s[22:23], exec
	s_and_b64 s[30:31], s[30:31], exec
	s_or_b64 s[0:1], s[0:1], s[30:31]
	s_orn2_b64 s[34:35], s[4:5], exec
.LBB14_801:
	s_or_b64 exec, exec, s[28:29]
	s_mov_b64 s[30:31], 0
	s_mov_b64 s[36:37], 0
	s_mov_b64 s[28:29], 0
                                        ; implicit-def: $vgpr0_vgpr1
                                        ; implicit-def: $vgpr4
	s_and_saveexec_b64 s[4:5], s[34:35]
	s_cbranch_execz .LBB14_886
; %bb.802:
	v_cmp_gt_i32_e32 vcc, s40, v7
	s_mov_b64 s[34:35], 0
	s_mov_b64 s[38:39], s[0:1]
	;; [unrolled: 1-line block ×3, first 2 shown]
                                        ; implicit-def: $vgpr0_vgpr1
                                        ; implicit-def: $vgpr4
	s_and_saveexec_b64 s[28:29], vcc
	s_cbranch_execz .LBB14_885
; %bb.803:
	v_mul_lo_u32 v0, v7, s13
	v_mov_b32_e32 v1, s11
	s_and_b32 s43, 0xffff, s42
	s_cmp_lt_i32 s43, 11
	s_waitcnt vmcnt(0)
	v_ashrrev_i32_e32 v2, 31, v0
	v_add_co_u32_e32 v0, vcc, s10, v0
	v_addc_co_u32_e32 v1, vcc, v1, v2, vcc
	s_cbranch_scc1 .LBB14_810
; %bb.804:
	s_cmp_gt_i32 s43, 25
	s_cbranch_scc0 .LBB14_811
; %bb.805:
	s_cmp_gt_i32 s43, 28
	s_cbranch_scc0 .LBB14_812
	;; [unrolled: 3-line block ×4, first 2 shown]
; %bb.808:
	s_cmp_eq_u32 s43, 46
	s_mov_b64 s[38:39], 0
	s_cbranch_scc0 .LBB14_819
; %bb.809:
	global_load_dword v2, v[0:1], off
	s_mov_b64 s[36:37], -1
	s_waitcnt vmcnt(0)
	v_lshlrev_b32_e32 v4, 16, v2
	s_branch .LBB14_821
.LBB14_810:
	s_mov_b64 s[38:39], -1
                                        ; implicit-def: $vgpr4
	s_mov_b64 s[30:31], s[0:1]
	s_branch .LBB14_884
.LBB14_811:
	s_mov_b64 s[38:39], -1
	s_mov_b64 s[30:31], s[0:1]
                                        ; implicit-def: $vgpr4
	s_branch .LBB14_850
.LBB14_812:
	s_mov_b64 s[38:39], -1
	s_mov_b64 s[30:31], s[0:1]
                                        ; implicit-def: $vgpr4
	s_branch .LBB14_831
.LBB14_813:
	s_mov_b64 s[38:39], -1
	s_mov_b64 s[30:31], s[0:1]
                                        ; implicit-def: $vgpr4
	s_branch .LBB14_826
.LBB14_814:
	s_andn2_saveexec_b64 s[34:35], s[34:35]
	s_cbranch_execz .LBB14_710
.LBB14_815:
	s_mov_b32 s38, 0x46000000
	v_add_f32_e64 v1, |v0|, s38
	v_and_b32_e32 v1, 0xff, v1
	v_cmp_ne_u32_e32 vcc, 0, v1
	s_andn2_b64 s[4:5], s[4:5], exec
	s_and_b64 s[38:39], vcc, exec
	s_or_b64 s[4:5], s[4:5], s[38:39]
	s_or_b64 exec, exec, s[34:35]
	v_mov_b32_e32 v4, 0
	s_and_saveexec_b64 s[34:35], s[4:5]
	s_cbranch_execnz .LBB14_711
	s_branch .LBB14_712
.LBB14_816:
	s_mov_b64 s[38:39], -1
	s_mov_b64 s[30:31], s[0:1]
	s_branch .LBB14_820
.LBB14_817:
	s_andn2_saveexec_b64 s[34:35], s[34:35]
	s_cbranch_execz .LBB14_723
.LBB14_818:
	s_mov_b32 s38, 0x42800000
	v_add_f32_e64 v1, |v0|, s38
	v_and_b32_e32 v1, 0xff, v1
	v_cmp_ne_u32_e32 vcc, 0, v1
	s_andn2_b64 s[4:5], s[4:5], exec
	s_and_b64 s[38:39], vcc, exec
	s_or_b64 s[4:5], s[4:5], s[38:39]
	s_or_b64 exec, exec, s[34:35]
	v_mov_b32_e32 v4, 0
	s_and_saveexec_b64 s[34:35], s[4:5]
	s_cbranch_execnz .LBB14_724
	s_branch .LBB14_725
.LBB14_819:
	s_mov_b64 s[30:31], -1
.LBB14_820:
                                        ; implicit-def: $vgpr4
.LBB14_821:
	s_and_b64 vcc, exec, s[38:39]
	s_cbranch_vccz .LBB14_825
; %bb.822:
	s_cmp_eq_u32 s43, 44
	s_cbranch_scc0 .LBB14_824
; %bb.823:
	global_load_ubyte v2, v[0:1], off
	s_movk_i32 s36, 0xff
	v_mov_b32_e32 v3, 0x7f800001
	v_mov_b32_e32 v4, 0x400000
	s_mov_b64 s[30:31], 0
	s_waitcnt vmcnt(0)
	v_lshlrev_b32_e32 v5, 23, v2
	v_cmp_ne_u32_e32 vcc, s36, v2
	v_cndmask_b32_e32 v3, v3, v5, vcc
	v_cmp_ne_u32_e32 vcc, 0, v2
	v_cndmask_b32_e32 v4, v4, v3, vcc
	s_mov_b64 s[36:37], -1
	s_branch .LBB14_825
.LBB14_824:
	s_mov_b64 s[30:31], -1
                                        ; implicit-def: $vgpr4
.LBB14_825:
	s_mov_b64 s[38:39], 0
.LBB14_826:
	s_and_b64 vcc, exec, s[38:39]
	s_cbranch_vccz .LBB14_830
; %bb.827:
	s_cmp_eq_u32 s43, 29
	s_cbranch_scc0 .LBB14_829
; %bb.828:
	global_load_dwordx2 v[2:3], v[0:1], off
	s_mov_b64 s[30:31], 0
	s_mov_b64 s[36:37], -1
	s_mov_b64 s[38:39], 0
	s_waitcnt vmcnt(0)
	v_ffbh_u32_e32 v4, v3
	v_min_u32_e32 v4, 32, v4
	v_lshlrev_b64 v[2:3], v4, v[2:3]
	v_min_u32_e32 v2, 1, v2
	v_or_b32_e32 v2, v3, v2
	v_cvt_f32_u32_e32 v2, v2
	v_sub_u32_e32 v3, 32, v4
	v_ldexp_f32 v4, v2, v3
	s_branch .LBB14_831
.LBB14_829:
	s_mov_b64 s[30:31], -1
                                        ; implicit-def: $vgpr4
.LBB14_830:
	s_mov_b64 s[38:39], 0
.LBB14_831:
	s_and_b64 vcc, exec, s[38:39]
	s_cbranch_vccz .LBB14_849
; %bb.832:
	s_cmp_lt_i32 s43, 27
	s_cbranch_scc1 .LBB14_835
; %bb.833:
	s_cmp_gt_i32 s43, 27
	s_cbranch_scc0 .LBB14_836
; %bb.834:
	global_load_dword v2, v[0:1], off
	s_mov_b64 s[36:37], 0
	s_waitcnt vmcnt(0)
	v_cvt_f32_u32_e32 v4, v2
	s_branch .LBB14_837
.LBB14_835:
	s_mov_b64 s[36:37], -1
                                        ; implicit-def: $vgpr4
	s_branch .LBB14_840
.LBB14_836:
	s_mov_b64 s[36:37], -1
                                        ; implicit-def: $vgpr4
.LBB14_837:
	s_andn2_b64 vcc, exec, s[36:37]
	s_cbranch_vccnz .LBB14_839
; %bb.838:
	global_load_ushort v2, v[0:1], off
	s_waitcnt vmcnt(0)
	v_cvt_f32_u32_e32 v4, v2
.LBB14_839:
	s_mov_b64 s[36:37], 0
.LBB14_840:
	s_andn2_b64 vcc, exec, s[36:37]
	s_cbranch_vccnz .LBB14_848
; %bb.841:
	global_load_ubyte v2, v[0:1], off
	s_movk_i32 s36, 0x7f
	s_waitcnt vmcnt(0)
	v_cmp_lt_i16_e32 vcc, s36, v2
	s_mov_b64 s[36:37], 0
	s_and_saveexec_b64 s[38:39], vcc
	s_xor_b64 s[38:39], exec, s[38:39]
	s_cbranch_execz .LBB14_862
; %bb.842:
	s_movk_i32 s36, 0x80
	v_cmp_eq_u16_e32 vcc, s36, v2
	s_mov_b64 s[36:37], -1
	s_and_saveexec_b64 s[40:41], vcc
; %bb.843:
	s_xor_b64 s[36:37], exec, -1
; %bb.844:
	s_or_b64 exec, exec, s[40:41]
	s_and_b64 s[36:37], s[36:37], exec
	s_or_saveexec_b64 s[38:39], s[38:39]
	v_mov_b32_e32 v4, 0x7f800001
	s_xor_b64 exec, exec, s[38:39]
	s_cbranch_execnz .LBB14_863
.LBB14_845:
	s_or_b64 exec, exec, s[38:39]
	s_and_saveexec_b64 s[38:39], s[36:37]
	s_cbranch_execz .LBB14_847
.LBB14_846:
	v_lshlrev_b32_e32 v3, 24, v2
	v_and_b32_e32 v2, 0xffff, v2
	v_and_b32_e32 v4, 7, v2
	v_ffbh_u32_e32 v6, v4
	v_min_u32_e32 v6, 32, v6
	v_subrev_u32_e32 v8, 28, v6
	v_bfe_u32 v5, v2, 3, 4
	v_lshlrev_b32_e32 v2, v8, v2
	v_sub_u32_e32 v6, 29, v6
	v_and_b32_e32 v2, 7, v2
	v_cmp_eq_u32_e32 vcc, 0, v5
	v_cndmask_b32_e32 v5, v5, v6, vcc
	v_cndmask_b32_e32 v2, v4, v2, vcc
	v_mov_b32_e32 v4, 0x3b800000
	v_lshlrev_b32_e32 v2, 20, v2
	v_and_b32_e32 v3, 0x80000000, v3
	v_lshl_add_u32 v4, v5, 23, v4
	v_or3_b32 v4, v3, v4, v2
.LBB14_847:
	s_or_b64 exec, exec, s[38:39]
.LBB14_848:
	s_mov_b64 s[36:37], -1
.LBB14_849:
	s_mov_b64 s[38:39], 0
.LBB14_850:
	s_and_b64 vcc, exec, s[38:39]
	s_cbranch_vccz .LBB14_883
; %bb.851:
	s_cmp_gt_i32 s43, 22
	s_cbranch_scc0 .LBB14_861
; %bb.852:
	s_cmp_lt_i32 s43, 24
	s_cbranch_scc1 .LBB14_864
; %bb.853:
	s_cmp_gt_i32 s43, 24
	s_cbranch_scc0 .LBB14_865
; %bb.854:
	global_load_ubyte v2, v[0:1], off
	s_movk_i32 s34, 0x7f
	s_waitcnt vmcnt(0)
	v_cmp_lt_i16_e32 vcc, s34, v2
	s_mov_b64 s[34:35], 0
	s_and_saveexec_b64 s[36:37], vcc
	s_xor_b64 s[36:37], exec, s[36:37]
	s_cbranch_execz .LBB14_877
; %bb.855:
	s_movk_i32 s34, 0x80
	v_cmp_eq_u16_e32 vcc, s34, v2
	s_mov_b64 s[34:35], -1
	s_and_saveexec_b64 s[38:39], vcc
; %bb.856:
	s_xor_b64 s[34:35], exec, -1
; %bb.857:
	s_or_b64 exec, exec, s[38:39]
	s_and_b64 s[34:35], s[34:35], exec
	s_or_saveexec_b64 s[36:37], s[36:37]
	v_mov_b32_e32 v4, 0x7f800001
	s_xor_b64 exec, exec, s[36:37]
	s_cbranch_execnz .LBB14_878
.LBB14_858:
	s_or_b64 exec, exec, s[36:37]
	s_and_saveexec_b64 s[36:37], s[34:35]
	s_cbranch_execz .LBB14_860
.LBB14_859:
	v_lshlrev_b32_e32 v3, 24, v2
	v_and_b32_e32 v2, 0xffff, v2
	v_and_b32_e32 v4, 3, v2
	v_ffbh_u32_e32 v6, v4
	v_min_u32_e32 v6, 32, v6
	v_subrev_u32_e32 v8, 29, v6
	v_bfe_u32 v5, v2, 2, 5
	v_lshlrev_b32_e32 v2, v8, v2
	v_sub_u32_e32 v6, 30, v6
	v_and_b32_e32 v2, 3, v2
	v_cmp_eq_u32_e32 vcc, 0, v5
	v_cndmask_b32_e32 v5, v5, v6, vcc
	v_cndmask_b32_e32 v2, v4, v2, vcc
	v_mov_b32_e32 v4, 0x37800000
	v_lshlrev_b32_e32 v2, 21, v2
	v_and_b32_e32 v3, 0x80000000, v3
	v_lshl_add_u32 v4, v5, 23, v4
	v_or3_b32 v4, v3, v4, v2
.LBB14_860:
	s_or_b64 exec, exec, s[36:37]
	s_mov_b64 s[34:35], 0
	s_branch .LBB14_866
.LBB14_861:
	s_mov_b64 s[34:35], -1
                                        ; implicit-def: $vgpr4
	s_branch .LBB14_872
.LBB14_862:
	s_or_saveexec_b64 s[38:39], s[38:39]
	v_mov_b32_e32 v4, 0x7f800001
	s_xor_b64 exec, exec, s[38:39]
	s_cbranch_execz .LBB14_845
.LBB14_863:
	v_cmp_ne_u16_e32 vcc, 0, v2
	s_andn2_b64 s[36:37], s[36:37], exec
	s_and_b64 s[40:41], vcc, exec
	v_mov_b32_e32 v4, 0
	s_or_b64 s[36:37], s[36:37], s[40:41]
	s_or_b64 exec, exec, s[38:39]
	s_and_saveexec_b64 s[38:39], s[36:37]
	s_cbranch_execnz .LBB14_846
	s_branch .LBB14_847
.LBB14_864:
	s_mov_b64 s[34:35], -1
                                        ; implicit-def: $vgpr4
	s_branch .LBB14_869
.LBB14_865:
	s_mov_b64 s[34:35], -1
                                        ; implicit-def: $vgpr4
.LBB14_866:
	s_and_b64 vcc, exec, s[34:35]
	s_cbranch_vccz .LBB14_868
; %bb.867:
	global_load_ubyte v2, v[0:1], off
	s_mov_b32 s34, 0x7f800000
	s_waitcnt vmcnt(0)
	v_lshlrev_b32_e32 v2, 24, v2
	v_and_b32_e32 v3, 0x7f000000, v2
	v_ffbh_u32_e32 v4, v3
	v_min_u32_e32 v4, 32, v4
	v_sub_u32_e64 v4, v4, 4 clamp
	v_lshlrev_b32_e32 v6, v4, v3
	v_lshlrev_b32_e32 v4, 23, v4
	v_lshrrev_b32_e32 v6, 4, v6
	v_add_u32_e32 v5, 0x1000000, v3
	v_sub_u32_e32 v4, v6, v4
	v_ashrrev_i32_e32 v5, 8, v5
	v_add_u32_e32 v4, 0x3c000000, v4
	v_and_or_b32 v4, v5, s34, v4
	v_cmp_ne_u32_e32 vcc, 0, v3
	v_cndmask_b32_e32 v3, 0, v4, vcc
	s_brev_b32 s34, 1
	v_and_or_b32 v4, v2, s34, v3
.LBB14_868:
	s_mov_b64 s[34:35], 0
.LBB14_869:
	s_andn2_b64 vcc, exec, s[34:35]
	s_cbranch_vccnz .LBB14_871
; %bb.870:
	global_load_ubyte v2, v[0:1], off
	s_movk_i32 s34, 0x7f00
	s_brev_b32 s35, 16
	s_waitcnt vmcnt(0)
	v_lshlrev_b16_e32 v3, 8, v2
	v_lshlrev_b32_e32 v2, 25, v2
	v_lshrrev_b32_e32 v4, 4, v2
	v_and_or_b32 v5, v3, s34, 0.5
	v_or_b32_e32 v4, 0x70000000, v4
	v_add_f32_e32 v5, -0.5, v5
	v_mul_f32_e32 v4, 0x7800000, v4
	v_cmp_gt_u32_e32 vcc, s35, v2
	v_bfe_i32 v3, v3, 0, 16
	v_cndmask_b32_e32 v2, v4, v5, vcc
	s_brev_b32 s34, 1
	v_and_or_b32 v4, v3, s34, v2
.LBB14_871:
	s_mov_b64 s[34:35], 0
	s_mov_b64 s[36:37], -1
.LBB14_872:
	s_andn2_b64 vcc, exec, s[34:35]
	s_mov_b64 s[34:35], 0
	s_cbranch_vccnz .LBB14_883
; %bb.873:
	s_cmp_gt_i32 s43, 14
	s_cbranch_scc0 .LBB14_876
; %bb.874:
	s_cmp_eq_u32 s43, 15
	s_cbranch_scc0 .LBB14_879
; %bb.875:
	global_load_ushort v2, v[0:1], off
	s_mov_b64 s[30:31], 0
	s_mov_b64 s[36:37], -1
	s_waitcnt vmcnt(0)
	v_lshlrev_b32_e32 v4, 16, v2
	s_branch .LBB14_880
.LBB14_876:
	s_mov_b64 s[38:39], -1
                                        ; implicit-def: $vgpr4
	s_branch .LBB14_881
.LBB14_877:
	s_or_saveexec_b64 s[36:37], s[36:37]
	v_mov_b32_e32 v4, 0x7f800001
	s_xor_b64 exec, exec, s[36:37]
	s_cbranch_execz .LBB14_858
.LBB14_878:
	v_cmp_ne_u16_e32 vcc, 0, v2
	s_andn2_b64 s[34:35], s[34:35], exec
	s_and_b64 s[38:39], vcc, exec
	v_mov_b32_e32 v4, 0
	s_or_b64 s[34:35], s[34:35], s[38:39]
	s_or_b64 exec, exec, s[36:37]
	s_and_saveexec_b64 s[36:37], s[34:35]
	s_cbranch_execnz .LBB14_859
	s_branch .LBB14_860
.LBB14_879:
	s_mov_b64 s[30:31], -1
                                        ; implicit-def: $vgpr4
.LBB14_880:
	s_mov_b64 s[38:39], 0
.LBB14_881:
	s_and_b64 vcc, exec, s[38:39]
	s_cbranch_vccz .LBB14_883
; %bb.882:
	s_cmp_lg_u32 s43, 11
	s_cselect_b64 s[38:39], -1, 0
	s_andn2_b64 s[30:31], s[30:31], exec
	s_and_b64 s[38:39], s[38:39], exec
	s_mov_b64 s[34:35], -1
	s_or_b64 s[30:31], s[30:31], s[38:39]
.LBB14_883:
	s_mov_b64 s[38:39], 0
.LBB14_884:
	s_and_b64 s[40:41], s[36:37], exec
	s_and_b64 s[36:37], s[38:39], exec
	s_andn2_b64 s[38:39], s[0:1], exec
	s_and_b64 s[30:31], s[30:31], exec
	s_and_b64 s[34:35], s[34:35], exec
	s_or_b64 s[38:39], s[38:39], s[30:31]
.LBB14_885:
	s_or_b64 exec, exec, s[28:29]
	s_and_b64 s[30:31], s[34:35], exec
	s_andn2_b64 s[0:1], s[0:1], exec
	s_and_b64 s[34:35], s[38:39], exec
	s_and_b64 s[28:29], s[40:41], exec
	;; [unrolled: 1-line block ×3, first 2 shown]
	s_or_b64 s[0:1], s[0:1], s[34:35]
.LBB14_886:
	s_or_b64 exec, exec, s[4:5]
	s_andn2_b64 s[4:5], s[24:25], exec
	s_and_b64 s[2:3], s[2:3], exec
	s_andn2_b64 s[22:23], s[22:23], exec
	s_and_b64 s[0:1], s[0:1], exec
	s_or_b64 s[24:25], s[4:5], s[2:3]
	s_and_b64 s[28:29], s[28:29], exec
	s_and_b64 s[4:5], s[36:37], exec
	;; [unrolled: 1-line block ×3, first 2 shown]
	s_or_b64 s[22:23], s[22:23], s[0:1]
.LBB14_887:
	s_or_b64 exec, exec, s[26:27]
	s_andn2_b64 s[0:1], s[16:17], exec
	s_and_b64 s[16:17], s[24:25], exec
	s_and_b64 s[24:25], s[2:3], exec
	s_andn2_b64 s[2:3], s[18:19], exec
	s_and_b64 s[18:19], s[22:23], exec
	s_or_b64 s[16:17], s[0:1], s[16:17]
	s_and_b64 s[0:1], s[28:29], exec
	s_and_b64 s[4:5], s[4:5], exec
	s_or_b64 s[18:19], s[2:3], s[18:19]
	s_or_b64 exec, exec, s[20:21]
	s_mov_b64 s[20:21], 0
	s_and_saveexec_b64 s[2:3], s[18:19]
	s_cbranch_execz .LBB14_271
.LBB14_888:
	s_mov_b64 s[20:21], exec
	s_andn2_b64 s[24:25], s[24:25], exec
	s_trap 2
	s_or_b64 exec, exec, s[2:3]
	s_and_saveexec_b64 s[2:3], s[24:25]
	s_xor_b64 s[2:3], exec, s[2:3]
	s_cbranch_execnz .LBB14_272
.LBB14_889:
	s_or_b64 exec, exec, s[2:3]
	s_and_saveexec_b64 s[2:3], s[4:5]
	s_cbranch_execz .LBB14_935
.LBB14_890:
	s_sext_i32_i16 s4, s42
	s_cmp_lt_i32 s4, 5
	s_cbranch_scc1 .LBB14_895
; %bb.891:
	s_cmp_lt_i32 s4, 8
	s_cbranch_scc1 .LBB14_896
; %bb.892:
	;; [unrolled: 3-line block ×3, first 2 shown]
	s_cmp_gt_i32 s4, 9
	s_cbranch_scc0 .LBB14_898
; %bb.894:
	global_load_dwordx2 v[2:3], v[0:1], off
	s_mov_b64 s[4:5], 0
	s_waitcnt vmcnt(0)
	v_cvt_f32_f64_e32 v4, v[2:3]
	s_branch .LBB14_899
.LBB14_895:
                                        ; implicit-def: $vgpr4
	s_branch .LBB14_916
.LBB14_896:
                                        ; implicit-def: $vgpr4
	s_branch .LBB14_905
.LBB14_897:
	s_mov_b64 s[4:5], -1
                                        ; implicit-def: $vgpr4
	s_branch .LBB14_902
.LBB14_898:
	s_mov_b64 s[4:5], -1
                                        ; implicit-def: $vgpr4
.LBB14_899:
	s_andn2_b64 vcc, exec, s[4:5]
	s_cbranch_vccnz .LBB14_901
; %bb.900:
	global_load_dword v4, v[0:1], off
.LBB14_901:
	s_mov_b64 s[4:5], 0
.LBB14_902:
	s_andn2_b64 vcc, exec, s[4:5]
	s_cbranch_vccnz .LBB14_904
; %bb.903:
	global_load_dword v2, v[0:1], off
	s_waitcnt vmcnt(0)
	v_cvt_f32_f16_e32 v4, v2
.LBB14_904:
	s_cbranch_execnz .LBB14_915
.LBB14_905:
	s_sext_i32_i16 s4, s42
	s_cmp_lt_i32 s4, 6
	s_cbranch_scc1 .LBB14_908
; %bb.906:
	s_cmp_gt_i32 s4, 6
	s_cbranch_scc0 .LBB14_909
; %bb.907:
	global_load_dwordx2 v[2:3], v[0:1], off
	s_mov_b64 s[4:5], 0
	s_waitcnt vmcnt(0)
	v_cvt_f32_f64_e32 v4, v[2:3]
	s_branch .LBB14_910
.LBB14_908:
	s_mov_b64 s[4:5], -1
                                        ; implicit-def: $vgpr4
	s_branch .LBB14_913
.LBB14_909:
	s_mov_b64 s[4:5], -1
                                        ; implicit-def: $vgpr4
.LBB14_910:
	s_andn2_b64 vcc, exec, s[4:5]
	s_cbranch_vccnz .LBB14_912
; %bb.911:
	global_load_dword v4, v[0:1], off
.LBB14_912:
	s_mov_b64 s[4:5], 0
.LBB14_913:
	s_andn2_b64 vcc, exec, s[4:5]
	s_cbranch_vccnz .LBB14_915
; %bb.914:
	global_load_ushort v2, v[0:1], off
	s_waitcnt vmcnt(0)
	v_cvt_f32_f16_e32 v4, v2
.LBB14_915:
	s_cbranch_execnz .LBB14_934
.LBB14_916:
	s_sext_i32_i16 s4, s42
	s_cmp_lt_i32 s4, 2
	s_cbranch_scc1 .LBB14_920
; %bb.917:
	s_cmp_lt_i32 s4, 3
	s_cbranch_scc1 .LBB14_921
; %bb.918:
	s_cmp_gt_i32 s4, 3
	s_cbranch_scc0 .LBB14_922
; %bb.919:
	global_load_dwordx2 v[2:3], v[0:1], off
	s_mov_b64 s[4:5], 0
	s_waitcnt vmcnt(0)
	v_xor_b32_e32 v5, v2, v3
	v_ffbh_i32_e32 v4, v3
	v_ashrrev_i32_e32 v5, 31, v5
	v_add_u32_e32 v4, -1, v4
	v_add_u32_e32 v5, 32, v5
	v_min_u32_e32 v4, v4, v5
	v_lshlrev_b64 v[2:3], v4, v[2:3]
	v_min_u32_e32 v2, 1, v2
	v_or_b32_e32 v2, v3, v2
	v_cvt_f32_i32_e32 v2, v2
	v_sub_u32_e32 v3, 32, v4
	v_ldexp_f32 v4, v2, v3
	s_branch .LBB14_923
.LBB14_920:
                                        ; implicit-def: $vgpr4
	s_branch .LBB14_929
.LBB14_921:
	s_mov_b64 s[4:5], -1
                                        ; implicit-def: $vgpr4
	s_branch .LBB14_926
.LBB14_922:
	s_mov_b64 s[4:5], -1
                                        ; implicit-def: $vgpr4
.LBB14_923:
	s_andn2_b64 vcc, exec, s[4:5]
	s_cbranch_vccnz .LBB14_925
; %bb.924:
	global_load_dword v2, v[0:1], off
	s_waitcnt vmcnt(0)
	v_cvt_f32_i32_e32 v4, v2
.LBB14_925:
	s_mov_b64 s[4:5], 0
.LBB14_926:
	s_andn2_b64 vcc, exec, s[4:5]
	s_cbranch_vccnz .LBB14_928
; %bb.927:
	global_load_sshort v2, v[0:1], off
	s_waitcnt vmcnt(0)
	v_cvt_f32_i32_e32 v4, v2
.LBB14_928:
	s_cbranch_execnz .LBB14_934
.LBB14_929:
	s_sext_i32_i16 s4, s42
	s_cmp_gt_i32 s4, 0
	s_cbranch_scc0 .LBB14_931
; %bb.930:
	global_load_sbyte v2, v[0:1], off
	s_mov_b64 s[4:5], 0
	s_waitcnt vmcnt(0)
	v_cvt_f32_i32_e32 v4, v2
	s_branch .LBB14_932
.LBB14_931:
	s_mov_b64 s[4:5], -1
                                        ; implicit-def: $vgpr4
.LBB14_932:
	s_andn2_b64 vcc, exec, s[4:5]
	s_cbranch_vccnz .LBB14_934
; %bb.933:
	global_load_ubyte v0, v[0:1], off
	s_waitcnt vmcnt(0)
	v_cvt_f32_ubyte0_e32 v4, v0
.LBB14_934:
	s_or_b64 s[0:1], s[0:1], exec
.LBB14_935:
	s_or_b64 exec, exec, s[2:3]
	s_mov_b64 s[4:5], 0
	s_mov_b64 s[2:3], 0
                                        ; implicit-def: $sgpr26
                                        ; implicit-def: $vgpr2_vgpr3
                                        ; implicit-def: $vgpr0
	s_and_saveexec_b64 s[18:19], s[0:1]
	s_cbranch_execz .LBB14_963
; %bb.936:
	s_mov_b32 s0, 0x7f800000
	s_waitcnt vmcnt(0)
	v_cmp_neq_f32_e64 s[0:1], |v4|, s0
	v_mov_b32_e32 v0, 0
	s_and_saveexec_b64 s[22:23], s[0:1]
	s_cbranch_execz .LBB14_946
; %bb.937:
	v_cmp_nlt_f32_e64 s[0:1], |v4|, 0.5
                                        ; implicit-def: $vgpr0
	s_and_saveexec_b64 s[2:3], s[0:1]
	s_xor_b64 s[24:25], exec, s[2:3]
	s_cbranch_execz .LBB14_943
; %bb.938:
	s_brev_b32 s0, 18
	v_and_b32_e32 v0, 0x7fffffff, v4
	v_cmp_nlt_f32_e64 s[0:1], |v4|, s0
                                        ; implicit-def: $vgpr1
                                        ; implicit-def: $vgpr2
	s_and_saveexec_b64 s[2:3], s[0:1]
	s_xor_b64 s[26:27], exec, s[2:3]
	s_cbranch_execz .LBB14_940
; %bb.939:
	v_and_b32_e32 v1, 0x7fffff, v0
	v_or_b32_e32 v13, 0x800000, v1
	s_mov_b32 s0, 0xfe5163ab
	v_mad_u64_u32 v[1:2], s[0:1], v13, s0, 0
	v_mov_b32_e32 v3, 0
	s_mov_b32 s0, 0x3c439041
	v_mad_u64_u32 v[5:6], s[0:1], v13, s0, v[2:3]
	s_mov_b32 s0, 0xdb629599
	v_not_b32_e32 v14, 31
	v_mov_b32_e32 v2, v6
	v_mad_u64_u32 v[8:9], s[0:1], v13, s0, v[2:3]
	s_mov_b32 s0, 0xf534ddc0
	v_not_b32_e32 v6, 63
	v_mov_b32_e32 v2, v9
	v_mad_u64_u32 v[9:10], s[0:1], v13, s0, v[2:3]
	v_lshrrev_b32_e32 v2, 23, v0
	v_add_u32_e32 v12, 0xffffff88, v2
	v_mov_b32_e32 v2, v10
	s_mov_b32 s0, 0xfc2757d1
	v_mad_u64_u32 v[10:11], s[0:1], v13, s0, v[2:3]
	v_cmp_lt_u32_e32 vcc, 63, v12
	v_cndmask_b32_e32 v2, 0, v6, vcc
	v_add_u32_e32 v6, v2, v12
	v_mov_b32_e32 v2, v11
	s_mov_b32 s0, 0x4e441529
	v_mad_u64_u32 v[11:12], s[0:1], v13, s0, v[2:3]
	v_cmp_lt_u32_e64 s[0:1], 31, v6
	v_cndmask_b32_e64 v2, 0, v14, s[0:1]
	v_add_u32_e32 v6, v2, v6
	v_mov_b32_e32 v2, v12
	s_mov_b32 s2, 0xa2f9836e
	v_mad_u64_u32 v[2:3], s[2:3], v13, s2, v[2:3]
	v_cmp_lt_u32_e64 s[2:3], 31, v6
	v_cndmask_b32_e64 v12, 0, v14, s[2:3]
	v_add_u32_e32 v6, v12, v6
	v_cndmask_b32_e32 v12, v11, v9, vcc
	v_cndmask_b32_e32 v2, v2, v10, vcc
	;; [unrolled: 1-line block ×3, first 2 shown]
	v_cndmask_b32_e64 v13, v2, v12, s[0:1]
	v_cndmask_b32_e64 v2, v3, v2, s[0:1]
	v_cndmask_b32_e32 v3, v10, v8, vcc
	v_cndmask_b32_e64 v10, v12, v3, s[0:1]
	v_cndmask_b32_e64 v2, v2, v13, s[2:3]
	;; [unrolled: 1-line block ×3, first 2 shown]
	v_sub_u32_e32 v12, 32, v6
	v_alignbit_b32 v13, v2, v11, v12
	v_cmp_eq_u32_e64 s[4:5], 0, v6
	v_cndmask_b32_e64 v6, v13, v2, s[4:5]
	v_cndmask_b32_e32 v2, v9, v5, vcc
	v_cndmask_b32_e64 v3, v3, v2, s[0:1]
	v_cndmask_b32_e64 v5, v10, v3, s[2:3]
	v_alignbit_b32 v9, v11, v5, v12
	v_cndmask_b32_e32 v1, v8, v1, vcc
	v_cndmask_b32_e64 v9, v9, v11, s[4:5]
	v_bfe_u32 v13, v6, 29, 1
	v_cndmask_b32_e64 v1, v2, v1, s[0:1]
	v_alignbit_b32 v10, v6, v9, 30
	v_sub_u32_e32 v14, 0, v13
	v_cndmask_b32_e64 v1, v3, v1, s[2:3]
	v_xor_b32_e32 v10, v10, v14
	v_alignbit_b32 v2, v5, v1, v12
	v_cndmask_b32_e64 v2, v2, v5, s[4:5]
	v_ffbh_u32_e32 v5, v10
	v_alignbit_b32 v3, v9, v2, 30
	v_min_u32_e32 v5, 32, v5
	v_alignbit_b32 v1, v2, v1, 30
	v_xor_b32_e32 v3, v3, v14
	v_sub_u32_e32 v8, 31, v5
	v_xor_b32_e32 v1, v1, v14
	v_alignbit_b32 v9, v10, v3, v8
	v_alignbit_b32 v1, v3, v1, v8
	;; [unrolled: 1-line block ×3, first 2 shown]
	v_ffbh_u32_e32 v3, v2
	v_min_u32_e32 v3, 32, v3
	v_lshrrev_b32_e32 v11, 29, v6
	v_not_b32_e32 v8, v3
	v_alignbit_b32 v1, v2, v1, v8
	v_lshlrev_b32_e32 v2, 31, v11
	v_or_b32_e32 v8, 0x33000000, v2
	v_add_lshl_u32 v3, v3, v5, 23
	v_lshrrev_b32_e32 v1, 9, v1
	v_sub_u32_e32 v3, v8, v3
	v_or_b32_e32 v2, 0.5, v2
	v_lshlrev_b32_e32 v5, 23, v5
	v_or_b32_e32 v1, v3, v1
	v_lshrrev_b32_e32 v3, 9, v9
	v_sub_u32_e32 v2, v2, v5
	v_or_b32_e32 v2, v3, v2
	s_mov_b32 s0, 0x3fc90fda
	v_mul_f32_e32 v3, 0x3fc90fda, v2
	v_fma_f32 v5, v2, s0, -v3
	v_fmac_f32_e32 v5, 0x33a22168, v2
	v_fmac_f32_e32 v5, 0x3fc90fda, v1
	v_lshrrev_b32_e32 v1, 30, v6
	v_add_f32_e32 v2, v3, v5
	v_add_u32_e32 v1, v13, v1
.LBB14_940:
	s_andn2_saveexec_b64 s[0:1], s[26:27]
	s_cbranch_execz .LBB14_942
; %bb.941:
	s_mov_b32 s2, 0x3f22f983
	v_mul_f32_e64 v1, |v4|, s2
	v_rndne_f32_e32 v3, v1
	s_mov_b32 s2, 0xbfc90fda
	v_cvt_i32_f32_e32 v1, v3
	v_fma_f32 v2, v3, s2, |v4|
	v_fmac_f32_e32 v2, 0xb3a22168, v3
	v_fmac_f32_e32 v2, 0xa7c234c4, v3
.LBB14_942:
	s_or_b64 exec, exec, s[0:1]
	v_mul_f32_e32 v3, v2, v2
	v_mov_b32_e32 v5, 0x3c0881c4
	v_fmac_f32_e32 v5, 0xb94c1982, v3
	v_mov_b32_e32 v6, 0xbe2aaa9d
	v_fmac_f32_e32 v6, v3, v5
	v_mul_f32_e32 v5, v3, v6
	v_fmac_f32_e32 v2, v2, v5
	v_mov_b32_e32 v5, 0xbab64f3b
	v_fmac_f32_e32 v5, 0x37d75334, v3
	v_mov_b32_e32 v6, 0x3d2aabf7
	;; [unrolled: 2-line block ×3, first 2 shown]
	v_fmac_f32_e32 v5, v3, v6
	v_fma_f32 v3, v3, v5, 1.0
	v_and_b32_e32 v5, 1, v1
	v_lshlrev_b32_e32 v1, 30, v1
	v_cmp_eq_u32_e32 vcc, 0, v5
	v_and_b32_e32 v1, 0x80000000, v1
	v_xor_b32_e32 v0, v0, v4
	v_cndmask_b32_e32 v2, v3, v2, vcc
	v_xor_b32_e32 v0, v0, v1
	s_movk_i32 s0, 0x1f8
	v_xor_b32_e32 v0, v0, v2
	v_mov_b32_e32 v1, 0x7fc00000
	v_cmp_class_f32_e64 vcc, v4, s0
	v_cndmask_b32_e32 v0, v1, v0, vcc
	v_div_scale_f32 v1, s[0:1], v4, v4, v0
	v_div_scale_f32 v2, vcc, v0, v4, v0
	v_rcp_f32_e32 v3, v1
	v_fma_f32 v5, -v1, v3, 1.0
	v_fmac_f32_e32 v3, v5, v3
	v_mul_f32_e32 v5, v2, v3
	v_fma_f32 v6, -v1, v5, v2
	v_fmac_f32_e32 v5, v6, v3
	v_fma_f32 v1, -v1, v5, v2
	v_div_fmas_f32 v1, v1, v3, v5
	v_div_fixup_f32 v0, v1, v4, v0
                                        ; implicit-def: $vgpr4
.LBB14_943:
	s_andn2_saveexec_b64 s[0:1], s[24:25]
	s_cbranch_execz .LBB14_945
; %bb.944:
	v_mul_f32_e32 v0, v4, v4
	v_mov_b32_e32 v1, 0xb2d7322b
	v_fmac_f32_e32 v1, 0x2f309231, v0
	v_mov_b32_e32 v2, 0x3638ef1d
	v_fmac_f32_e32 v2, v0, v1
	;; [unrolled: 2-line block ×5, first 2 shown]
	v_fma_f32 v0, v0, v1, 1.0
.LBB14_945:
	s_or_b64 exec, exec, s[0:1]
.LBB14_946:
	s_or_b64 exec, exec, s[22:23]
	v_mul_lo_u32 v1, v7, s12
	v_mov_b32_e32 v3, s9
	s_and_b32 s26, s33, 0xff
	s_cmp_lt_i32 s26, 11
	v_ashrrev_i32_e32 v4, 31, v1
	v_add_co_u32_e32 v2, vcc, s8, v1
	v_addc_co_u32_e32 v3, vcc, v3, v4, vcc
	s_cbranch_scc1 .LBB14_966
; %bb.947:
	s_and_b32 s27, 0xffff, s26
	s_mov_b64 s[4:5], -1
	s_cmp_gt_i32 s27, 25
	s_mov_b64 s[0:1], s[16:17]
	s_cbranch_scc0 .LBB14_984
; %bb.948:
	s_mov_b64 s[2:3], -1
	s_cmp_gt_i32 s27, 28
	s_mov_b64 s[0:1], s[16:17]
	s_cbranch_scc0 .LBB14_968
; %bb.949:
	s_cmp_gt_i32 s27, 43
	s_mov_b64 s[0:1], s[16:17]
	s_cbranch_scc0 .LBB14_960
; %bb.950:
	;; [unrolled: 4-line block ×3, first 2 shown]
	s_cmp_eq_u32 s27, 46
	s_mov_b64 s[0:1], -1
	s_cbranch_scc0 .LBB14_953
; %bb.952:
	v_bfe_u32 v1, v0, 16, 1
	s_movk_i32 s0, 0x7fff
	v_add3_u32 v1, v0, v1, s0
	v_cmp_o_f32_e32 vcc, v0, v0
	v_mov_b32_e32 v4, 0x7fc0
	v_cndmask_b32_sdwa v1, v4, v1, vcc dst_sel:DWORD dst_unused:UNUSED_PAD src0_sel:DWORD src1_sel:WORD_1
	global_store_dword v[2:3], v1, off
	s_mov_b64 s[0:1], 0
.LBB14_953:
	s_mov_b64 s[2:3], 0
.LBB14_954:
	s_and_b64 vcc, exec, s[2:3]
	s_cbranch_vccz .LBB14_959
; %bb.955:
	s_cmp_eq_u32 s27, 44
	s_mov_b64 s[0:1], -1
	s_cbranch_scc0 .LBB14_959
; %bb.956:
	v_bfe_u32 v1, v0, 23, 8
	s_movk_i32 s0, 0xff
	v_cmp_ne_u32_e32 vcc, s0, v1
	v_mov_b32_e32 v4, 0xff
	s_and_saveexec_b64 s[2:3], vcc
; %bb.957:
	s_mov_b32 s0, 0x3fffff
	v_and_b32_e32 v5, 0x400000, v0
	v_and_or_b32 v1, v0, s0, v1
	v_cmp_ne_u32_e32 vcc, 0, v5
	v_cmp_ne_u32_e64 s[0:1], 0, v1
	s_and_b64 s[0:1], vcc, s[0:1]
	v_lshrrev_b32_e32 v4, 23, v0
	v_cndmask_b32_e64 v1, 0, 1, s[0:1]
	v_add_u32_e32 v4, v4, v1
; %bb.958:
	s_or_b64 exec, exec, s[2:3]
	s_mov_b64 s[0:1], 0
	global_store_byte v[2:3], v4, off
.LBB14_959:
	s_mov_b64 s[2:3], 0
.LBB14_960:
	s_and_b64 vcc, exec, s[2:3]
	s_cbranch_vccz .LBB14_967
; %bb.961:
	s_cmp_eq_u32 s27, 29
	s_mov_b64 s[0:1], -1
	s_cbranch_scc0 .LBB14_967
; %bb.962:
	v_trunc_f32_e32 v1, v0
	v_mul_f32_e32 v4, 0x2f800000, v1
	v_floor_f32_e32 v4, v4
	v_fmac_f32_e32 v1, 0xcf800000, v4
	v_cvt_u32_f32_e32 v5, v4
	v_cvt_u32_f32_e32 v4, v1
	s_mov_b64 s[0:1], 0
	s_mov_b64 s[2:3], 0
	global_store_dwordx2 v[2:3], v[4:5], off
	s_branch .LBB14_968
.LBB14_963:
	s_or_b64 exec, exec, s[18:19]
	s_and_saveexec_b64 s[0:1], s[16:17]
	s_cbranch_execnz .LBB14_1026
.LBB14_964:
	s_or_b64 exec, exec, s[0:1]
	s_and_saveexec_b64 s[0:1], s[4:5]
	s_xor_b64 s[0:1], exec, s[0:1]
	s_cbranch_execz .LBB14_1027
.LBB14_965:
	v_cmp_neq_f32_e32 vcc, 0, v0
	v_cndmask_b32_e64 v1, 0, 1, vcc
	s_waitcnt vmcnt(0)
	global_store_byte v[2:3], v1, off
	s_or_b64 exec, exec, s[0:1]
	s_and_saveexec_b64 s[0:1], s[2:3]
	s_xor_b64 s[0:1], exec, s[0:1]
	s_cbranch_execz .LBB14_1065
	s_branch .LBB14_1028
.LBB14_966:
	s_mov_b64 s[4:5], 0
	s_mov_b64 s[2:3], -1
	s_mov_b64 s[0:1], s[16:17]
	s_branch .LBB14_1025
.LBB14_967:
	s_mov_b64 s[2:3], 0
.LBB14_968:
	s_and_b64 vcc, exec, s[2:3]
	s_cbranch_vccz .LBB14_983
; %bb.969:
	s_cmp_lt_i32 s27, 27
	s_mov_b64 s[2:3], -1
	s_cbranch_scc1 .LBB14_975
; %bb.970:
	v_cvt_u32_f32_e32 v1, v0
	s_cmp_gt_i32 s27, 27
	s_cbranch_scc0 .LBB14_972
; %bb.971:
	s_mov_b64 s[2:3], 0
	global_store_dword v[2:3], v1, off
.LBB14_972:
	s_andn2_b64 vcc, exec, s[2:3]
	s_cbranch_vccnz .LBB14_974
; %bb.973:
	global_store_short v[2:3], v1, off
.LBB14_974:
	s_mov_b64 s[2:3], 0
.LBB14_975:
	s_andn2_b64 vcc, exec, s[2:3]
	s_cbranch_vccnz .LBB14_983
; %bb.976:
	v_and_b32_e32 v1, 0x7fffffff, v0
	s_mov_b32 s2, 0x43800000
	v_cmp_gt_u32_e32 vcc, s2, v1
	v_mov_b32_e32 v4, 0x80
	s_and_saveexec_b64 s[2:3], vcc
	s_cbranch_execz .LBB14_982
; %bb.977:
	s_mov_b32 s4, 0x3bffffff
	v_cmp_lt_u32_e32 vcc, s4, v1
	s_mov_b64 s[4:5], 0
                                        ; implicit-def: $vgpr1
	s_and_saveexec_b64 s[22:23], vcc
	s_xor_b64 s[22:23], exec, s[22:23]
	s_cbranch_execz .LBB14_1080
; %bb.978:
	v_bfe_u32 v1, v0, 20, 1
	s_mov_b32 s24, 0x487ffff
	v_add3_u32 v1, v0, v1, s24
	s_mov_b64 s[4:5], exec
	v_lshrrev_b32_e32 v1, 20, v1
	s_andn2_saveexec_b64 s[22:23], s[22:23]
	s_cbranch_execnz .LBB14_1081
.LBB14_979:
	s_or_b64 exec, exec, s[22:23]
	v_mov_b32_e32 v4, 0
	s_and_saveexec_b64 s[22:23], s[4:5]
.LBB14_980:
	v_lshrrev_b32_e32 v4, 24, v0
	s_movk_i32 s4, 0x80
	v_and_or_b32 v4, v4, s4, v1
.LBB14_981:
	s_or_b64 exec, exec, s[22:23]
.LBB14_982:
	s_or_b64 exec, exec, s[2:3]
	global_store_byte v[2:3], v4, off
.LBB14_983:
	s_mov_b64 s[4:5], 0
.LBB14_984:
	s_mov_b64 s[2:3], 0
	s_and_b64 vcc, exec, s[4:5]
	s_cbranch_vccz .LBB14_1024
; %bb.985:
	s_cmp_gt_i32 s27, 22
	s_mov_b64 s[4:5], -1
	s_cbranch_scc0 .LBB14_1017
; %bb.986:
	s_cmp_lt_i32 s27, 24
	s_cbranch_scc1 .LBB14_1006
; %bb.987:
	s_cmp_gt_i32 s27, 24
	s_cbranch_scc0 .LBB14_995
; %bb.988:
	v_and_b32_e32 v1, 0x7fffffff, v0
	s_mov_b32 s4, 0x47800000
	v_cmp_gt_u32_e32 vcc, s4, v1
	v_mov_b32_e32 v4, 0x80
	s_and_saveexec_b64 s[4:5], vcc
	s_cbranch_execz .LBB14_994
; %bb.989:
	s_mov_b32 s22, 0x37ffffff
	v_cmp_lt_u32_e32 vcc, s22, v1
	s_mov_b64 s[22:23], 0
                                        ; implicit-def: $vgpr1
	s_and_saveexec_b64 s[24:25], vcc
	s_xor_b64 s[24:25], exec, s[24:25]
	s_cbranch_execz .LBB14_1215
; %bb.990:
	v_bfe_u32 v1, v0, 21, 1
	s_mov_b32 s28, 0x88fffff
	v_add3_u32 v1, v0, v1, s28
	s_mov_b64 s[22:23], exec
	v_lshrrev_b32_e32 v1, 21, v1
	s_andn2_saveexec_b64 s[24:25], s[24:25]
	s_cbranch_execnz .LBB14_1216
.LBB14_991:
	s_or_b64 exec, exec, s[24:25]
	v_mov_b32_e32 v4, 0
	s_and_saveexec_b64 s[24:25], s[22:23]
.LBB14_992:
	v_lshrrev_b32_e32 v4, 24, v0
	s_movk_i32 s22, 0x80
	v_and_or_b32 v4, v4, s22, v1
.LBB14_993:
	s_or_b64 exec, exec, s[24:25]
.LBB14_994:
	s_or_b64 exec, exec, s[4:5]
	s_mov_b64 s[4:5], 0
	global_store_byte v[2:3], v4, off
.LBB14_995:
	s_and_b64 vcc, exec, s[4:5]
	s_cbranch_vccz .LBB14_1005
; %bb.996:
	v_and_b32_e32 v4, 0x7fffffff, v0
	s_mov_b32 s4, 0x43f00000
	v_cmp_gt_u32_e32 vcc, s4, v4
                                        ; implicit-def: $vgpr1
	s_and_saveexec_b64 s[4:5], vcc
	s_xor_b64 s[4:5], exec, s[4:5]
	s_cbranch_execz .LBB14_1002
; %bb.997:
	s_mov_b32 s22, 0x3c7fffff
	v_cmp_lt_u32_e32 vcc, s22, v4
                                        ; implicit-def: $vgpr1
	s_and_saveexec_b64 s[22:23], vcc
	s_xor_b64 s[22:23], exec, s[22:23]
; %bb.998:
	v_bfe_u32 v1, v0, 20, 1
	s_mov_b32 s24, 0x407ffff
	v_add3_u32 v1, v0, v1, s24
	v_lshrrev_b32_e32 v4, 20, v1
	v_and_b32_e32 v1, 0xff00000, v1
	s_mov_b32 s24, 0x7f00000
	v_mov_b32_e32 v5, 0x7e
	v_cmp_ne_u32_e32 vcc, s24, v1
	v_cndmask_b32_e32 v1, v5, v4, vcc
; %bb.999:
	s_andn2_saveexec_b64 s[22:23], s[22:23]
; %bb.1000:
	s_mov_b32 s24, 0x46800000
	v_add_f32_e64 v1, |v0|, s24
; %bb.1001:
	s_or_b64 exec, exec, s[22:23]
                                        ; implicit-def: $vgpr4
.LBB14_1002:
	s_andn2_saveexec_b64 s[4:5], s[4:5]
; %bb.1003:
	s_mov_b32 s22, 0x7f800000
	v_mov_b32_e32 v1, 0x7e
	v_mov_b32_e32 v5, 0x7f
	v_cmp_lt_u32_e32 vcc, s22, v4
	v_cndmask_b32_e32 v1, v1, v5, vcc
; %bb.1004:
	s_or_b64 exec, exec, s[4:5]
	v_lshrrev_b32_e32 v4, 24, v0
	s_movk_i32 s4, 0x80
	v_and_or_b32 v1, v4, s4, v1
	global_store_byte v[2:3], v1, off
.LBB14_1005:
	s_mov_b64 s[4:5], 0
.LBB14_1006:
	s_andn2_b64 vcc, exec, s[4:5]
	s_cbranch_vccnz .LBB14_1016
; %bb.1007:
	v_and_b32_e32 v4, 0x7fffffff, v0
	s_mov_b32 s4, 0x47800000
	v_cmp_gt_u32_e32 vcc, s4, v4
                                        ; implicit-def: $vgpr1
	s_and_saveexec_b64 s[4:5], vcc
	s_xor_b64 s[4:5], exec, s[4:5]
	s_cbranch_execz .LBB14_1013
; %bb.1008:
	s_mov_b32 s22, 0x387fffff
	v_cmp_lt_u32_e32 vcc, s22, v4
                                        ; implicit-def: $vgpr1
	s_and_saveexec_b64 s[22:23], vcc
	s_xor_b64 s[22:23], exec, s[22:23]
; %bb.1009:
	v_bfe_u32 v1, v0, 21, 1
	s_mov_b32 s24, 0x80fffff
	v_add3_u32 v1, v0, v1, s24
	v_lshrrev_b32_e32 v1, 21, v1
; %bb.1010:
	s_andn2_saveexec_b64 s[22:23], s[22:23]
; %bb.1011:
	s_mov_b32 s24, 0x43000000
	v_add_f32_e64 v1, |v0|, s24
; %bb.1012:
	s_or_b64 exec, exec, s[22:23]
                                        ; implicit-def: $vgpr4
.LBB14_1013:
	s_andn2_saveexec_b64 s[4:5], s[4:5]
; %bb.1014:
	s_mov_b32 s22, 0x7f800000
	v_mov_b32_e32 v1, 0x7c
	v_mov_b32_e32 v5, 0x7f
	v_cmp_lt_u32_e32 vcc, s22, v4
	v_cndmask_b32_e32 v1, v1, v5, vcc
; %bb.1015:
	s_or_b64 exec, exec, s[4:5]
	v_lshrrev_b32_e32 v4, 24, v0
	s_movk_i32 s4, 0x80
	v_and_or_b32 v1, v4, s4, v1
	global_store_byte v[2:3], v1, off
.LBB14_1016:
	s_mov_b64 s[4:5], 0
.LBB14_1017:
	s_andn2_b64 vcc, exec, s[4:5]
	s_mov_b64 s[4:5], 0
	s_cbranch_vccnz .LBB14_1025
; %bb.1018:
	s_cmp_gt_i32 s27, 14
	s_mov_b64 s[22:23], -1
	s_cbranch_scc0 .LBB14_1022
; %bb.1019:
	s_cmp_eq_u32 s27, 15
	s_mov_b64 s[0:1], -1
	s_cbranch_scc0 .LBB14_1021
; %bb.1020:
	v_bfe_u32 v1, v0, 16, 1
	s_movk_i32 s0, 0x7fff
	v_add3_u32 v1, v0, v1, s0
	v_cmp_o_f32_e32 vcc, v0, v0
	v_mov_b32_e32 v4, 0x7fc0
	v_cndmask_b32_sdwa v1, v4, v1, vcc dst_sel:DWORD dst_unused:UNUSED_PAD src0_sel:DWORD src1_sel:WORD_1
	global_store_short v[2:3], v1, off
	s_mov_b64 s[0:1], 0
.LBB14_1021:
	s_mov_b64 s[22:23], 0
.LBB14_1022:
	s_and_b64 vcc, exec, s[22:23]
	s_cbranch_vccz .LBB14_1025
; %bb.1023:
	s_cmp_lg_u32 s27, 11
	s_cselect_b64 s[22:23], -1, 0
	s_andn2_b64 s[0:1], s[0:1], exec
	s_and_b64 s[22:23], s[22:23], exec
	s_mov_b64 s[4:5], -1
	s_or_b64 s[0:1], s[0:1], s[22:23]
	s_branch .LBB14_1025
.LBB14_1024:
	s_mov_b64 s[4:5], 0
.LBB14_1025:
	s_andn2_b64 s[16:17], s[16:17], exec
	s_and_b64 s[0:1], s[0:1], exec
	s_and_b64 s[2:3], s[2:3], exec
	;; [unrolled: 1-line block ×3, first 2 shown]
	s_or_b64 s[16:17], s[16:17], s[0:1]
	s_or_b64 exec, exec, s[18:19]
	s_and_saveexec_b64 s[0:1], s[16:17]
	s_cbranch_execz .LBB14_964
.LBB14_1026:
	s_or_b64 s[20:21], s[20:21], exec
	s_andn2_b64 s[4:5], s[4:5], exec
	s_trap 2
	s_or_b64 exec, exec, s[0:1]
	s_and_saveexec_b64 s[0:1], s[4:5]
	s_xor_b64 s[0:1], exec, s[0:1]
	s_cbranch_execnz .LBB14_965
.LBB14_1027:
	s_or_b64 exec, exec, s[0:1]
	s_and_saveexec_b64 s[0:1], s[2:3]
	s_xor_b64 s[0:1], exec, s[0:1]
	s_cbranch_execz .LBB14_1065
.LBB14_1028:
	s_sext_i32_i16 s4, s26
	s_cmp_lt_i32 s4, 5
	s_mov_b64 s[2:3], -1
	s_cbranch_scc1 .LBB14_1049
; %bb.1029:
	s_cmp_lt_i32 s4, 8
	s_cbranch_scc1 .LBB14_1039
; %bb.1030:
	s_cmp_lt_i32 s4, 9
	s_cbranch_scc1 .LBB14_1036
; %bb.1031:
	s_cmp_gt_i32 s4, 9
	s_cbranch_scc0 .LBB14_1033
; %bb.1032:
	s_waitcnt vmcnt(0)
	v_cvt_f64_f32_e32 v[4:5], v0
	v_mov_b32_e32 v6, 0
	v_mov_b32_e32 v7, v6
	s_mov_b64 s[2:3], 0
	global_store_dwordx4 v[2:3], v[4:7], off
.LBB14_1033:
	s_andn2_b64 vcc, exec, s[2:3]
	s_cbranch_vccnz .LBB14_1035
; %bb.1034:
	v_mov_b32_e32 v1, 0
	s_waitcnt vmcnt(0)
	global_store_dwordx2 v[2:3], v[0:1], off
.LBB14_1035:
	s_mov_b64 s[2:3], 0
.LBB14_1036:
	s_andn2_b64 vcc, exec, s[2:3]
	s_cbranch_vccnz .LBB14_1038
; %bb.1037:
	v_cvt_f16_f32_e32 v1, v0
	s_waitcnt vmcnt(0)
	global_store_dword v[2:3], v1, off
.LBB14_1038:
	s_mov_b64 s[2:3], 0
.LBB14_1039:
	s_andn2_b64 vcc, exec, s[2:3]
	s_cbranch_vccnz .LBB14_1048
; %bb.1040:
	s_sext_i32_i16 s4, s26
	s_cmp_lt_i32 s4, 6
	s_mov_b64 s[2:3], -1
	s_cbranch_scc1 .LBB14_1046
; %bb.1041:
	s_cmp_gt_i32 s4, 6
	s_cbranch_scc0 .LBB14_1043
; %bb.1042:
	s_waitcnt vmcnt(0)
	v_cvt_f64_f32_e32 v[4:5], v0
	s_mov_b64 s[2:3], 0
	global_store_dwordx2 v[2:3], v[4:5], off
.LBB14_1043:
	s_andn2_b64 vcc, exec, s[2:3]
	s_cbranch_vccnz .LBB14_1045
; %bb.1044:
	s_waitcnt vmcnt(0)
	global_store_dword v[2:3], v0, off
.LBB14_1045:
	s_mov_b64 s[2:3], 0
.LBB14_1046:
	s_andn2_b64 vcc, exec, s[2:3]
	s_cbranch_vccnz .LBB14_1048
; %bb.1047:
	v_cvt_f16_f32_e32 v1, v0
	s_waitcnt vmcnt(0)
	global_store_short v[2:3], v1, off
.LBB14_1048:
	s_mov_b64 s[2:3], 0
.LBB14_1049:
	s_andn2_b64 vcc, exec, s[2:3]
	s_cbranch_vccnz .LBB14_1065
; %bb.1050:
	s_sext_i32_i16 s4, s26
	s_cmp_lt_i32 s4, 2
	s_mov_b64 s[2:3], -1
	s_cbranch_scc1 .LBB14_1060
; %bb.1051:
	s_cmp_lt_i32 s4, 3
	s_cbranch_scc1 .LBB14_1057
; %bb.1052:
	s_cmp_gt_i32 s4, 3
	s_cbranch_scc0 .LBB14_1054
; %bb.1053:
	v_trunc_f32_e32 v1, v0
	s_mov_b32 s2, 0x2f800000
	s_waitcnt vmcnt(0)
	v_mul_f32_e64 v4, |v1|, s2
	v_floor_f32_e32 v4, v4
	s_mov_b32 s2, 0xcf800000
	v_cvt_u32_f32_e32 v5, v4
	v_fma_f32 v4, v4, s2, |v1|
	v_cvt_u32_f32_e32 v4, v4
	v_ashrrev_i32_e32 v1, 31, v1
	v_xor_b32_e32 v5, v5, v1
	s_mov_b64 s[2:3], 0
	v_xor_b32_e32 v4, v4, v1
	v_sub_co_u32_e32 v4, vcc, v4, v1
	v_subb_co_u32_e32 v5, vcc, v5, v1, vcc
	global_store_dwordx2 v[2:3], v[4:5], off
.LBB14_1054:
	s_andn2_b64 vcc, exec, s[2:3]
	s_cbranch_vccnz .LBB14_1056
; %bb.1055:
	v_cvt_i32_f32_e32 v1, v0
	s_waitcnt vmcnt(0)
	global_store_dword v[2:3], v1, off
.LBB14_1056:
	s_mov_b64 s[2:3], 0
.LBB14_1057:
	s_andn2_b64 vcc, exec, s[2:3]
	s_cbranch_vccnz .LBB14_1059
; %bb.1058:
	v_cvt_i32_f32_e32 v1, v0
	s_waitcnt vmcnt(0)
	global_store_short v[2:3], v1, off
.LBB14_1059:
	s_mov_b64 s[2:3], 0
.LBB14_1060:
	s_andn2_b64 vcc, exec, s[2:3]
	s_cbranch_vccnz .LBB14_1065
; %bb.1061:
	s_sext_i32_i16 s2, s26
	s_cmp_gt_i32 s2, 0
	s_mov_b64 s[2:3], -1
	s_cbranch_scc0 .LBB14_1063
; %bb.1062:
	v_cvt_i32_f32_e32 v1, v0
	s_mov_b64 s[2:3], 0
	s_waitcnt vmcnt(0)
	global_store_byte v[2:3], v1, off
.LBB14_1063:
	s_andn2_b64 vcc, exec, s[2:3]
	s_cbranch_vccnz .LBB14_1065
; %bb.1064:
	v_trunc_f32_e32 v0, v0
	s_mov_b32 s2, 0x2f800000
	v_mul_f32_e64 v1, |v0|, s2
	v_floor_f32_e32 v1, v1
	s_mov_b32 s2, 0xcf800000
	v_fma_f32 v1, v1, s2, |v0|
	v_cvt_u32_f32_e32 v1, v1
	v_ashrrev_i32_e32 v0, 31, v0
	v_xor_b32_e32 v1, v1, v0
	v_sub_u32_e32 v0, v1, v0
	s_waitcnt vmcnt(0)
	global_store_byte v[2:3], v0, off
.LBB14_1065:
	s_or_b64 exec, exec, s[0:1]
	s_and_b64 s[16:17], s[20:21], exec
                                        ; implicit-def: $vgpr7
.LBB14_1066:
	s_or_saveexec_b64 s[6:7], s[6:7]
	s_mov_b64 s[0:1], 0
                                        ; implicit-def: $sgpr20
                                        ; implicit-def: $vgpr0_vgpr1
                                        ; implicit-def: $vgpr6
	s_xor_b64 exec, exec, s[6:7]
	s_cbranch_execz .LBB14_1700
; %bb.1067:
	s_waitcnt vmcnt(0)
	v_mul_lo_u32 v2, s13, v7
	v_mov_b32_e32 v1, s11
	s_and_b32 s24, 0xffff, s42
	s_cmp_lt_i32 s24, 11
	v_ashrrev_i32_e32 v3, 31, v2
	v_add_co_u32_e32 v0, vcc, s10, v2
	v_addc_co_u32_e32 v1, vcc, v1, v3, vcc
	s_cbranch_scc1 .LBB14_1074
; %bb.1068:
	s_cmp_gt_i32 s24, 25
	s_mov_b64 s[2:3], 0
	s_cbranch_scc0 .LBB14_1076
; %bb.1069:
	s_cmp_gt_i32 s24, 28
	s_cbranch_scc0 .LBB14_1077
; %bb.1070:
	s_cmp_gt_i32 s24, 43
	;; [unrolled: 3-line block ×3, first 2 shown]
	s_cbranch_scc0 .LBB14_1079
; %bb.1072:
	s_cmp_eq_u32 s24, 46
	s_cbranch_scc0 .LBB14_1082
; %bb.1073:
	global_load_dword v3, v[0:1], off
	s_mov_b64 s[4:5], -1
	s_waitcnt vmcnt(0)
	v_lshlrev_b32_e32 v3, 16, v3
	s_branch .LBB14_1083
.LBB14_1074:
	s_mov_b64 s[4:5], 0
                                        ; implicit-def: $vgpr3
	s_mov_b64 s[18:19], s[16:17]
	s_cbranch_execnz .LBB14_1146
.LBB14_1075:
	s_andn2_b64 vcc, exec, s[4:5]
	s_cbranch_vccz .LBB14_1191
	s_branch .LBB14_1697
.LBB14_1076:
	s_mov_b64 s[4:5], 0
                                        ; implicit-def: $vgpr3
	s_cbranch_execnz .LBB14_1111
	s_branch .LBB14_1142
.LBB14_1077:
	s_mov_b64 s[14:15], -1
	s_mov_b64 s[4:5], 0
                                        ; implicit-def: $vgpr3
	s_branch .LBB14_1092
.LBB14_1078:
	s_mov_b64 s[4:5], 0
                                        ; implicit-def: $vgpr3
	s_cbranch_execnz .LBB14_1088
	s_branch .LBB14_1091
.LBB14_1079:
	s_mov_b64 s[14:15], -1
	s_mov_b64 s[4:5], 0
                                        ; implicit-def: $vgpr3
	s_branch .LBB14_1083
.LBB14_1080:
	s_andn2_saveexec_b64 s[22:23], s[22:23]
	s_cbranch_execz .LBB14_979
.LBB14_1081:
	s_mov_b32 s24, 0x46000000
	v_add_f32_e64 v1, |v0|, s24
	v_and_b32_e32 v1, 0xff, v1
	v_cmp_ne_u32_e32 vcc, 0, v1
	s_andn2_b64 s[4:5], s[4:5], exec
	s_and_b64 s[24:25], vcc, exec
	s_or_b64 s[4:5], s[4:5], s[24:25]
	s_or_b64 exec, exec, s[22:23]
	v_mov_b32_e32 v4, 0
	s_and_saveexec_b64 s[22:23], s[4:5]
	s_cbranch_execnz .LBB14_980
	s_branch .LBB14_981
.LBB14_1082:
	s_mov_b64 s[0:1], -1
                                        ; implicit-def: $vgpr3
	s_mov_b64 s[4:5], 0
.LBB14_1083:
	s_and_b64 vcc, exec, s[14:15]
	s_cbranch_vccz .LBB14_1086
; %bb.1084:
	s_cmp_eq_u32 s24, 44
	s_cbranch_scc0 .LBB14_1087
; %bb.1085:
	global_load_ubyte v3, v[0:1], off
	s_movk_i32 s4, 0xff
	v_mov_b32_e32 v4, 0x7f800001
	v_mov_b32_e32 v5, 0x400000
	s_mov_b64 s[0:1], 0
	s_waitcnt vmcnt(0)
	v_lshlrev_b32_e32 v6, 23, v3
	v_cmp_ne_u32_e32 vcc, s4, v3
	v_cndmask_b32_e32 v4, v4, v6, vcc
	v_cmp_ne_u32_e32 vcc, 0, v3
	v_cndmask_b32_e32 v3, v5, v4, vcc
	s_mov_b64 s[4:5], -1
.LBB14_1086:
	s_branch .LBB14_1091
.LBB14_1087:
	s_mov_b64 s[0:1], -1
                                        ; implicit-def: $vgpr3
	s_branch .LBB14_1091
.LBB14_1088:
	s_cmp_eq_u32 s24, 29
	s_cbranch_scc0 .LBB14_1090
; %bb.1089:
	global_load_dwordx2 v[3:4], v[0:1], off
	s_mov_b64 s[0:1], 0
	s_mov_b64 s[4:5], -1
	s_mov_b64 s[14:15], 0
	s_waitcnt vmcnt(0)
	v_ffbh_u32_e32 v5, v4
	v_min_u32_e32 v5, 32, v5
	v_lshlrev_b64 v[3:4], v5, v[3:4]
	v_min_u32_e32 v3, 1, v3
	v_or_b32_e32 v3, v4, v3
	v_cvt_f32_u32_e32 v3, v3
	v_sub_u32_e32 v4, 32, v5
	v_ldexp_f32 v3, v3, v4
	s_branch .LBB14_1092
.LBB14_1090:
	s_mov_b64 s[0:1], -1
                                        ; implicit-def: $vgpr3
.LBB14_1091:
	s_mov_b64 s[14:15], 0
.LBB14_1092:
	s_and_b64 vcc, exec, s[14:15]
	s_cbranch_vccz .LBB14_1110
; %bb.1093:
	s_cmp_lt_i32 s24, 27
	s_cbranch_scc1 .LBB14_1096
; %bb.1094:
	s_cmp_gt_i32 s24, 27
	s_cbranch_scc0 .LBB14_1097
; %bb.1095:
	global_load_dword v3, v[0:1], off
	s_mov_b64 s[4:5], 0
	s_waitcnt vmcnt(0)
	v_cvt_f32_u32_e32 v3, v3
	s_branch .LBB14_1098
.LBB14_1096:
	s_mov_b64 s[4:5], -1
                                        ; implicit-def: $vgpr3
	s_branch .LBB14_1101
.LBB14_1097:
	s_mov_b64 s[4:5], -1
                                        ; implicit-def: $vgpr3
.LBB14_1098:
	s_andn2_b64 vcc, exec, s[4:5]
	s_cbranch_vccnz .LBB14_1100
; %bb.1099:
	global_load_ushort v3, v[0:1], off
	s_waitcnt vmcnt(0)
	v_cvt_f32_u32_e32 v3, v3
.LBB14_1100:
	s_mov_b64 s[4:5], 0
.LBB14_1101:
	s_andn2_b64 vcc, exec, s[4:5]
	s_cbranch_vccnz .LBB14_1109
; %bb.1102:
	global_load_ubyte v4, v[0:1], off
	s_movk_i32 s4, 0x7f
	s_waitcnt vmcnt(0)
	v_cmp_lt_i16_e32 vcc, s4, v4
	s_mov_b64 s[4:5], 0
	s_and_saveexec_b64 s[14:15], vcc
	s_xor_b64 s[14:15], exec, s[14:15]
	s_cbranch_execz .LBB14_1122
; %bb.1103:
	s_movk_i32 s4, 0x80
	v_cmp_eq_u16_e32 vcc, s4, v4
	s_mov_b64 s[4:5], -1
	s_and_saveexec_b64 s[18:19], vcc
; %bb.1104:
	s_xor_b64 s[4:5], exec, -1
; %bb.1105:
	s_or_b64 exec, exec, s[18:19]
	s_and_b64 s[4:5], s[4:5], exec
	s_or_saveexec_b64 s[14:15], s[14:15]
	v_mov_b32_e32 v3, 0x7f800001
	s_xor_b64 exec, exec, s[14:15]
	s_cbranch_execnz .LBB14_1123
.LBB14_1106:
	s_or_b64 exec, exec, s[14:15]
	s_and_saveexec_b64 s[14:15], s[4:5]
	s_cbranch_execz .LBB14_1108
.LBB14_1107:
	v_lshlrev_b32_e32 v3, 24, v4
	v_and_b32_e32 v4, 0xffff, v4
	v_and_b32_e32 v5, 7, v4
	v_ffbh_u32_e32 v8, v5
	v_min_u32_e32 v8, 32, v8
	v_subrev_u32_e32 v9, 28, v8
	v_bfe_u32 v6, v4, 3, 4
	v_lshlrev_b32_e32 v4, v9, v4
	v_sub_u32_e32 v8, 29, v8
	v_and_b32_e32 v4, 7, v4
	v_cmp_eq_u32_e32 vcc, 0, v6
	v_cndmask_b32_e32 v6, v6, v8, vcc
	v_cndmask_b32_e32 v4, v5, v4, vcc
	v_mov_b32_e32 v5, 0x3b800000
	v_lshlrev_b32_e32 v4, 20, v4
	v_and_b32_e32 v3, 0x80000000, v3
	v_lshl_add_u32 v5, v6, 23, v5
	v_or3_b32 v3, v3, v5, v4
.LBB14_1108:
	s_or_b64 exec, exec, s[14:15]
.LBB14_1109:
	s_mov_b64 s[4:5], -1
.LBB14_1110:
	s_branch .LBB14_1142
.LBB14_1111:
	s_cmp_gt_i32 s24, 22
	s_cbranch_scc0 .LBB14_1121
; %bb.1112:
	s_cmp_lt_i32 s24, 24
	s_cbranch_scc1 .LBB14_1124
; %bb.1113:
	s_cmp_gt_i32 s24, 24
	s_cbranch_scc0 .LBB14_1125
; %bb.1114:
	global_load_ubyte v4, v[0:1], off
	s_movk_i32 s2, 0x7f
	s_waitcnt vmcnt(0)
	v_cmp_lt_i16_e32 vcc, s2, v4
	s_mov_b64 s[2:3], 0
	s_and_saveexec_b64 s[4:5], vcc
	s_xor_b64 s[4:5], exec, s[4:5]
	s_cbranch_execz .LBB14_1136
; %bb.1115:
	s_movk_i32 s2, 0x80
	v_cmp_eq_u16_e32 vcc, s2, v4
	s_mov_b64 s[2:3], -1
	s_and_saveexec_b64 s[14:15], vcc
; %bb.1116:
	s_xor_b64 s[2:3], exec, -1
; %bb.1117:
	s_or_b64 exec, exec, s[14:15]
	s_and_b64 s[2:3], s[2:3], exec
	s_or_saveexec_b64 s[4:5], s[4:5]
	v_mov_b32_e32 v3, 0x7f800001
	s_xor_b64 exec, exec, s[4:5]
	s_cbranch_execnz .LBB14_1137
.LBB14_1118:
	s_or_b64 exec, exec, s[4:5]
	s_and_saveexec_b64 s[4:5], s[2:3]
	s_cbranch_execz .LBB14_1120
.LBB14_1119:
	v_lshlrev_b32_e32 v3, 24, v4
	v_and_b32_e32 v4, 0xffff, v4
	v_and_b32_e32 v5, 3, v4
	v_ffbh_u32_e32 v8, v5
	v_min_u32_e32 v8, 32, v8
	v_subrev_u32_e32 v9, 29, v8
	v_bfe_u32 v6, v4, 2, 5
	v_lshlrev_b32_e32 v4, v9, v4
	v_sub_u32_e32 v8, 30, v8
	v_and_b32_e32 v4, 3, v4
	v_cmp_eq_u32_e32 vcc, 0, v6
	v_cndmask_b32_e32 v6, v6, v8, vcc
	v_cndmask_b32_e32 v4, v5, v4, vcc
	v_mov_b32_e32 v5, 0x37800000
	v_lshlrev_b32_e32 v4, 21, v4
	v_and_b32_e32 v3, 0x80000000, v3
	v_lshl_add_u32 v5, v6, 23, v5
	v_or3_b32 v3, v3, v5, v4
.LBB14_1120:
	s_or_b64 exec, exec, s[4:5]
	s_mov_b64 s[2:3], 0
	s_branch .LBB14_1126
.LBB14_1121:
                                        ; implicit-def: $vgpr3
	s_mov_b64 s[2:3], 0
	s_branch .LBB14_1132
.LBB14_1122:
	s_or_saveexec_b64 s[14:15], s[14:15]
	v_mov_b32_e32 v3, 0x7f800001
	s_xor_b64 exec, exec, s[14:15]
	s_cbranch_execz .LBB14_1106
.LBB14_1123:
	v_cmp_ne_u16_e32 vcc, 0, v4
	s_andn2_b64 s[4:5], s[4:5], exec
	s_and_b64 s[18:19], vcc, exec
	v_mov_b32_e32 v3, 0
	s_or_b64 s[4:5], s[4:5], s[18:19]
	s_or_b64 exec, exec, s[14:15]
	s_and_saveexec_b64 s[14:15], s[4:5]
	s_cbranch_execnz .LBB14_1107
	s_branch .LBB14_1108
.LBB14_1124:
	s_mov_b64 s[2:3], -1
                                        ; implicit-def: $vgpr3
	s_branch .LBB14_1129
.LBB14_1125:
	s_mov_b64 s[2:3], -1
                                        ; implicit-def: $vgpr3
.LBB14_1126:
	s_and_b64 vcc, exec, s[2:3]
	s_cbranch_vccz .LBB14_1128
; %bb.1127:
	global_load_ubyte v3, v[0:1], off
	s_mov_b32 s2, 0x7f800000
	s_waitcnt vmcnt(0)
	v_lshlrev_b32_e32 v3, 24, v3
	v_and_b32_e32 v4, 0x7f000000, v3
	v_ffbh_u32_e32 v5, v4
	v_min_u32_e32 v5, 32, v5
	v_sub_u32_e64 v5, v5, 4 clamp
	v_lshlrev_b32_e32 v8, v5, v4
	v_lshlrev_b32_e32 v5, 23, v5
	v_lshrrev_b32_e32 v8, 4, v8
	v_add_u32_e32 v6, 0x1000000, v4
	v_sub_u32_e32 v5, v8, v5
	v_ashrrev_i32_e32 v6, 8, v6
	v_add_u32_e32 v5, 0x3c000000, v5
	v_and_or_b32 v5, v6, s2, v5
	v_cmp_ne_u32_e32 vcc, 0, v4
	v_cndmask_b32_e32 v4, 0, v5, vcc
	s_brev_b32 s2, 1
	v_and_or_b32 v3, v3, s2, v4
.LBB14_1128:
	s_mov_b64 s[2:3], 0
.LBB14_1129:
	s_andn2_b64 vcc, exec, s[2:3]
	s_cbranch_vccnz .LBB14_1131
; %bb.1130:
	global_load_ubyte v3, v[0:1], off
	s_movk_i32 s2, 0x7f00
	s_brev_b32 s3, 16
	s_waitcnt vmcnt(0)
	v_lshlrev_b16_e32 v4, 8, v3
	v_lshlrev_b32_e32 v3, 25, v3
	v_lshrrev_b32_e32 v5, 4, v3
	v_and_or_b32 v6, v4, s2, 0.5
	v_or_b32_e32 v5, 0x70000000, v5
	v_add_f32_e32 v6, -0.5, v6
	v_mul_f32_e32 v5, 0x7800000, v5
	v_cmp_gt_u32_e32 vcc, s3, v3
	v_bfe_i32 v4, v4, 0, 16
	v_cndmask_b32_e32 v3, v5, v6, vcc
	s_brev_b32 s2, 1
	v_and_or_b32 v3, v4, s2, v3
.LBB14_1131:
	s_mov_b64 s[4:5], -1
	s_mov_b64 s[2:3], 0
	s_cbranch_execnz .LBB14_1142
.LBB14_1132:
	s_cmp_gt_i32 s24, 14
	s_cbranch_scc0 .LBB14_1135
; %bb.1133:
	s_cmp_eq_u32 s24, 15
	s_cbranch_scc0 .LBB14_1138
; %bb.1134:
	global_load_ushort v3, v[0:1], off
	s_mov_b64 s[0:1], 0
	s_mov_b64 s[4:5], -1
	s_waitcnt vmcnt(0)
	v_lshlrev_b32_e32 v3, 16, v3
	s_branch .LBB14_1139
.LBB14_1135:
	s_mov_b64 s[14:15], -1
                                        ; implicit-def: $vgpr3
	s_branch .LBB14_1140
.LBB14_1136:
	s_or_saveexec_b64 s[4:5], s[4:5]
	v_mov_b32_e32 v3, 0x7f800001
	s_xor_b64 exec, exec, s[4:5]
	s_cbranch_execz .LBB14_1118
.LBB14_1137:
	v_cmp_ne_u16_e32 vcc, 0, v4
	s_andn2_b64 s[2:3], s[2:3], exec
	s_and_b64 s[14:15], vcc, exec
	v_mov_b32_e32 v3, 0
	s_or_b64 s[2:3], s[2:3], s[14:15]
	s_or_b64 exec, exec, s[4:5]
	s_and_saveexec_b64 s[4:5], s[2:3]
	s_cbranch_execnz .LBB14_1119
	s_branch .LBB14_1120
.LBB14_1138:
	s_mov_b64 s[0:1], -1
                                        ; implicit-def: $vgpr3
.LBB14_1139:
	s_mov_b64 s[14:15], 0
.LBB14_1140:
	s_and_b64 vcc, exec, s[14:15]
	s_cbranch_vccz .LBB14_1142
; %bb.1141:
	s_cmp_lg_u32 s24, 11
	s_mov_b64 s[2:3], -1
	s_cselect_b64 s[0:1], -1, 0
.LBB14_1142:
	s_and_b64 vcc, exec, s[0:1]
	s_mov_b64 s[18:19], s[16:17]
	s_cbranch_vccnz .LBB14_1213
; %bb.1143:
	s_andn2_b64 vcc, exec, s[2:3]
	s_cbranch_vccnz .LBB14_1145
.LBB14_1144:
	global_load_ubyte v3, v[0:1], off
	s_mov_b64 s[4:5], -1
	s_waitcnt vmcnt(0)
	v_cmp_ne_u16_e32 vcc, 0, v3
	v_cndmask_b32_e64 v3, 0, 1.0, vcc
.LBB14_1145:
	s_branch .LBB14_1075
.LBB14_1146:
	s_cmp_lt_i32 s24, 5
	s_cbranch_scc1 .LBB14_1151
; %bb.1147:
	s_cmp_lt_i32 s24, 8
	s_cbranch_scc1 .LBB14_1152
; %bb.1148:
	;; [unrolled: 3-line block ×3, first 2 shown]
	s_cmp_gt_i32 s24, 9
	s_cbranch_scc0 .LBB14_1154
; %bb.1150:
	global_load_dwordx2 v[3:4], v[0:1], off
	s_mov_b64 s[0:1], 0
	s_waitcnt vmcnt(0)
	v_cvt_f32_f64_e32 v3, v[3:4]
	s_branch .LBB14_1155
.LBB14_1151:
                                        ; implicit-def: $vgpr3
	s_branch .LBB14_1172
.LBB14_1152:
                                        ; implicit-def: $vgpr3
	s_branch .LBB14_1161
.LBB14_1153:
	s_mov_b64 s[0:1], -1
                                        ; implicit-def: $vgpr3
	s_branch .LBB14_1158
.LBB14_1154:
	s_mov_b64 s[0:1], -1
                                        ; implicit-def: $vgpr3
.LBB14_1155:
	s_andn2_b64 vcc, exec, s[0:1]
	s_cbranch_vccnz .LBB14_1157
; %bb.1156:
	global_load_dword v3, v[0:1], off
.LBB14_1157:
	s_mov_b64 s[0:1], 0
.LBB14_1158:
	s_andn2_b64 vcc, exec, s[0:1]
	s_cbranch_vccnz .LBB14_1160
; %bb.1159:
	global_load_dword v3, v[0:1], off
	s_waitcnt vmcnt(0)
	v_cvt_f32_f16_e32 v3, v3
.LBB14_1160:
	s_cbranch_execnz .LBB14_1171
.LBB14_1161:
	s_cmp_lt_i32 s24, 6
	s_cbranch_scc1 .LBB14_1164
; %bb.1162:
	s_cmp_gt_i32 s24, 6
	s_cbranch_scc0 .LBB14_1165
; %bb.1163:
	global_load_dwordx2 v[3:4], v[0:1], off
	s_mov_b64 s[0:1], 0
	s_waitcnt vmcnt(0)
	v_cvt_f32_f64_e32 v3, v[3:4]
	s_branch .LBB14_1166
.LBB14_1164:
	s_mov_b64 s[0:1], -1
                                        ; implicit-def: $vgpr3
	s_branch .LBB14_1169
.LBB14_1165:
	s_mov_b64 s[0:1], -1
                                        ; implicit-def: $vgpr3
.LBB14_1166:
	s_andn2_b64 vcc, exec, s[0:1]
	s_cbranch_vccnz .LBB14_1168
; %bb.1167:
	global_load_dword v3, v[0:1], off
.LBB14_1168:
	s_mov_b64 s[0:1], 0
.LBB14_1169:
	s_andn2_b64 vcc, exec, s[0:1]
	s_cbranch_vccnz .LBB14_1171
; %bb.1170:
	global_load_ushort v3, v[0:1], off
	s_waitcnt vmcnt(0)
	v_cvt_f32_f16_e32 v3, v3
.LBB14_1171:
	s_cbranch_execnz .LBB14_1190
.LBB14_1172:
	s_cmp_lt_i32 s24, 2
	s_cbranch_scc1 .LBB14_1176
; %bb.1173:
	s_cmp_lt_i32 s24, 3
	s_cbranch_scc1 .LBB14_1177
; %bb.1174:
	s_cmp_gt_i32 s24, 3
	s_cbranch_scc0 .LBB14_1178
; %bb.1175:
	global_load_dwordx2 v[3:4], v[0:1], off
	s_mov_b64 s[0:1], 0
	s_waitcnt vmcnt(0)
	v_xor_b32_e32 v6, v3, v4
	v_ffbh_i32_e32 v5, v4
	v_ashrrev_i32_e32 v6, 31, v6
	v_add_u32_e32 v5, -1, v5
	v_add_u32_e32 v6, 32, v6
	v_min_u32_e32 v5, v5, v6
	v_lshlrev_b64 v[3:4], v5, v[3:4]
	v_min_u32_e32 v3, 1, v3
	v_or_b32_e32 v3, v4, v3
	v_cvt_f32_i32_e32 v3, v3
	v_sub_u32_e32 v4, 32, v5
	v_ldexp_f32 v3, v3, v4
	s_branch .LBB14_1179
.LBB14_1176:
                                        ; implicit-def: $vgpr3
	s_branch .LBB14_1185
.LBB14_1177:
	s_mov_b64 s[0:1], -1
                                        ; implicit-def: $vgpr3
	s_branch .LBB14_1182
.LBB14_1178:
	s_mov_b64 s[0:1], -1
                                        ; implicit-def: $vgpr3
.LBB14_1179:
	s_andn2_b64 vcc, exec, s[0:1]
	s_cbranch_vccnz .LBB14_1181
; %bb.1180:
	global_load_dword v3, v[0:1], off
	s_waitcnt vmcnt(0)
	v_cvt_f32_i32_e32 v3, v3
.LBB14_1181:
	s_mov_b64 s[0:1], 0
.LBB14_1182:
	s_andn2_b64 vcc, exec, s[0:1]
	s_cbranch_vccnz .LBB14_1184
; %bb.1183:
	global_load_sshort v3, v[0:1], off
	s_waitcnt vmcnt(0)
	v_cvt_f32_i32_e32 v3, v3
.LBB14_1184:
	s_cbranch_execnz .LBB14_1190
.LBB14_1185:
	s_cmp_gt_i32 s24, 0
	s_cbranch_scc0 .LBB14_1187
; %bb.1186:
	global_load_sbyte v3, v[0:1], off
	s_mov_b64 s[0:1], 0
	s_waitcnt vmcnt(0)
	v_cvt_f32_i32_e32 v3, v3
	s_branch .LBB14_1188
.LBB14_1187:
	s_mov_b64 s[0:1], -1
                                        ; implicit-def: $vgpr3
.LBB14_1188:
	s_andn2_b64 vcc, exec, s[0:1]
	s_cbranch_vccnz .LBB14_1190
; %bb.1189:
	global_load_ubyte v0, v[0:1], off
	s_waitcnt vmcnt(0)
	v_cvt_f32_ubyte0_e32 v3, v0
.LBB14_1190:
.LBB14_1191:
	s_mov_b32 s0, 0x7f800000
	s_waitcnt vmcnt(0)
	v_cmp_neq_f32_e64 s[0:1], |v3|, s0
	v_mov_b32_e32 v0, 0
	s_and_saveexec_b64 s[14:15], s[0:1]
	s_cbranch_execz .LBB14_1201
; %bb.1192:
	v_cmp_nlt_f32_e64 s[0:1], |v3|, 0.5
                                        ; implicit-def: $vgpr0
	s_and_saveexec_b64 s[2:3], s[0:1]
	s_xor_b64 s[20:21], exec, s[2:3]
	s_cbranch_execz .LBB14_1198
; %bb.1193:
	s_brev_b32 s0, 18
	v_and_b32_e32 v0, 0x7fffffff, v3
	v_cmp_nlt_f32_e64 s[0:1], |v3|, s0
                                        ; implicit-def: $vgpr1
                                        ; implicit-def: $vgpr4
	s_and_saveexec_b64 s[2:3], s[0:1]
	s_xor_b64 s[22:23], exec, s[2:3]
	s_cbranch_execz .LBB14_1195
; %bb.1194:
	v_and_b32_e32 v1, 0x7fffff, v0
	v_or_b32_e32 v1, 0x800000, v1
	s_mov_b32 s0, 0xfe5163ab
	v_mad_u64_u32 v[4:5], s[0:1], v1, s0, 0
	v_mov_b32_e32 v6, 0
	s_mov_b32 s0, 0x3c439041
	v_mad_u64_u32 v[8:9], s[0:1], v1, s0, v[5:6]
	s_mov_b32 s0, 0xdb629599
	v_not_b32_e32 v13, 63
	v_mov_b32_e32 v5, v9
	v_mad_u64_u32 v[9:10], s[0:1], v1, s0, v[5:6]
	s_mov_b32 s0, 0xf534ddc0
	v_not_b32_e32 v15, 31
	v_mov_b32_e32 v5, v10
	v_mad_u64_u32 v[10:11], s[0:1], v1, s0, v[5:6]
	v_lshrrev_b32_e32 v5, 23, v0
	v_add_u32_e32 v14, 0xffffff88, v5
	v_mov_b32_e32 v5, v11
	s_mov_b32 s0, 0xfc2757d1
	v_mad_u64_u32 v[11:12], s[0:1], v1, s0, v[5:6]
	v_cmp_lt_u32_e32 vcc, 63, v14
	v_cndmask_b32_e32 v5, 0, v13, vcc
	v_add_u32_e32 v14, v5, v14
	v_mov_b32_e32 v5, v12
	s_mov_b32 s0, 0x4e441529
	v_mad_u64_u32 v[12:13], s[0:1], v1, s0, v[5:6]
	v_cmp_lt_u32_e64 s[0:1], 31, v14
	v_cndmask_b32_e64 v5, 0, v15, s[0:1]
	v_add_u32_e32 v14, v5, v14
	v_mov_b32_e32 v5, v13
	s_mov_b32 s2, 0xa2f9836e
	v_mad_u64_u32 v[5:6], s[2:3], v1, s2, v[5:6]
	v_cmp_lt_u32_e64 s[2:3], 31, v14
	v_cndmask_b32_e64 v1, 0, v15, s[2:3]
	v_cndmask_b32_e32 v13, v12, v10, vcc
	v_cndmask_b32_e32 v5, v5, v11, vcc
	;; [unrolled: 1-line block ×3, first 2 shown]
	v_add_u32_e32 v1, v1, v14
	v_cndmask_b32_e64 v14, v5, v13, s[0:1]
	v_cndmask_b32_e64 v5, v6, v5, s[0:1]
	v_cndmask_b32_e32 v6, v11, v9, vcc
	v_cndmask_b32_e64 v11, v13, v6, s[0:1]
	v_cndmask_b32_e64 v5, v5, v14, s[2:3]
	;; [unrolled: 1-line block ×3, first 2 shown]
	v_sub_u32_e32 v13, 32, v1
	v_alignbit_b32 v14, v5, v12, v13
	v_cmp_eq_u32_e64 s[4:5], 0, v1
	v_cndmask_b32_e64 v1, v14, v5, s[4:5]
	v_cndmask_b32_e32 v5, v10, v8, vcc
	v_cndmask_b32_e64 v6, v6, v5, s[0:1]
	v_cndmask_b32_e64 v8, v11, v6, s[2:3]
	v_alignbit_b32 v10, v12, v8, v13
	v_cndmask_b32_e32 v4, v9, v4, vcc
	v_cndmask_b32_e64 v10, v10, v12, s[4:5]
	v_bfe_u32 v14, v1, 29, 1
	v_cndmask_b32_e64 v4, v5, v4, s[0:1]
	v_alignbit_b32 v11, v1, v10, 30
	v_sub_u32_e32 v15, 0, v14
	v_cndmask_b32_e64 v4, v6, v4, s[2:3]
	v_xor_b32_e32 v11, v11, v15
	v_alignbit_b32 v5, v8, v4, v13
	v_cndmask_b32_e64 v5, v5, v8, s[4:5]
	v_ffbh_u32_e32 v8, v11
	v_alignbit_b32 v6, v10, v5, 30
	v_min_u32_e32 v8, 32, v8
	v_alignbit_b32 v4, v5, v4, 30
	v_xor_b32_e32 v6, v6, v15
	v_sub_u32_e32 v9, 31, v8
	v_xor_b32_e32 v4, v4, v15
	v_alignbit_b32 v10, v11, v6, v9
	v_alignbit_b32 v4, v6, v4, v9
	;; [unrolled: 1-line block ×3, first 2 shown]
	v_ffbh_u32_e32 v6, v5
	v_min_u32_e32 v6, 32, v6
	v_lshrrev_b32_e32 v12, 29, v1
	v_not_b32_e32 v9, v6
	v_alignbit_b32 v4, v5, v4, v9
	v_lshlrev_b32_e32 v5, 31, v12
	v_or_b32_e32 v9, 0x33000000, v5
	v_add_lshl_u32 v6, v6, v8, 23
	v_lshrrev_b32_e32 v4, 9, v4
	v_sub_u32_e32 v6, v9, v6
	v_or_b32_e32 v5, 0.5, v5
	v_lshlrev_b32_e32 v8, 23, v8
	v_or_b32_e32 v4, v6, v4
	v_lshrrev_b32_e32 v6, 9, v10
	v_sub_u32_e32 v5, v5, v8
	v_or_b32_e32 v5, v6, v5
	s_mov_b32 s0, 0x3fc90fda
	v_mul_f32_e32 v6, 0x3fc90fda, v5
	v_fma_f32 v8, v5, s0, -v6
	v_fmac_f32_e32 v8, 0x33a22168, v5
	v_fmac_f32_e32 v8, 0x3fc90fda, v4
	v_lshrrev_b32_e32 v1, 30, v1
	v_add_f32_e32 v4, v6, v8
	v_add_u32_e32 v1, v14, v1
.LBB14_1195:
	s_andn2_saveexec_b64 s[0:1], s[22:23]
	s_cbranch_execz .LBB14_1197
; %bb.1196:
	s_mov_b32 s2, 0x3f22f983
	v_mul_f32_e64 v1, |v3|, s2
	v_rndne_f32_e32 v5, v1
	s_mov_b32 s2, 0xbfc90fda
	v_cvt_i32_f32_e32 v1, v5
	v_fma_f32 v4, v5, s2, |v3|
	v_fmac_f32_e32 v4, 0xb3a22168, v5
	v_fmac_f32_e32 v4, 0xa7c234c4, v5
.LBB14_1197:
	s_or_b64 exec, exec, s[0:1]
	v_mul_f32_e32 v5, v4, v4
	v_mov_b32_e32 v6, 0x3c0881c4
	v_fmac_f32_e32 v6, 0xb94c1982, v5
	v_mov_b32_e32 v8, 0xbe2aaa9d
	v_fmac_f32_e32 v8, v5, v6
	v_mul_f32_e32 v6, v5, v8
	v_fmac_f32_e32 v4, v4, v6
	v_mov_b32_e32 v6, 0xbab64f3b
	v_fmac_f32_e32 v6, 0x37d75334, v5
	v_mov_b32_e32 v8, 0x3d2aabf7
	;; [unrolled: 2-line block ×3, first 2 shown]
	v_fmac_f32_e32 v6, v5, v8
	v_fma_f32 v5, v5, v6, 1.0
	v_and_b32_e32 v6, 1, v1
	v_lshlrev_b32_e32 v1, 30, v1
	v_cmp_eq_u32_e32 vcc, 0, v6
	v_and_b32_e32 v1, 0x80000000, v1
	v_xor_b32_e32 v0, v0, v3
	v_cndmask_b32_e32 v4, v5, v4, vcc
	v_xor_b32_e32 v0, v0, v1
	s_movk_i32 s0, 0x1f8
	v_xor_b32_e32 v0, v0, v4
	v_mov_b32_e32 v1, 0x7fc00000
	v_cmp_class_f32_e64 vcc, v3, s0
	v_cndmask_b32_e32 v0, v1, v0, vcc
	v_div_scale_f32 v1, s[0:1], v3, v3, v0
	v_div_scale_f32 v4, vcc, v0, v3, v0
	v_rcp_f32_e32 v5, v1
	v_fma_f32 v6, -v1, v5, 1.0
	v_fmac_f32_e32 v5, v6, v5
	v_mul_f32_e32 v6, v4, v5
	v_fma_f32 v8, -v1, v6, v4
	v_fmac_f32_e32 v6, v8, v5
	v_fma_f32 v1, -v1, v6, v4
	v_div_fmas_f32 v1, v1, v5, v6
	v_div_fixup_f32 v0, v1, v3, v0
                                        ; implicit-def: $vgpr3
.LBB14_1198:
	s_andn2_saveexec_b64 s[0:1], s[20:21]
	s_cbranch_execz .LBB14_1200
; %bb.1199:
	v_mul_f32_e32 v0, v3, v3
	v_mov_b32_e32 v1, 0xb2d7322b
	v_fmac_f32_e32 v1, 0x2f309231, v0
	v_mov_b32_e32 v3, 0x3638ef1d
	v_fmac_f32_e32 v3, v0, v1
	;; [unrolled: 2-line block ×5, first 2 shown]
	v_fma_f32 v0, v0, v1, 1.0
.LBB14_1200:
	s_or_b64 exec, exec, s[0:1]
.LBB14_1201:
	s_or_b64 exec, exec, s[14:15]
	s_lshl_b32 s13, s13, 7
	v_add_u32_e32 v3, s13, v2
	v_ashrrev_i32_e32 v2, 31, v3
	v_mov_b32_e32 v4, s11
	v_add_co_u32_e32 v1, vcc, s10, v3
	s_cmp_lt_i32 s24, 11
	v_addc_co_u32_e32 v2, vcc, v4, v2, vcc
	s_cbranch_scc1 .LBB14_1208
; %bb.1202:
	s_cmp_gt_i32 s24, 25
	s_mov_b64 s[2:3], 0
	s_cbranch_scc0 .LBB14_1210
; %bb.1203:
	s_cmp_gt_i32 s24, 28
	s_cbranch_scc0 .LBB14_1211
; %bb.1204:
	s_cmp_gt_i32 s24, 43
	;; [unrolled: 3-line block ×3, first 2 shown]
	s_cbranch_scc0 .LBB14_1214
; %bb.1206:
	s_cmp_eq_u32 s24, 46
	s_mov_b64 s[14:15], 0
	s_cbranch_scc0 .LBB14_1217
; %bb.1207:
	global_load_dword v4, v[1:2], off
	s_mov_b64 s[0:1], 0
	s_mov_b64 s[4:5], -1
	s_waitcnt vmcnt(0)
	v_lshlrev_b32_e32 v4, 16, v4
	s_branch .LBB14_1218
.LBB14_1208:
	s_mov_b64 s[4:5], 0
                                        ; implicit-def: $vgpr4
	s_cbranch_execnz .LBB14_1283
.LBB14_1209:
	s_andn2_b64 vcc, exec, s[4:5]
	s_cbranch_vccnz .LBB14_1697
	s_branch .LBB14_1330
.LBB14_1210:
	s_mov_b64 s[4:5], 0
	s_mov_b64 s[0:1], 0
                                        ; implicit-def: $vgpr4
	s_cbranch_execnz .LBB14_1247
	s_branch .LBB14_1279
.LBB14_1211:
	s_mov_b64 s[14:15], -1
	s_mov_b64 s[4:5], 0
	s_mov_b64 s[0:1], 0
                                        ; implicit-def: $vgpr4
	s_branch .LBB14_1228
.LBB14_1212:
	s_mov_b64 s[14:15], -1
	s_mov_b64 s[4:5], 0
	s_mov_b64 s[0:1], 0
                                        ; implicit-def: $vgpr4
	s_branch .LBB14_1223
.LBB14_1213:
	s_or_b64 s[18:19], s[16:17], exec
	s_trap 2
	s_cbranch_execz .LBB14_1144
	s_branch .LBB14_1145
.LBB14_1214:
	s_mov_b64 s[14:15], -1
	s_mov_b64 s[4:5], 0
	s_mov_b64 s[0:1], 0
                                        ; implicit-def: $vgpr4
	s_branch .LBB14_1218
.LBB14_1215:
	s_andn2_saveexec_b64 s[24:25], s[24:25]
	s_cbranch_execz .LBB14_991
.LBB14_1216:
	s_mov_b32 s28, 0x42800000
	v_add_f32_e64 v1, |v0|, s28
	v_and_b32_e32 v1, 0xff, v1
	v_cmp_ne_u32_e32 vcc, 0, v1
	s_andn2_b64 s[22:23], s[22:23], exec
	s_and_b64 s[28:29], vcc, exec
	s_or_b64 s[22:23], s[22:23], s[28:29]
	s_or_b64 exec, exec, s[24:25]
	v_mov_b32_e32 v4, 0
	s_and_saveexec_b64 s[24:25], s[22:23]
	s_cbranch_execnz .LBB14_992
	s_branch .LBB14_993
.LBB14_1217:
	s_mov_b64 s[0:1], -1
                                        ; implicit-def: $vgpr4
	s_mov_b64 s[4:5], 0
.LBB14_1218:
	s_and_b64 vcc, exec, s[14:15]
	s_cbranch_vccz .LBB14_1222
; %bb.1219:
	s_cmp_eq_u32 s24, 44
	s_cbranch_scc0 .LBB14_1221
; %bb.1220:
	global_load_ubyte v4, v[1:2], off
	s_movk_i32 s4, 0xff
	v_mov_b32_e32 v5, 0x7f800001
	v_mov_b32_e32 v6, 0x400000
	s_mov_b64 s[0:1], 0
	s_waitcnt vmcnt(0)
	v_lshlrev_b32_e32 v8, 23, v4
	v_cmp_ne_u32_e32 vcc, s4, v4
	v_cndmask_b32_e32 v5, v5, v8, vcc
	v_cmp_ne_u32_e32 vcc, 0, v4
	v_cndmask_b32_e32 v4, v6, v5, vcc
	s_mov_b64 s[4:5], -1
	s_branch .LBB14_1222
.LBB14_1221:
	s_mov_b64 s[0:1], -1
                                        ; implicit-def: $vgpr4
.LBB14_1222:
	s_mov_b64 s[14:15], 0
.LBB14_1223:
	s_and_b64 vcc, exec, s[14:15]
	s_cbranch_vccz .LBB14_1227
; %bb.1224:
	s_cmp_eq_u32 s24, 29
	s_cbranch_scc0 .LBB14_1226
; %bb.1225:
	global_load_dwordx2 v[4:5], v[1:2], off
	s_mov_b64 s[0:1], 0
	s_mov_b64 s[4:5], -1
	s_mov_b64 s[14:15], 0
	s_waitcnt vmcnt(0)
	v_ffbh_u32_e32 v6, v5
	v_min_u32_e32 v6, 32, v6
	v_lshlrev_b64 v[4:5], v6, v[4:5]
	v_min_u32_e32 v4, 1, v4
	v_or_b32_e32 v4, v5, v4
	v_cvt_f32_u32_e32 v4, v4
	v_sub_u32_e32 v5, 32, v6
	v_ldexp_f32 v4, v4, v5
	s_branch .LBB14_1228
.LBB14_1226:
	s_mov_b64 s[0:1], -1
                                        ; implicit-def: $vgpr4
.LBB14_1227:
	s_mov_b64 s[14:15], 0
.LBB14_1228:
	s_and_b64 vcc, exec, s[14:15]
	s_cbranch_vccz .LBB14_1246
; %bb.1229:
	s_cmp_lt_i32 s24, 27
	s_cbranch_scc1 .LBB14_1232
; %bb.1230:
	s_cmp_gt_i32 s24, 27
	s_cbranch_scc0 .LBB14_1233
; %bb.1231:
	global_load_dword v4, v[1:2], off
	s_mov_b64 s[4:5], 0
	s_waitcnt vmcnt(0)
	v_cvt_f32_u32_e32 v4, v4
	s_branch .LBB14_1234
.LBB14_1232:
	s_mov_b64 s[4:5], -1
                                        ; implicit-def: $vgpr4
	s_branch .LBB14_1237
.LBB14_1233:
	s_mov_b64 s[4:5], -1
                                        ; implicit-def: $vgpr4
.LBB14_1234:
	s_andn2_b64 vcc, exec, s[4:5]
	s_cbranch_vccnz .LBB14_1236
; %bb.1235:
	global_load_ushort v4, v[1:2], off
	s_waitcnt vmcnt(0)
	v_cvt_f32_u32_e32 v4, v4
.LBB14_1236:
	s_mov_b64 s[4:5], 0
.LBB14_1237:
	s_andn2_b64 vcc, exec, s[4:5]
	s_cbranch_vccnz .LBB14_1245
; %bb.1238:
	global_load_ubyte v5, v[1:2], off
	s_movk_i32 s4, 0x7f
	s_waitcnt vmcnt(0)
	v_cmp_lt_i16_e32 vcc, s4, v5
	s_mov_b64 s[4:5], 0
	s_and_saveexec_b64 s[14:15], vcc
	s_xor_b64 s[14:15], exec, s[14:15]
	s_cbranch_execz .LBB14_1258
; %bb.1239:
	s_movk_i32 s4, 0x80
	v_cmp_eq_u16_e32 vcc, s4, v5
	s_mov_b64 s[4:5], -1
	s_and_saveexec_b64 s[20:21], vcc
; %bb.1240:
	s_xor_b64 s[4:5], exec, -1
; %bb.1241:
	s_or_b64 exec, exec, s[20:21]
	s_and_b64 s[4:5], s[4:5], exec
	s_or_saveexec_b64 s[14:15], s[14:15]
	v_mov_b32_e32 v4, 0x7f800001
	s_xor_b64 exec, exec, s[14:15]
	s_cbranch_execnz .LBB14_1259
.LBB14_1242:
	s_or_b64 exec, exec, s[14:15]
	s_and_saveexec_b64 s[14:15], s[4:5]
	s_cbranch_execz .LBB14_1244
.LBB14_1243:
	v_lshlrev_b32_e32 v4, 24, v5
	v_and_b32_e32 v5, 0xffff, v5
	v_and_b32_e32 v6, 7, v5
	v_ffbh_u32_e32 v9, v6
	v_min_u32_e32 v9, 32, v9
	v_subrev_u32_e32 v10, 28, v9
	v_bfe_u32 v8, v5, 3, 4
	v_lshlrev_b32_e32 v5, v10, v5
	v_sub_u32_e32 v9, 29, v9
	v_and_b32_e32 v5, 7, v5
	v_cmp_eq_u32_e32 vcc, 0, v8
	v_cndmask_b32_e32 v8, v8, v9, vcc
	v_cndmask_b32_e32 v5, v6, v5, vcc
	v_mov_b32_e32 v6, 0x3b800000
	v_lshlrev_b32_e32 v5, 20, v5
	v_and_b32_e32 v4, 0x80000000, v4
	v_lshl_add_u32 v6, v8, 23, v6
	v_or3_b32 v4, v4, v6, v5
.LBB14_1244:
	s_or_b64 exec, exec, s[14:15]
.LBB14_1245:
	s_mov_b64 s[4:5], -1
.LBB14_1246:
	s_branch .LBB14_1279
.LBB14_1247:
	s_cmp_gt_i32 s24, 22
	s_cbranch_scc0 .LBB14_1257
; %bb.1248:
	s_cmp_lt_i32 s24, 24
	s_cbranch_scc1 .LBB14_1260
; %bb.1249:
	s_cmp_gt_i32 s24, 24
	s_cbranch_scc0 .LBB14_1261
; %bb.1250:
	global_load_ubyte v5, v[1:2], off
	s_movk_i32 s2, 0x7f
	s_waitcnt vmcnt(0)
	v_cmp_lt_i16_e32 vcc, s2, v5
	s_mov_b64 s[2:3], 0
	s_and_saveexec_b64 s[4:5], vcc
	s_xor_b64 s[4:5], exec, s[4:5]
	s_cbranch_execz .LBB14_1273
; %bb.1251:
	s_movk_i32 s2, 0x80
	v_cmp_eq_u16_e32 vcc, s2, v5
	s_mov_b64 s[2:3], -1
	s_and_saveexec_b64 s[14:15], vcc
; %bb.1252:
	s_xor_b64 s[2:3], exec, -1
; %bb.1253:
	s_or_b64 exec, exec, s[14:15]
	s_and_b64 s[2:3], s[2:3], exec
	s_or_saveexec_b64 s[4:5], s[4:5]
	v_mov_b32_e32 v4, 0x7f800001
	s_xor_b64 exec, exec, s[4:5]
	s_cbranch_execnz .LBB14_1274
.LBB14_1254:
	s_or_b64 exec, exec, s[4:5]
	s_and_saveexec_b64 s[4:5], s[2:3]
	s_cbranch_execz .LBB14_1256
.LBB14_1255:
	v_lshlrev_b32_e32 v4, 24, v5
	v_and_b32_e32 v5, 0xffff, v5
	v_and_b32_e32 v6, 3, v5
	v_ffbh_u32_e32 v9, v6
	v_min_u32_e32 v9, 32, v9
	v_subrev_u32_e32 v10, 29, v9
	v_bfe_u32 v8, v5, 2, 5
	v_lshlrev_b32_e32 v5, v10, v5
	v_sub_u32_e32 v9, 30, v9
	v_and_b32_e32 v5, 3, v5
	v_cmp_eq_u32_e32 vcc, 0, v8
	v_cndmask_b32_e32 v8, v8, v9, vcc
	v_cndmask_b32_e32 v5, v6, v5, vcc
	v_mov_b32_e32 v6, 0x37800000
	v_lshlrev_b32_e32 v5, 21, v5
	v_and_b32_e32 v4, 0x80000000, v4
	v_lshl_add_u32 v6, v8, 23, v6
	v_or3_b32 v4, v4, v6, v5
.LBB14_1256:
	s_or_b64 exec, exec, s[4:5]
	s_mov_b64 s[2:3], 0
	s_branch .LBB14_1262
.LBB14_1257:
	s_mov_b64 s[2:3], -1
                                        ; implicit-def: $vgpr4
	s_branch .LBB14_1268
.LBB14_1258:
	s_or_saveexec_b64 s[14:15], s[14:15]
	v_mov_b32_e32 v4, 0x7f800001
	s_xor_b64 exec, exec, s[14:15]
	s_cbranch_execz .LBB14_1242
.LBB14_1259:
	v_cmp_ne_u16_e32 vcc, 0, v5
	s_andn2_b64 s[4:5], s[4:5], exec
	s_and_b64 s[20:21], vcc, exec
	v_mov_b32_e32 v4, 0
	s_or_b64 s[4:5], s[4:5], s[20:21]
	s_or_b64 exec, exec, s[14:15]
	s_and_saveexec_b64 s[14:15], s[4:5]
	s_cbranch_execnz .LBB14_1243
	s_branch .LBB14_1244
.LBB14_1260:
	s_mov_b64 s[2:3], -1
                                        ; implicit-def: $vgpr4
	s_branch .LBB14_1265
.LBB14_1261:
	s_mov_b64 s[2:3], -1
                                        ; implicit-def: $vgpr4
.LBB14_1262:
	s_and_b64 vcc, exec, s[2:3]
	s_cbranch_vccz .LBB14_1264
; %bb.1263:
	global_load_ubyte v4, v[1:2], off
	s_mov_b32 s2, 0x7f800000
	s_waitcnt vmcnt(0)
	v_lshlrev_b32_e32 v4, 24, v4
	v_and_b32_e32 v5, 0x7f000000, v4
	v_ffbh_u32_e32 v6, v5
	v_min_u32_e32 v6, 32, v6
	v_sub_u32_e64 v6, v6, 4 clamp
	v_lshlrev_b32_e32 v9, v6, v5
	v_lshlrev_b32_e32 v6, 23, v6
	v_lshrrev_b32_e32 v9, 4, v9
	v_add_u32_e32 v8, 0x1000000, v5
	v_sub_u32_e32 v6, v9, v6
	v_ashrrev_i32_e32 v8, 8, v8
	v_add_u32_e32 v6, 0x3c000000, v6
	v_and_or_b32 v6, v8, s2, v6
	v_cmp_ne_u32_e32 vcc, 0, v5
	v_cndmask_b32_e32 v5, 0, v6, vcc
	s_brev_b32 s2, 1
	v_and_or_b32 v4, v4, s2, v5
.LBB14_1264:
	s_mov_b64 s[2:3], 0
.LBB14_1265:
	s_andn2_b64 vcc, exec, s[2:3]
	s_cbranch_vccnz .LBB14_1267
; %bb.1266:
	global_load_ubyte v4, v[1:2], off
	s_movk_i32 s2, 0x7f00
	s_brev_b32 s3, 16
	s_waitcnt vmcnt(0)
	v_lshlrev_b16_e32 v5, 8, v4
	v_lshlrev_b32_e32 v4, 25, v4
	v_lshrrev_b32_e32 v6, 4, v4
	v_and_or_b32 v8, v5, s2, 0.5
	v_or_b32_e32 v6, 0x70000000, v6
	v_add_f32_e32 v8, -0.5, v8
	v_mul_f32_e32 v6, 0x7800000, v6
	v_cmp_gt_u32_e32 vcc, s3, v4
	v_bfe_i32 v5, v5, 0, 16
	v_cndmask_b32_e32 v4, v6, v8, vcc
	s_brev_b32 s2, 1
	v_and_or_b32 v4, v5, s2, v4
.LBB14_1267:
	s_mov_b64 s[2:3], 0
	s_mov_b64 s[4:5], -1
.LBB14_1268:
	s_andn2_b64 vcc, exec, s[2:3]
	s_mov_b64 s[2:3], 0
	s_cbranch_vccnz .LBB14_1279
; %bb.1269:
	s_cmp_gt_i32 s24, 14
	s_cbranch_scc0 .LBB14_1272
; %bb.1270:
	s_cmp_eq_u32 s24, 15
	s_cbranch_scc0 .LBB14_1275
; %bb.1271:
	global_load_ushort v4, v[1:2], off
	s_mov_b64 s[0:1], 0
	s_mov_b64 s[4:5], -1
	s_waitcnt vmcnt(0)
	v_lshlrev_b32_e32 v4, 16, v4
	s_branch .LBB14_1276
.LBB14_1272:
	s_mov_b64 s[14:15], -1
                                        ; implicit-def: $vgpr4
	s_branch .LBB14_1277
.LBB14_1273:
	s_or_saveexec_b64 s[4:5], s[4:5]
	v_mov_b32_e32 v4, 0x7f800001
	s_xor_b64 exec, exec, s[4:5]
	s_cbranch_execz .LBB14_1254
.LBB14_1274:
	v_cmp_ne_u16_e32 vcc, 0, v5
	s_andn2_b64 s[2:3], s[2:3], exec
	s_and_b64 s[14:15], vcc, exec
	v_mov_b32_e32 v4, 0
	s_or_b64 s[2:3], s[2:3], s[14:15]
	s_or_b64 exec, exec, s[4:5]
	s_and_saveexec_b64 s[4:5], s[2:3]
	s_cbranch_execnz .LBB14_1255
	s_branch .LBB14_1256
.LBB14_1275:
	s_mov_b64 s[0:1], -1
                                        ; implicit-def: $vgpr4
.LBB14_1276:
	s_mov_b64 s[14:15], 0
.LBB14_1277:
	s_and_b64 vcc, exec, s[14:15]
	s_cbranch_vccz .LBB14_1279
; %bb.1278:
	s_cmp_lg_u32 s24, 11
	s_mov_b64 s[2:3], -1
	s_cselect_b64 s[0:1], -1, 0
.LBB14_1279:
	s_and_b64 vcc, exec, s[0:1]
	s_cbranch_vccnz .LBB14_1352
; %bb.1280:
	s_andn2_b64 vcc, exec, s[2:3]
	s_cbranch_vccnz .LBB14_1282
.LBB14_1281:
	global_load_ubyte v4, v[1:2], off
	s_mov_b64 s[4:5], -1
	s_waitcnt vmcnt(0)
	v_cmp_ne_u16_e32 vcc, 0, v4
	v_cndmask_b32_e64 v4, 0, 1.0, vcc
.LBB14_1282:
	s_branch .LBB14_1209
.LBB14_1283:
	s_cmp_lt_i32 s24, 5
	s_cbranch_scc1 .LBB14_1288
; %bb.1284:
	s_cmp_lt_i32 s24, 8
	s_cbranch_scc1 .LBB14_1289
; %bb.1285:
	;; [unrolled: 3-line block ×3, first 2 shown]
	s_cmp_gt_i32 s24, 9
	s_cbranch_scc0 .LBB14_1291
; %bb.1287:
	global_load_dwordx2 v[4:5], v[1:2], off
	s_mov_b64 s[0:1], 0
	s_waitcnt vmcnt(0)
	v_cvt_f32_f64_e32 v4, v[4:5]
	s_branch .LBB14_1292
.LBB14_1288:
                                        ; implicit-def: $vgpr4
	s_branch .LBB14_1310
.LBB14_1289:
	s_mov_b64 s[0:1], -1
                                        ; implicit-def: $vgpr4
	s_branch .LBB14_1298
.LBB14_1290:
	s_mov_b64 s[0:1], -1
                                        ; implicit-def: $vgpr4
	s_branch .LBB14_1295
.LBB14_1291:
	s_mov_b64 s[0:1], -1
                                        ; implicit-def: $vgpr4
.LBB14_1292:
	s_andn2_b64 vcc, exec, s[0:1]
	s_cbranch_vccnz .LBB14_1294
; %bb.1293:
	global_load_dword v4, v[1:2], off
.LBB14_1294:
	s_mov_b64 s[0:1], 0
.LBB14_1295:
	s_andn2_b64 vcc, exec, s[0:1]
	s_cbranch_vccnz .LBB14_1297
; %bb.1296:
	global_load_dword v4, v[1:2], off
	s_waitcnt vmcnt(0)
	v_cvt_f32_f16_e32 v4, v4
.LBB14_1297:
	s_mov_b64 s[0:1], 0
.LBB14_1298:
	s_andn2_b64 vcc, exec, s[0:1]
	s_cbranch_vccnz .LBB14_1309
; %bb.1299:
	s_cmp_lt_i32 s24, 6
	s_cbranch_scc1 .LBB14_1302
; %bb.1300:
	s_cmp_gt_i32 s24, 6
	s_cbranch_scc0 .LBB14_1303
; %bb.1301:
	global_load_dwordx2 v[4:5], v[1:2], off
	s_mov_b64 s[0:1], 0
	s_waitcnt vmcnt(0)
	v_cvt_f32_f64_e32 v4, v[4:5]
	s_branch .LBB14_1304
.LBB14_1302:
	s_mov_b64 s[0:1], -1
                                        ; implicit-def: $vgpr4
	s_branch .LBB14_1307
.LBB14_1303:
	s_mov_b64 s[0:1], -1
                                        ; implicit-def: $vgpr4
.LBB14_1304:
	s_andn2_b64 vcc, exec, s[0:1]
	s_cbranch_vccnz .LBB14_1306
; %bb.1305:
	global_load_dword v4, v[1:2], off
.LBB14_1306:
	s_mov_b64 s[0:1], 0
.LBB14_1307:
	s_andn2_b64 vcc, exec, s[0:1]
	s_cbranch_vccnz .LBB14_1309
; %bb.1308:
	global_load_ushort v4, v[1:2], off
	s_waitcnt vmcnt(0)
	v_cvt_f32_f16_e32 v4, v4
.LBB14_1309:
	s_cbranch_execnz .LBB14_1329
.LBB14_1310:
	s_cmp_lt_i32 s24, 2
	s_cbranch_scc1 .LBB14_1314
; %bb.1311:
	s_cmp_lt_i32 s24, 3
	s_cbranch_scc1 .LBB14_1315
; %bb.1312:
	s_cmp_gt_i32 s24, 3
	s_cbranch_scc0 .LBB14_1316
; %bb.1313:
	global_load_dwordx2 v[4:5], v[1:2], off
	s_mov_b64 s[0:1], 0
	s_waitcnt vmcnt(0)
	v_xor_b32_e32 v8, v4, v5
	v_ffbh_i32_e32 v6, v5
	v_ashrrev_i32_e32 v8, 31, v8
	v_add_u32_e32 v6, -1, v6
	v_add_u32_e32 v8, 32, v8
	v_min_u32_e32 v6, v6, v8
	v_lshlrev_b64 v[4:5], v6, v[4:5]
	v_min_u32_e32 v4, 1, v4
	v_or_b32_e32 v4, v5, v4
	v_cvt_f32_i32_e32 v4, v4
	v_sub_u32_e32 v5, 32, v6
	v_ldexp_f32 v4, v4, v5
	s_branch .LBB14_1317
.LBB14_1314:
	s_mov_b64 s[0:1], -1
                                        ; implicit-def: $vgpr4
	s_branch .LBB14_1323
.LBB14_1315:
	s_mov_b64 s[0:1], -1
                                        ; implicit-def: $vgpr4
	s_branch .LBB14_1320
.LBB14_1316:
	s_mov_b64 s[0:1], -1
                                        ; implicit-def: $vgpr4
.LBB14_1317:
	s_andn2_b64 vcc, exec, s[0:1]
	s_cbranch_vccnz .LBB14_1319
; %bb.1318:
	global_load_dword v4, v[1:2], off
	s_waitcnt vmcnt(0)
	v_cvt_f32_i32_e32 v4, v4
.LBB14_1319:
	s_mov_b64 s[0:1], 0
.LBB14_1320:
	s_andn2_b64 vcc, exec, s[0:1]
	s_cbranch_vccnz .LBB14_1322
; %bb.1321:
	global_load_sshort v4, v[1:2], off
	s_waitcnt vmcnt(0)
	v_cvt_f32_i32_e32 v4, v4
.LBB14_1322:
	s_mov_b64 s[0:1], 0
.LBB14_1323:
	s_andn2_b64 vcc, exec, s[0:1]
	s_cbranch_vccnz .LBB14_1329
; %bb.1324:
	s_cmp_gt_i32 s24, 0
	s_cbranch_scc0 .LBB14_1326
; %bb.1325:
	global_load_sbyte v4, v[1:2], off
	s_mov_b64 s[0:1], 0
	s_waitcnt vmcnt(0)
	v_cvt_f32_i32_e32 v4, v4
	s_branch .LBB14_1327
.LBB14_1326:
	s_mov_b64 s[0:1], -1
                                        ; implicit-def: $vgpr4
.LBB14_1327:
	s_andn2_b64 vcc, exec, s[0:1]
	s_cbranch_vccnz .LBB14_1329
; %bb.1328:
	global_load_ubyte v1, v[1:2], off
	s_waitcnt vmcnt(0)
	v_cvt_f32_ubyte0_e32 v4, v1
.LBB14_1329:
.LBB14_1330:
	s_mov_b32 s0, 0x7f800000
	s_waitcnt vmcnt(0)
	v_cmp_neq_f32_e64 s[0:1], |v4|, s0
	v_mov_b32_e32 v2, 0
	s_and_saveexec_b64 s[14:15], s[0:1]
	s_cbranch_execz .LBB14_1340
; %bb.1331:
	v_cmp_nlt_f32_e64 s[0:1], |v4|, 0.5
                                        ; implicit-def: $vgpr2
	s_and_saveexec_b64 s[2:3], s[0:1]
	s_xor_b64 s[20:21], exec, s[2:3]
	s_cbranch_execz .LBB14_1337
; %bb.1332:
	s_brev_b32 s0, 18
	v_and_b32_e32 v1, 0x7fffffff, v4
	v_cmp_nlt_f32_e64 s[0:1], |v4|, s0
                                        ; implicit-def: $vgpr2
                                        ; implicit-def: $vgpr5
	s_and_saveexec_b64 s[2:3], s[0:1]
	s_xor_b64 s[22:23], exec, s[2:3]
	s_cbranch_execz .LBB14_1334
; %bb.1333:
	v_and_b32_e32 v2, 0x7fffff, v1
	v_or_b32_e32 v2, 0x800000, v2
	s_mov_b32 s0, 0xfe5163ab
	v_mad_u64_u32 v[5:6], s[0:1], v2, s0, 0
	v_mov_b32_e32 v9, 0
	s_mov_b32 s0, 0x3c439041
	v_mov_b32_e32 v8, v6
	v_mad_u64_u32 v[10:11], s[0:1], v2, s0, v[8:9]
	s_mov_b32 s0, 0xdb629599
	v_lshrrev_b32_e32 v6, 23, v1
	v_mov_b32_e32 v8, v11
	v_mad_u64_u32 v[11:12], s[0:1], v2, s0, v[8:9]
	s_mov_b32 s0, 0xf534ddc0
	v_add_u32_e32 v6, 0xffffff88, v6
	v_mov_b32_e32 v8, v12
	v_mad_u64_u32 v[12:13], s[0:1], v2, s0, v[8:9]
	s_mov_b32 s0, 0xfc2757d1
	v_not_b32_e32 v15, 63
	v_mov_b32_e32 v8, v13
	v_mad_u64_u32 v[13:14], s[0:1], v2, s0, v[8:9]
	v_cmp_lt_u32_e32 vcc, 63, v6
	v_cndmask_b32_e32 v8, 0, v15, vcc
	v_add_u32_e32 v6, v8, v6
	v_mov_b32_e32 v8, v14
	s_mov_b32 s0, 0x4e441529
	v_mad_u64_u32 v[14:15], s[0:1], v2, s0, v[8:9]
	v_not_b32_e32 v16, 31
	v_cmp_lt_u32_e64 s[0:1], 31, v6
	v_cndmask_b32_e64 v8, 0, v16, s[0:1]
	v_add_u32_e32 v6, v8, v6
	v_mov_b32_e32 v8, v15
	s_mov_b32 s2, 0xa2f9836e
	v_mad_u64_u32 v[8:9], s[2:3], v2, s2, v[8:9]
	v_cmp_lt_u32_e64 s[2:3], 31, v6
	v_cndmask_b32_e64 v2, 0, v16, s[2:3]
	v_add_u32_e32 v2, v2, v6
	v_cndmask_b32_e32 v6, v14, v12, vcc
	v_cndmask_b32_e32 v8, v8, v13, vcc
	;; [unrolled: 1-line block ×3, first 2 shown]
	v_cndmask_b32_e64 v15, v8, v6, s[0:1]
	v_cndmask_b32_e64 v8, v9, v8, s[0:1]
	v_cndmask_b32_e32 v9, v13, v11, vcc
	v_cndmask_b32_e64 v6, v6, v9, s[0:1]
	v_cndmask_b32_e64 v8, v8, v15, s[2:3]
	;; [unrolled: 1-line block ×3, first 2 shown]
	v_sub_u32_e32 v14, 32, v2
	v_alignbit_b32 v15, v8, v13, v14
	v_cmp_eq_u32_e64 s[4:5], 0, v2
	v_cndmask_b32_e64 v2, v15, v8, s[4:5]
	v_cndmask_b32_e32 v8, v12, v10, vcc
	v_cndmask_b32_e64 v9, v9, v8, s[0:1]
	v_cndmask_b32_e64 v6, v6, v9, s[2:3]
	v_alignbit_b32 v10, v13, v6, v14
	v_cndmask_b32_e32 v5, v11, v5, vcc
	v_cndmask_b32_e64 v10, v10, v13, s[4:5]
	v_bfe_u32 v15, v2, 29, 1
	v_cndmask_b32_e64 v5, v8, v5, s[0:1]
	v_alignbit_b32 v12, v2, v10, 30
	v_sub_u32_e32 v16, 0, v15
	v_cndmask_b32_e64 v5, v9, v5, s[2:3]
	v_xor_b32_e32 v12, v12, v16
	v_alignbit_b32 v8, v6, v5, v14
	v_cndmask_b32_e64 v6, v8, v6, s[4:5]
	v_ffbh_u32_e32 v9, v12
	v_alignbit_b32 v8, v10, v6, 30
	v_min_u32_e32 v9, 32, v9
	v_alignbit_b32 v5, v6, v5, 30
	v_xor_b32_e32 v8, v8, v16
	v_sub_u32_e32 v10, 31, v9
	v_xor_b32_e32 v5, v5, v16
	v_alignbit_b32 v11, v12, v8, v10
	v_alignbit_b32 v5, v8, v5, v10
	;; [unrolled: 1-line block ×3, first 2 shown]
	v_ffbh_u32_e32 v8, v6
	v_min_u32_e32 v8, 32, v8
	v_lshrrev_b32_e32 v13, 29, v2
	v_not_b32_e32 v10, v8
	v_alignbit_b32 v5, v6, v5, v10
	v_lshlrev_b32_e32 v6, 31, v13
	v_or_b32_e32 v10, 0x33000000, v6
	v_add_lshl_u32 v8, v8, v9, 23
	v_lshrrev_b32_e32 v5, 9, v5
	v_sub_u32_e32 v8, v10, v8
	v_or_b32_e32 v6, 0.5, v6
	v_lshlrev_b32_e32 v9, 23, v9
	v_or_b32_e32 v5, v8, v5
	v_lshrrev_b32_e32 v8, 9, v11
	v_sub_u32_e32 v6, v6, v9
	v_or_b32_e32 v6, v8, v6
	s_mov_b32 s0, 0x3fc90fda
	v_mul_f32_e32 v8, 0x3fc90fda, v6
	v_fma_f32 v9, v6, s0, -v8
	v_fmac_f32_e32 v9, 0x33a22168, v6
	v_fmac_f32_e32 v9, 0x3fc90fda, v5
	v_lshrrev_b32_e32 v2, 30, v2
	v_add_f32_e32 v5, v8, v9
	v_add_u32_e32 v2, v15, v2
.LBB14_1334:
	s_andn2_saveexec_b64 s[0:1], s[22:23]
	s_cbranch_execz .LBB14_1336
; %bb.1335:
	s_mov_b32 s2, 0x3f22f983
	v_mul_f32_e64 v2, |v4|, s2
	v_rndne_f32_e32 v6, v2
	s_mov_b32 s2, 0xbfc90fda
	v_cvt_i32_f32_e32 v2, v6
	v_fma_f32 v5, v6, s2, |v4|
	v_fmac_f32_e32 v5, 0xb3a22168, v6
	v_fmac_f32_e32 v5, 0xa7c234c4, v6
.LBB14_1336:
	s_or_b64 exec, exec, s[0:1]
	v_mul_f32_e32 v6, v5, v5
	v_mov_b32_e32 v8, 0x3c0881c4
	v_fmac_f32_e32 v8, 0xb94c1982, v6
	v_mov_b32_e32 v9, 0xbe2aaa9d
	v_fmac_f32_e32 v9, v6, v8
	v_mul_f32_e32 v8, v6, v9
	v_fmac_f32_e32 v5, v5, v8
	v_mov_b32_e32 v8, 0xbab64f3b
	v_fmac_f32_e32 v8, 0x37d75334, v6
	v_mov_b32_e32 v9, 0x3d2aabf7
	;; [unrolled: 2-line block ×3, first 2 shown]
	v_fmac_f32_e32 v8, v6, v9
	v_fma_f32 v6, v6, v8, 1.0
	v_and_b32_e32 v8, 1, v2
	v_lshlrev_b32_e32 v2, 30, v2
	v_cmp_eq_u32_e32 vcc, 0, v8
	v_and_b32_e32 v2, 0x80000000, v2
	v_xor_b32_e32 v1, v1, v4
	v_cndmask_b32_e32 v5, v6, v5, vcc
	v_xor_b32_e32 v1, v1, v2
	s_movk_i32 s0, 0x1f8
	v_xor_b32_e32 v1, v1, v5
	v_mov_b32_e32 v2, 0x7fc00000
	v_cmp_class_f32_e64 vcc, v4, s0
	v_cndmask_b32_e32 v1, v2, v1, vcc
	v_div_scale_f32 v2, s[0:1], v4, v4, v1
	v_div_scale_f32 v5, vcc, v1, v4, v1
	v_rcp_f32_e32 v6, v2
	v_fma_f32 v8, -v2, v6, 1.0
	v_fmac_f32_e32 v6, v8, v6
	v_mul_f32_e32 v8, v5, v6
	v_fma_f32 v9, -v2, v8, v5
	v_fmac_f32_e32 v8, v9, v6
	v_fma_f32 v2, -v2, v8, v5
	v_div_fmas_f32 v2, v2, v6, v8
	v_div_fixup_f32 v2, v2, v4, v1
                                        ; implicit-def: $vgpr4
.LBB14_1337:
	s_andn2_saveexec_b64 s[0:1], s[20:21]
	s_cbranch_execz .LBB14_1339
; %bb.1338:
	v_mul_f32_e32 v1, v4, v4
	v_mov_b32_e32 v2, 0xb2d7322b
	v_fmac_f32_e32 v2, 0x2f309231, v1
	v_mov_b32_e32 v4, 0x3638ef1d
	v_fmac_f32_e32 v4, v1, v2
	v_mov_b32_e32 v2, 0xb9500d01
	v_fmac_f32_e32 v2, v1, v4
	v_mov_b32_e32 v4, 0x3c088889
	v_fmac_f32_e32 v4, v1, v2
	v_mov_b32_e32 v2, 0xbe2aaaab
	v_fmac_f32_e32 v2, v1, v4
	v_fma_f32 v2, v1, v2, 1.0
.LBB14_1339:
	s_or_b64 exec, exec, s[0:1]
.LBB14_1340:
	s_or_b64 exec, exec, s[14:15]
	v_add_u32_e32 v1, s13, v3
	v_ashrrev_i32_e32 v4, 31, v1
	v_mov_b32_e32 v5, s11
	v_add_co_u32_e32 v3, vcc, s10, v1
	s_cmp_lt_i32 s24, 11
	v_addc_co_u32_e32 v4, vcc, v5, v4, vcc
	s_cbranch_scc1 .LBB14_1347
; %bb.1341:
	s_cmp_gt_i32 s24, 25
	s_mov_b64 s[2:3], 0
	s_cbranch_scc0 .LBB14_1349
; %bb.1342:
	s_cmp_gt_i32 s24, 28
	s_cbranch_scc0 .LBB14_1350
; %bb.1343:
	s_cmp_gt_i32 s24, 43
	;; [unrolled: 3-line block ×3, first 2 shown]
	s_cbranch_scc0 .LBB14_1353
; %bb.1345:
	s_cmp_eq_u32 s24, 46
	s_mov_b64 s[14:15], 0
	s_cbranch_scc0 .LBB14_1354
; %bb.1346:
	global_load_dword v5, v[3:4], off
	s_mov_b64 s[0:1], 0
	s_mov_b64 s[4:5], -1
	s_waitcnt vmcnt(0)
	v_lshlrev_b32_e32 v5, 16, v5
	s_branch .LBB14_1355
.LBB14_1347:
	s_mov_b64 s[4:5], 0
                                        ; implicit-def: $vgpr5
	s_cbranch_execnz .LBB14_1421
.LBB14_1348:
	s_andn2_b64 vcc, exec, s[4:5]
	s_cbranch_vccnz .LBB14_1697
	s_branch .LBB14_1469
.LBB14_1349:
	s_mov_b64 s[14:15], -1
	s_mov_b64 s[4:5], 0
	s_mov_b64 s[0:1], 0
                                        ; implicit-def: $vgpr5
	s_branch .LBB14_1384
.LBB14_1350:
	s_mov_b64 s[14:15], -1
	s_mov_b64 s[4:5], 0
	s_mov_b64 s[0:1], 0
                                        ; implicit-def: $vgpr5
	s_branch .LBB14_1365
.LBB14_1351:
	s_mov_b64 s[14:15], -1
	s_mov_b64 s[4:5], 0
	s_mov_b64 s[0:1], 0
                                        ; implicit-def: $vgpr5
	s_branch .LBB14_1360
.LBB14_1352:
	s_trap 2
	s_or_b64 s[18:19], s[18:19], exec
	s_cbranch_execz .LBB14_1281
	s_branch .LBB14_1282
.LBB14_1353:
	s_mov_b64 s[14:15], -1
	s_mov_b64 s[4:5], 0
	s_mov_b64 s[0:1], 0
                                        ; implicit-def: $vgpr5
	s_branch .LBB14_1355
.LBB14_1354:
	s_mov_b64 s[0:1], -1
                                        ; implicit-def: $vgpr5
	s_mov_b64 s[4:5], 0
.LBB14_1355:
	s_and_b64 vcc, exec, s[14:15]
	s_cbranch_vccz .LBB14_1359
; %bb.1356:
	s_cmp_eq_u32 s24, 44
	s_cbranch_scc0 .LBB14_1358
; %bb.1357:
	global_load_ubyte v5, v[3:4], off
	s_movk_i32 s4, 0xff
	v_mov_b32_e32 v6, 0x7f800001
	v_mov_b32_e32 v8, 0x400000
	s_mov_b64 s[0:1], 0
	s_waitcnt vmcnt(0)
	v_lshlrev_b32_e32 v9, 23, v5
	v_cmp_ne_u32_e32 vcc, s4, v5
	v_cndmask_b32_e32 v6, v6, v9, vcc
	v_cmp_ne_u32_e32 vcc, 0, v5
	v_cndmask_b32_e32 v5, v8, v6, vcc
	s_mov_b64 s[4:5], -1
	s_branch .LBB14_1359
.LBB14_1358:
	s_mov_b64 s[0:1], -1
                                        ; implicit-def: $vgpr5
.LBB14_1359:
	s_mov_b64 s[14:15], 0
.LBB14_1360:
	s_and_b64 vcc, exec, s[14:15]
	s_cbranch_vccz .LBB14_1364
; %bb.1361:
	s_cmp_eq_u32 s24, 29
	s_cbranch_scc0 .LBB14_1363
; %bb.1362:
	global_load_dwordx2 v[5:6], v[3:4], off
	s_mov_b64 s[0:1], 0
	s_mov_b64 s[4:5], -1
	s_mov_b64 s[14:15], 0
	s_waitcnt vmcnt(0)
	v_ffbh_u32_e32 v8, v6
	v_min_u32_e32 v8, 32, v8
	v_lshlrev_b64 v[5:6], v8, v[5:6]
	v_min_u32_e32 v5, 1, v5
	v_or_b32_e32 v5, v6, v5
	v_cvt_f32_u32_e32 v5, v5
	v_sub_u32_e32 v6, 32, v8
	v_ldexp_f32 v5, v5, v6
	s_branch .LBB14_1365
.LBB14_1363:
	s_mov_b64 s[0:1], -1
                                        ; implicit-def: $vgpr5
.LBB14_1364:
	s_mov_b64 s[14:15], 0
.LBB14_1365:
	s_and_b64 vcc, exec, s[14:15]
	s_cbranch_vccz .LBB14_1383
; %bb.1366:
	s_cmp_lt_i32 s24, 27
	s_cbranch_scc1 .LBB14_1369
; %bb.1367:
	s_cmp_gt_i32 s24, 27
	s_cbranch_scc0 .LBB14_1370
; %bb.1368:
	global_load_dword v5, v[3:4], off
	s_mov_b64 s[4:5], 0
	s_waitcnt vmcnt(0)
	v_cvt_f32_u32_e32 v5, v5
	s_branch .LBB14_1371
.LBB14_1369:
	s_mov_b64 s[4:5], -1
                                        ; implicit-def: $vgpr5
	s_branch .LBB14_1374
.LBB14_1370:
	s_mov_b64 s[4:5], -1
                                        ; implicit-def: $vgpr5
.LBB14_1371:
	s_andn2_b64 vcc, exec, s[4:5]
	s_cbranch_vccnz .LBB14_1373
; %bb.1372:
	global_load_ushort v5, v[3:4], off
	s_waitcnt vmcnt(0)
	v_cvt_f32_u32_e32 v5, v5
.LBB14_1373:
	s_mov_b64 s[4:5], 0
.LBB14_1374:
	s_andn2_b64 vcc, exec, s[4:5]
	s_cbranch_vccnz .LBB14_1382
; %bb.1375:
	global_load_ubyte v6, v[3:4], off
	s_movk_i32 s4, 0x7f
	s_waitcnt vmcnt(0)
	v_cmp_lt_i16_e32 vcc, s4, v6
	s_mov_b64 s[4:5], 0
	s_and_saveexec_b64 s[14:15], vcc
	s_xor_b64 s[14:15], exec, s[14:15]
	s_cbranch_execz .LBB14_1396
; %bb.1376:
	s_movk_i32 s4, 0x80
	v_cmp_eq_u16_e32 vcc, s4, v6
	s_mov_b64 s[4:5], -1
	s_and_saveexec_b64 s[20:21], vcc
; %bb.1377:
	s_xor_b64 s[4:5], exec, -1
; %bb.1378:
	s_or_b64 exec, exec, s[20:21]
	s_and_b64 s[4:5], s[4:5], exec
	s_or_saveexec_b64 s[14:15], s[14:15]
	v_mov_b32_e32 v5, 0x7f800001
	s_xor_b64 exec, exec, s[14:15]
	s_cbranch_execnz .LBB14_1397
.LBB14_1379:
	s_or_b64 exec, exec, s[14:15]
	s_and_saveexec_b64 s[14:15], s[4:5]
	s_cbranch_execz .LBB14_1381
.LBB14_1380:
	v_lshlrev_b32_e32 v5, 24, v6
	v_and_b32_e32 v6, 0xffff, v6
	v_and_b32_e32 v8, 7, v6
	v_ffbh_u32_e32 v10, v8
	v_min_u32_e32 v10, 32, v10
	v_subrev_u32_e32 v11, 28, v10
	v_bfe_u32 v9, v6, 3, 4
	v_lshlrev_b32_e32 v6, v11, v6
	v_sub_u32_e32 v10, 29, v10
	v_and_b32_e32 v6, 7, v6
	v_cmp_eq_u32_e32 vcc, 0, v9
	v_cndmask_b32_e32 v9, v9, v10, vcc
	v_cndmask_b32_e32 v6, v8, v6, vcc
	v_mov_b32_e32 v8, 0x3b800000
	v_lshlrev_b32_e32 v6, 20, v6
	v_and_b32_e32 v5, 0x80000000, v5
	v_lshl_add_u32 v8, v9, 23, v8
	v_or3_b32 v5, v5, v8, v6
.LBB14_1381:
	s_or_b64 exec, exec, s[14:15]
.LBB14_1382:
	s_mov_b64 s[4:5], -1
.LBB14_1383:
	s_mov_b64 s[14:15], 0
.LBB14_1384:
	s_and_b64 vcc, exec, s[14:15]
	s_cbranch_vccz .LBB14_1417
; %bb.1385:
	s_cmp_gt_i32 s24, 22
	s_cbranch_scc0 .LBB14_1395
; %bb.1386:
	s_cmp_lt_i32 s24, 24
	s_cbranch_scc1 .LBB14_1398
; %bb.1387:
	s_cmp_gt_i32 s24, 24
	s_cbranch_scc0 .LBB14_1399
; %bb.1388:
	global_load_ubyte v6, v[3:4], off
	s_movk_i32 s2, 0x7f
	s_waitcnt vmcnt(0)
	v_cmp_lt_i16_e32 vcc, s2, v6
	s_mov_b64 s[2:3], 0
	s_and_saveexec_b64 s[4:5], vcc
	s_xor_b64 s[4:5], exec, s[4:5]
	s_cbranch_execz .LBB14_1411
; %bb.1389:
	s_movk_i32 s2, 0x80
	v_cmp_eq_u16_e32 vcc, s2, v6
	s_mov_b64 s[2:3], -1
	s_and_saveexec_b64 s[14:15], vcc
; %bb.1390:
	s_xor_b64 s[2:3], exec, -1
; %bb.1391:
	s_or_b64 exec, exec, s[14:15]
	s_and_b64 s[2:3], s[2:3], exec
	s_or_saveexec_b64 s[4:5], s[4:5]
	v_mov_b32_e32 v5, 0x7f800001
	s_xor_b64 exec, exec, s[4:5]
	s_cbranch_execnz .LBB14_1412
.LBB14_1392:
	s_or_b64 exec, exec, s[4:5]
	s_and_saveexec_b64 s[4:5], s[2:3]
	s_cbranch_execz .LBB14_1394
.LBB14_1393:
	v_lshlrev_b32_e32 v5, 24, v6
	v_and_b32_e32 v6, 0xffff, v6
	v_and_b32_e32 v8, 3, v6
	v_ffbh_u32_e32 v10, v8
	v_min_u32_e32 v10, 32, v10
	v_subrev_u32_e32 v11, 29, v10
	v_bfe_u32 v9, v6, 2, 5
	v_lshlrev_b32_e32 v6, v11, v6
	v_sub_u32_e32 v10, 30, v10
	v_and_b32_e32 v6, 3, v6
	v_cmp_eq_u32_e32 vcc, 0, v9
	v_cndmask_b32_e32 v9, v9, v10, vcc
	v_cndmask_b32_e32 v6, v8, v6, vcc
	v_mov_b32_e32 v8, 0x37800000
	v_lshlrev_b32_e32 v6, 21, v6
	v_and_b32_e32 v5, 0x80000000, v5
	v_lshl_add_u32 v8, v9, 23, v8
	v_or3_b32 v5, v5, v8, v6
.LBB14_1394:
	s_or_b64 exec, exec, s[4:5]
	s_mov_b64 s[2:3], 0
	s_branch .LBB14_1400
.LBB14_1395:
	s_mov_b64 s[2:3], -1
                                        ; implicit-def: $vgpr5
	s_branch .LBB14_1406
.LBB14_1396:
	s_or_saveexec_b64 s[14:15], s[14:15]
	v_mov_b32_e32 v5, 0x7f800001
	s_xor_b64 exec, exec, s[14:15]
	s_cbranch_execz .LBB14_1379
.LBB14_1397:
	v_cmp_ne_u16_e32 vcc, 0, v6
	s_andn2_b64 s[4:5], s[4:5], exec
	s_and_b64 s[20:21], vcc, exec
	v_mov_b32_e32 v5, 0
	s_or_b64 s[4:5], s[4:5], s[20:21]
	s_or_b64 exec, exec, s[14:15]
	s_and_saveexec_b64 s[14:15], s[4:5]
	s_cbranch_execnz .LBB14_1380
	s_branch .LBB14_1381
.LBB14_1398:
	s_mov_b64 s[2:3], -1
                                        ; implicit-def: $vgpr5
	s_branch .LBB14_1403
.LBB14_1399:
	s_mov_b64 s[2:3], -1
                                        ; implicit-def: $vgpr5
.LBB14_1400:
	s_and_b64 vcc, exec, s[2:3]
	s_cbranch_vccz .LBB14_1402
; %bb.1401:
	global_load_ubyte v5, v[3:4], off
	s_mov_b32 s2, 0x7f800000
	s_waitcnt vmcnt(0)
	v_lshlrev_b32_e32 v5, 24, v5
	v_and_b32_e32 v6, 0x7f000000, v5
	v_ffbh_u32_e32 v8, v6
	v_min_u32_e32 v8, 32, v8
	v_sub_u32_e64 v8, v8, 4 clamp
	v_lshlrev_b32_e32 v10, v8, v6
	v_lshlrev_b32_e32 v8, 23, v8
	v_lshrrev_b32_e32 v10, 4, v10
	v_add_u32_e32 v9, 0x1000000, v6
	v_sub_u32_e32 v8, v10, v8
	v_ashrrev_i32_e32 v9, 8, v9
	v_add_u32_e32 v8, 0x3c000000, v8
	v_and_or_b32 v8, v9, s2, v8
	v_cmp_ne_u32_e32 vcc, 0, v6
	v_cndmask_b32_e32 v6, 0, v8, vcc
	s_brev_b32 s2, 1
	v_and_or_b32 v5, v5, s2, v6
.LBB14_1402:
	s_mov_b64 s[2:3], 0
.LBB14_1403:
	s_andn2_b64 vcc, exec, s[2:3]
	s_cbranch_vccnz .LBB14_1405
; %bb.1404:
	global_load_ubyte v5, v[3:4], off
	s_movk_i32 s2, 0x7f00
	s_brev_b32 s3, 16
	s_waitcnt vmcnt(0)
	v_lshlrev_b16_e32 v6, 8, v5
	v_lshlrev_b32_e32 v5, 25, v5
	v_lshrrev_b32_e32 v8, 4, v5
	v_and_or_b32 v9, v6, s2, 0.5
	v_or_b32_e32 v8, 0x70000000, v8
	v_add_f32_e32 v9, -0.5, v9
	v_mul_f32_e32 v8, 0x7800000, v8
	v_cmp_gt_u32_e32 vcc, s3, v5
	v_bfe_i32 v6, v6, 0, 16
	v_cndmask_b32_e32 v5, v8, v9, vcc
	s_brev_b32 s2, 1
	v_and_or_b32 v5, v6, s2, v5
.LBB14_1405:
	s_mov_b64 s[2:3], 0
	s_mov_b64 s[4:5], -1
.LBB14_1406:
	s_andn2_b64 vcc, exec, s[2:3]
	s_mov_b64 s[2:3], 0
	s_cbranch_vccnz .LBB14_1417
; %bb.1407:
	s_cmp_gt_i32 s24, 14
	s_cbranch_scc0 .LBB14_1410
; %bb.1408:
	s_cmp_eq_u32 s24, 15
	s_cbranch_scc0 .LBB14_1413
; %bb.1409:
	global_load_ushort v5, v[3:4], off
	s_mov_b64 s[0:1], 0
	s_mov_b64 s[4:5], -1
	s_waitcnt vmcnt(0)
	v_lshlrev_b32_e32 v5, 16, v5
	s_branch .LBB14_1414
.LBB14_1410:
	s_mov_b64 s[14:15], -1
                                        ; implicit-def: $vgpr5
	s_branch .LBB14_1415
.LBB14_1411:
	s_or_saveexec_b64 s[4:5], s[4:5]
	v_mov_b32_e32 v5, 0x7f800001
	s_xor_b64 exec, exec, s[4:5]
	s_cbranch_execz .LBB14_1392
.LBB14_1412:
	v_cmp_ne_u16_e32 vcc, 0, v6
	s_andn2_b64 s[2:3], s[2:3], exec
	s_and_b64 s[14:15], vcc, exec
	v_mov_b32_e32 v5, 0
	s_or_b64 s[2:3], s[2:3], s[14:15]
	s_or_b64 exec, exec, s[4:5]
	s_and_saveexec_b64 s[4:5], s[2:3]
	s_cbranch_execnz .LBB14_1393
	s_branch .LBB14_1394
.LBB14_1413:
	s_mov_b64 s[0:1], -1
                                        ; implicit-def: $vgpr5
.LBB14_1414:
	s_mov_b64 s[14:15], 0
.LBB14_1415:
	s_and_b64 vcc, exec, s[14:15]
	s_cbranch_vccz .LBB14_1417
; %bb.1416:
	s_cmp_lg_u32 s24, 11
	s_mov_b64 s[2:3], -1
	s_cselect_b64 s[0:1], -1, 0
.LBB14_1417:
	s_and_b64 vcc, exec, s[0:1]
	s_cbranch_vccnz .LBB14_1490
; %bb.1418:
	s_andn2_b64 vcc, exec, s[2:3]
	s_cbranch_vccnz .LBB14_1420
.LBB14_1419:
	global_load_ubyte v5, v[3:4], off
	s_mov_b64 s[4:5], -1
	s_waitcnt vmcnt(0)
	v_cmp_ne_u16_e32 vcc, 0, v5
	v_cndmask_b32_e64 v5, 0, 1.0, vcc
.LBB14_1420:
	s_branch .LBB14_1348
.LBB14_1421:
	s_cmp_lt_i32 s24, 5
	s_cbranch_scc1 .LBB14_1426
; %bb.1422:
	s_cmp_lt_i32 s24, 8
	s_cbranch_scc1 .LBB14_1427
; %bb.1423:
	;; [unrolled: 3-line block ×3, first 2 shown]
	s_cmp_gt_i32 s24, 9
	s_cbranch_scc0 .LBB14_1429
; %bb.1425:
	global_load_dwordx2 v[5:6], v[3:4], off
	s_mov_b64 s[0:1], 0
	s_waitcnt vmcnt(0)
	v_cvt_f32_f64_e32 v5, v[5:6]
	s_branch .LBB14_1430
.LBB14_1426:
	s_mov_b64 s[0:1], -1
                                        ; implicit-def: $vgpr5
	s_branch .LBB14_1448
.LBB14_1427:
	s_mov_b64 s[0:1], -1
                                        ; implicit-def: $vgpr5
	s_branch .LBB14_1436
.LBB14_1428:
	s_mov_b64 s[0:1], -1
                                        ; implicit-def: $vgpr5
	s_branch .LBB14_1433
.LBB14_1429:
	s_mov_b64 s[0:1], -1
                                        ; implicit-def: $vgpr5
.LBB14_1430:
	s_andn2_b64 vcc, exec, s[0:1]
	s_cbranch_vccnz .LBB14_1432
; %bb.1431:
	global_load_dword v5, v[3:4], off
.LBB14_1432:
	s_mov_b64 s[0:1], 0
.LBB14_1433:
	s_andn2_b64 vcc, exec, s[0:1]
	s_cbranch_vccnz .LBB14_1435
; %bb.1434:
	global_load_dword v5, v[3:4], off
	s_waitcnt vmcnt(0)
	v_cvt_f32_f16_e32 v5, v5
.LBB14_1435:
	s_mov_b64 s[0:1], 0
.LBB14_1436:
	s_andn2_b64 vcc, exec, s[0:1]
	s_cbranch_vccnz .LBB14_1447
; %bb.1437:
	s_cmp_lt_i32 s24, 6
	s_cbranch_scc1 .LBB14_1440
; %bb.1438:
	s_cmp_gt_i32 s24, 6
	s_cbranch_scc0 .LBB14_1441
; %bb.1439:
	global_load_dwordx2 v[5:6], v[3:4], off
	s_mov_b64 s[0:1], 0
	s_waitcnt vmcnt(0)
	v_cvt_f32_f64_e32 v5, v[5:6]
	s_branch .LBB14_1442
.LBB14_1440:
	s_mov_b64 s[0:1], -1
                                        ; implicit-def: $vgpr5
	s_branch .LBB14_1445
.LBB14_1441:
	s_mov_b64 s[0:1], -1
                                        ; implicit-def: $vgpr5
.LBB14_1442:
	s_andn2_b64 vcc, exec, s[0:1]
	s_cbranch_vccnz .LBB14_1444
; %bb.1443:
	global_load_dword v5, v[3:4], off
.LBB14_1444:
	s_mov_b64 s[0:1], 0
.LBB14_1445:
	s_andn2_b64 vcc, exec, s[0:1]
	s_cbranch_vccnz .LBB14_1447
; %bb.1446:
	global_load_ushort v5, v[3:4], off
	s_waitcnt vmcnt(0)
	v_cvt_f32_f16_e32 v5, v5
.LBB14_1447:
	s_mov_b64 s[0:1], 0
.LBB14_1448:
	s_andn2_b64 vcc, exec, s[0:1]
	s_cbranch_vccnz .LBB14_1468
; %bb.1449:
	s_cmp_lt_i32 s24, 2
	s_cbranch_scc1 .LBB14_1453
; %bb.1450:
	s_cmp_lt_i32 s24, 3
	s_cbranch_scc1 .LBB14_1454
; %bb.1451:
	s_cmp_gt_i32 s24, 3
	s_cbranch_scc0 .LBB14_1455
; %bb.1452:
	global_load_dwordx2 v[5:6], v[3:4], off
	s_mov_b64 s[0:1], 0
	s_waitcnt vmcnt(0)
	v_xor_b32_e32 v9, v5, v6
	v_ffbh_i32_e32 v8, v6
	v_ashrrev_i32_e32 v9, 31, v9
	v_add_u32_e32 v8, -1, v8
	v_add_u32_e32 v9, 32, v9
	v_min_u32_e32 v8, v8, v9
	v_lshlrev_b64 v[5:6], v8, v[5:6]
	v_min_u32_e32 v5, 1, v5
	v_or_b32_e32 v5, v6, v5
	v_cvt_f32_i32_e32 v5, v5
	v_sub_u32_e32 v6, 32, v8
	v_ldexp_f32 v5, v5, v6
	s_branch .LBB14_1456
.LBB14_1453:
	s_mov_b64 s[0:1], -1
                                        ; implicit-def: $vgpr5
	s_branch .LBB14_1462
.LBB14_1454:
	s_mov_b64 s[0:1], -1
                                        ; implicit-def: $vgpr5
	s_branch .LBB14_1459
.LBB14_1455:
	s_mov_b64 s[0:1], -1
                                        ; implicit-def: $vgpr5
.LBB14_1456:
	s_andn2_b64 vcc, exec, s[0:1]
	s_cbranch_vccnz .LBB14_1458
; %bb.1457:
	global_load_dword v5, v[3:4], off
	s_waitcnt vmcnt(0)
	v_cvt_f32_i32_e32 v5, v5
.LBB14_1458:
	s_mov_b64 s[0:1], 0
.LBB14_1459:
	s_andn2_b64 vcc, exec, s[0:1]
	s_cbranch_vccnz .LBB14_1461
; %bb.1460:
	global_load_sshort v5, v[3:4], off
	s_waitcnt vmcnt(0)
	v_cvt_f32_i32_e32 v5, v5
.LBB14_1461:
	s_mov_b64 s[0:1], 0
.LBB14_1462:
	s_andn2_b64 vcc, exec, s[0:1]
	s_cbranch_vccnz .LBB14_1468
; %bb.1463:
	s_cmp_gt_i32 s24, 0
	s_cbranch_scc0 .LBB14_1465
; %bb.1464:
	global_load_sbyte v5, v[3:4], off
	s_mov_b64 s[0:1], 0
	s_waitcnt vmcnt(0)
	v_cvt_f32_i32_e32 v5, v5
	s_branch .LBB14_1466
.LBB14_1465:
	s_mov_b64 s[0:1], -1
                                        ; implicit-def: $vgpr5
.LBB14_1466:
	s_andn2_b64 vcc, exec, s[0:1]
	s_cbranch_vccnz .LBB14_1468
; %bb.1467:
	global_load_ubyte v3, v[3:4], off
	s_waitcnt vmcnt(0)
	v_cvt_f32_ubyte0_e32 v5, v3
.LBB14_1468:
.LBB14_1469:
	s_mov_b32 s0, 0x7f800000
	s_waitcnt vmcnt(0)
	v_cmp_neq_f32_e64 s[0:1], |v5|, s0
	v_mov_b32_e32 v4, 0
	s_and_saveexec_b64 s[14:15], s[0:1]
	s_cbranch_execz .LBB14_1479
; %bb.1470:
	v_cmp_nlt_f32_e64 s[0:1], |v5|, 0.5
                                        ; implicit-def: $vgpr4
	s_and_saveexec_b64 s[2:3], s[0:1]
	s_xor_b64 s[20:21], exec, s[2:3]
	s_cbranch_execz .LBB14_1476
; %bb.1471:
	s_brev_b32 s0, 18
	v_and_b32_e32 v3, 0x7fffffff, v5
	v_cmp_nlt_f32_e64 s[0:1], |v5|, s0
                                        ; implicit-def: $vgpr4
                                        ; implicit-def: $vgpr6
	s_and_saveexec_b64 s[2:3], s[0:1]
	s_xor_b64 s[22:23], exec, s[2:3]
	s_cbranch_execz .LBB14_1473
; %bb.1472:
	v_and_b32_e32 v4, 0x7fffff, v3
	v_or_b32_e32 v4, 0x800000, v4
	s_mov_b32 s0, 0xfe5163ab
	v_mad_u64_u32 v[8:9], s[0:1], v4, s0, 0
	v_mov_b32_e32 v10, 0
	s_mov_b32 s0, 0x3c439041
	v_mad_u64_u32 v[11:12], s[0:1], v4, s0, v[9:10]
	s_mov_b32 s0, 0xdb629599
	v_lshrrev_b32_e32 v6, 23, v3
	v_mov_b32_e32 v9, v12
	v_mad_u64_u32 v[12:13], s[0:1], v4, s0, v[9:10]
	s_mov_b32 s0, 0xf534ddc0
	v_add_u32_e32 v6, 0xffffff88, v6
	v_mov_b32_e32 v9, v13
	v_mad_u64_u32 v[13:14], s[0:1], v4, s0, v[9:10]
	s_mov_b32 s0, 0xfc2757d1
	v_not_b32_e32 v16, 63
	v_mov_b32_e32 v9, v14
	v_mad_u64_u32 v[14:15], s[0:1], v4, s0, v[9:10]
	v_cmp_lt_u32_e32 vcc, 63, v6
	v_cndmask_b32_e32 v9, 0, v16, vcc
	v_add_u32_e32 v6, v9, v6
	v_mov_b32_e32 v9, v15
	s_mov_b32 s0, 0x4e441529
	v_mad_u64_u32 v[15:16], s[0:1], v4, s0, v[9:10]
	v_not_b32_e32 v17, 31
	v_cmp_lt_u32_e64 s[0:1], 31, v6
	v_cndmask_b32_e64 v9, 0, v17, s[0:1]
	v_add_u32_e32 v6, v9, v6
	v_mov_b32_e32 v9, v16
	s_mov_b32 s2, 0xa2f9836e
	v_mad_u64_u32 v[9:10], s[2:3], v4, s2, v[9:10]
	v_cmp_lt_u32_e64 s[2:3], 31, v6
	v_cndmask_b32_e64 v4, 0, v17, s[2:3]
	v_add_u32_e32 v4, v4, v6
	v_cndmask_b32_e32 v6, v15, v13, vcc
	v_cndmask_b32_e32 v9, v9, v14, vcc
	v_cndmask_b32_e32 v10, v10, v15, vcc
	v_cndmask_b32_e64 v16, v9, v6, s[0:1]
	v_cndmask_b32_e64 v9, v10, v9, s[0:1]
	v_cndmask_b32_e32 v10, v14, v12, vcc
	v_cndmask_b32_e64 v6, v6, v10, s[0:1]
	v_cndmask_b32_e64 v9, v9, v16, s[2:3]
	;; [unrolled: 1-line block ×3, first 2 shown]
	v_sub_u32_e32 v15, 32, v4
	v_alignbit_b32 v16, v9, v14, v15
	v_cmp_eq_u32_e64 s[4:5], 0, v4
	v_cndmask_b32_e64 v4, v16, v9, s[4:5]
	v_cndmask_b32_e32 v9, v13, v11, vcc
	v_cndmask_b32_e64 v10, v10, v9, s[0:1]
	v_cndmask_b32_e64 v6, v6, v10, s[2:3]
	v_alignbit_b32 v11, v14, v6, v15
	v_cndmask_b32_e32 v8, v12, v8, vcc
	v_cndmask_b32_e64 v11, v11, v14, s[4:5]
	v_bfe_u32 v16, v4, 29, 1
	v_cndmask_b32_e64 v8, v9, v8, s[0:1]
	v_alignbit_b32 v13, v4, v11, 30
	v_sub_u32_e32 v17, 0, v16
	v_cndmask_b32_e64 v8, v10, v8, s[2:3]
	v_xor_b32_e32 v13, v13, v17
	v_alignbit_b32 v9, v6, v8, v15
	v_cndmask_b32_e64 v6, v9, v6, s[4:5]
	v_ffbh_u32_e32 v10, v13
	v_alignbit_b32 v9, v11, v6, 30
	v_min_u32_e32 v10, 32, v10
	v_alignbit_b32 v6, v6, v8, 30
	v_xor_b32_e32 v9, v9, v17
	v_sub_u32_e32 v11, 31, v10
	v_xor_b32_e32 v6, v6, v17
	v_alignbit_b32 v12, v13, v9, v11
	v_alignbit_b32 v6, v9, v6, v11
	;; [unrolled: 1-line block ×3, first 2 shown]
	v_ffbh_u32_e32 v9, v8
	v_min_u32_e32 v9, 32, v9
	v_lshrrev_b32_e32 v14, 29, v4
	v_not_b32_e32 v11, v9
	v_alignbit_b32 v6, v8, v6, v11
	v_lshlrev_b32_e32 v8, 31, v14
	v_or_b32_e32 v11, 0x33000000, v8
	v_add_lshl_u32 v9, v9, v10, 23
	v_lshrrev_b32_e32 v6, 9, v6
	v_sub_u32_e32 v9, v11, v9
	v_or_b32_e32 v8, 0.5, v8
	v_lshlrev_b32_e32 v10, 23, v10
	v_or_b32_e32 v6, v9, v6
	v_lshrrev_b32_e32 v9, 9, v12
	v_sub_u32_e32 v8, v8, v10
	v_or_b32_e32 v8, v9, v8
	s_mov_b32 s0, 0x3fc90fda
	v_mul_f32_e32 v9, 0x3fc90fda, v8
	v_fma_f32 v10, v8, s0, -v9
	v_fmac_f32_e32 v10, 0x33a22168, v8
	v_fmac_f32_e32 v10, 0x3fc90fda, v6
	v_lshrrev_b32_e32 v4, 30, v4
	v_add_f32_e32 v6, v9, v10
	v_add_u32_e32 v4, v16, v4
.LBB14_1473:
	s_andn2_saveexec_b64 s[0:1], s[22:23]
	s_cbranch_execz .LBB14_1475
; %bb.1474:
	s_mov_b32 s2, 0x3f22f983
	v_mul_f32_e64 v4, |v5|, s2
	v_rndne_f32_e32 v8, v4
	s_mov_b32 s2, 0xbfc90fda
	v_cvt_i32_f32_e32 v4, v8
	v_fma_f32 v6, v8, s2, |v5|
	v_fmac_f32_e32 v6, 0xb3a22168, v8
	v_fmac_f32_e32 v6, 0xa7c234c4, v8
.LBB14_1475:
	s_or_b64 exec, exec, s[0:1]
	v_mul_f32_e32 v8, v6, v6
	v_mov_b32_e32 v9, 0x3c0881c4
	v_fmac_f32_e32 v9, 0xb94c1982, v8
	v_mov_b32_e32 v10, 0xbe2aaa9d
	v_fmac_f32_e32 v10, v8, v9
	v_mul_f32_e32 v9, v8, v10
	v_fmac_f32_e32 v6, v6, v9
	v_mov_b32_e32 v9, 0xbab64f3b
	v_fmac_f32_e32 v9, 0x37d75334, v8
	v_mov_b32_e32 v10, 0x3d2aabf7
	;; [unrolled: 2-line block ×3, first 2 shown]
	v_fmac_f32_e32 v9, v8, v10
	v_fma_f32 v8, v8, v9, 1.0
	v_and_b32_e32 v9, 1, v4
	v_lshlrev_b32_e32 v4, 30, v4
	v_cmp_eq_u32_e32 vcc, 0, v9
	v_and_b32_e32 v4, 0x80000000, v4
	v_xor_b32_e32 v3, v3, v5
	v_cndmask_b32_e32 v6, v8, v6, vcc
	v_xor_b32_e32 v3, v3, v4
	s_movk_i32 s0, 0x1f8
	v_xor_b32_e32 v3, v3, v6
	v_mov_b32_e32 v4, 0x7fc00000
	v_cmp_class_f32_e64 vcc, v5, s0
	v_cndmask_b32_e32 v3, v4, v3, vcc
	v_div_scale_f32 v4, s[0:1], v5, v5, v3
	v_div_scale_f32 v6, vcc, v3, v5, v3
	v_rcp_f32_e32 v8, v4
	v_fma_f32 v9, -v4, v8, 1.0
	v_fmac_f32_e32 v8, v9, v8
	v_mul_f32_e32 v9, v6, v8
	v_fma_f32 v10, -v4, v9, v6
	v_fmac_f32_e32 v9, v10, v8
	v_fma_f32 v4, -v4, v9, v6
	v_div_fmas_f32 v4, v4, v8, v9
	v_div_fixup_f32 v4, v4, v5, v3
                                        ; implicit-def: $vgpr5
.LBB14_1476:
	s_andn2_saveexec_b64 s[0:1], s[20:21]
	s_cbranch_execz .LBB14_1478
; %bb.1477:
	v_mul_f32_e32 v3, v5, v5
	v_mov_b32_e32 v4, 0xb2d7322b
	v_fmac_f32_e32 v4, 0x2f309231, v3
	v_mov_b32_e32 v5, 0x3638ef1d
	v_fmac_f32_e32 v5, v3, v4
	;; [unrolled: 2-line block ×5, first 2 shown]
	v_fma_f32 v4, v3, v4, 1.0
.LBB14_1478:
	s_or_b64 exec, exec, s[0:1]
.LBB14_1479:
	s_or_b64 exec, exec, s[14:15]
	v_add_u32_e32 v1, s13, v1
	v_ashrrev_i32_e32 v3, 31, v1
	v_mov_b32_e32 v6, s11
	v_add_co_u32_e32 v5, vcc, s10, v1
	s_cmp_lt_i32 s24, 11
	v_addc_co_u32_e32 v6, vcc, v6, v3, vcc
	s_cbranch_scc1 .LBB14_1486
; %bb.1480:
	s_cmp_gt_i32 s24, 25
	s_mov_b64 s[2:3], 0
	s_cbranch_scc0 .LBB14_1487
; %bb.1481:
	s_cmp_gt_i32 s24, 28
	s_cbranch_scc0 .LBB14_1488
; %bb.1482:
	s_cmp_gt_i32 s24, 43
	;; [unrolled: 3-line block ×3, first 2 shown]
	s_cbranch_scc0 .LBB14_1491
; %bb.1484:
	s_cmp_eq_u32 s24, 46
	s_mov_b64 s[10:11], 0
	s_cbranch_scc0 .LBB14_1492
; %bb.1485:
	global_load_dword v1, v[5:6], off
	s_mov_b64 s[0:1], 0
	s_mov_b64 s[4:5], -1
	s_waitcnt vmcnt(0)
	v_lshlrev_b32_e32 v1, 16, v1
	s_branch .LBB14_1493
.LBB14_1486:
	s_mov_b64 s[0:1], -1
	s_mov_b64 s[4:5], 0
                                        ; implicit-def: $vgpr1
	s_branch .LBB14_1559
.LBB14_1487:
	s_mov_b64 s[10:11], -1
	s_mov_b64 s[4:5], 0
	s_mov_b64 s[0:1], 0
                                        ; implicit-def: $vgpr1
	s_branch .LBB14_1522
.LBB14_1488:
	s_mov_b64 s[10:11], -1
	s_mov_b64 s[4:5], 0
	s_mov_b64 s[0:1], 0
                                        ; implicit-def: $vgpr1
	s_branch .LBB14_1503
.LBB14_1489:
	s_mov_b64 s[10:11], -1
	s_mov_b64 s[4:5], 0
	s_mov_b64 s[0:1], 0
                                        ; implicit-def: $vgpr1
	s_branch .LBB14_1498
.LBB14_1490:
	s_trap 2
	s_or_b64 s[18:19], s[18:19], exec
	s_cbranch_execz .LBB14_1419
	s_branch .LBB14_1420
.LBB14_1491:
	s_mov_b64 s[10:11], -1
	s_mov_b64 s[4:5], 0
	s_mov_b64 s[0:1], 0
                                        ; implicit-def: $vgpr1
	s_branch .LBB14_1493
.LBB14_1492:
	s_mov_b64 s[0:1], -1
                                        ; implicit-def: $vgpr1
	s_mov_b64 s[4:5], 0
.LBB14_1493:
	s_and_b64 vcc, exec, s[10:11]
	s_cbranch_vccz .LBB14_1497
; %bb.1494:
	s_cmp_eq_u32 s24, 44
	s_cbranch_scc0 .LBB14_1496
; %bb.1495:
	global_load_ubyte v1, v[5:6], off
	s_movk_i32 s4, 0xff
	v_mov_b32_e32 v3, 0x7f800001
	v_mov_b32_e32 v8, 0x400000
	s_mov_b64 s[0:1], 0
	s_waitcnt vmcnt(0)
	v_lshlrev_b32_e32 v9, 23, v1
	v_cmp_ne_u32_e32 vcc, s4, v1
	v_cndmask_b32_e32 v3, v3, v9, vcc
	v_cmp_ne_u32_e32 vcc, 0, v1
	v_cndmask_b32_e32 v1, v8, v3, vcc
	s_mov_b64 s[4:5], -1
	s_branch .LBB14_1497
.LBB14_1496:
	s_mov_b64 s[0:1], -1
                                        ; implicit-def: $vgpr1
.LBB14_1497:
	s_mov_b64 s[10:11], 0
.LBB14_1498:
	s_and_b64 vcc, exec, s[10:11]
	s_cbranch_vccz .LBB14_1502
; %bb.1499:
	s_cmp_eq_u32 s24, 29
	s_cbranch_scc0 .LBB14_1501
; %bb.1500:
	global_load_dwordx2 v[8:9], v[5:6], off
	s_mov_b64 s[0:1], 0
	s_mov_b64 s[4:5], -1
	s_mov_b64 s[10:11], 0
	s_waitcnt vmcnt(0)
	v_ffbh_u32_e32 v1, v9
	v_min_u32_e32 v1, 32, v1
	v_lshlrev_b64 v[8:9], v1, v[8:9]
	v_sub_u32_e32 v1, 32, v1
	v_min_u32_e32 v3, 1, v8
	v_or_b32_e32 v3, v9, v3
	v_cvt_f32_u32_e32 v3, v3
	v_ldexp_f32 v1, v3, v1
	s_branch .LBB14_1503
.LBB14_1501:
	s_mov_b64 s[0:1], -1
                                        ; implicit-def: $vgpr1
.LBB14_1502:
	s_mov_b64 s[10:11], 0
.LBB14_1503:
	s_and_b64 vcc, exec, s[10:11]
	s_cbranch_vccz .LBB14_1521
; %bb.1504:
	s_cmp_lt_i32 s24, 27
	s_cbranch_scc1 .LBB14_1507
; %bb.1505:
	s_cmp_gt_i32 s24, 27
	s_cbranch_scc0 .LBB14_1508
; %bb.1506:
	global_load_dword v1, v[5:6], off
	s_mov_b64 s[4:5], 0
	s_waitcnt vmcnt(0)
	v_cvt_f32_u32_e32 v1, v1
	s_branch .LBB14_1509
.LBB14_1507:
	s_mov_b64 s[4:5], -1
                                        ; implicit-def: $vgpr1
	s_branch .LBB14_1512
.LBB14_1508:
	s_mov_b64 s[4:5], -1
                                        ; implicit-def: $vgpr1
.LBB14_1509:
	s_andn2_b64 vcc, exec, s[4:5]
	s_cbranch_vccnz .LBB14_1511
; %bb.1510:
	global_load_ushort v1, v[5:6], off
	s_waitcnt vmcnt(0)
	v_cvt_f32_u32_e32 v1, v1
.LBB14_1511:
	s_mov_b64 s[4:5], 0
.LBB14_1512:
	s_andn2_b64 vcc, exec, s[4:5]
	s_cbranch_vccnz .LBB14_1520
; %bb.1513:
	global_load_ubyte v3, v[5:6], off
	s_movk_i32 s4, 0x7f
	s_waitcnt vmcnt(0)
	v_cmp_lt_i16_e32 vcc, s4, v3
	s_mov_b64 s[4:5], 0
	s_and_saveexec_b64 s[10:11], vcc
	s_xor_b64 s[10:11], exec, s[10:11]
	s_cbranch_execz .LBB14_1534
; %bb.1514:
	s_movk_i32 s4, 0x80
	v_cmp_eq_u16_e32 vcc, s4, v3
	s_mov_b64 s[4:5], -1
	s_and_saveexec_b64 s[14:15], vcc
; %bb.1515:
	s_xor_b64 s[4:5], exec, -1
; %bb.1516:
	s_or_b64 exec, exec, s[14:15]
	s_and_b64 s[4:5], s[4:5], exec
	s_or_saveexec_b64 s[10:11], s[10:11]
	v_mov_b32_e32 v1, 0x7f800001
	s_xor_b64 exec, exec, s[10:11]
	s_cbranch_execnz .LBB14_1535
.LBB14_1517:
	s_or_b64 exec, exec, s[10:11]
	s_and_saveexec_b64 s[10:11], s[4:5]
	s_cbranch_execz .LBB14_1519
.LBB14_1518:
	v_lshlrev_b32_e32 v1, 24, v3
	v_and_b32_e32 v3, 0xffff, v3
	v_and_b32_e32 v8, 7, v3
	v_ffbh_u32_e32 v10, v8
	v_min_u32_e32 v10, 32, v10
	v_subrev_u32_e32 v11, 28, v10
	v_bfe_u32 v9, v3, 3, 4
	v_lshlrev_b32_e32 v3, v11, v3
	v_sub_u32_e32 v10, 29, v10
	v_and_b32_e32 v3, 7, v3
	v_cmp_eq_u32_e32 vcc, 0, v9
	v_cndmask_b32_e32 v9, v9, v10, vcc
	v_cndmask_b32_e32 v3, v8, v3, vcc
	v_mov_b32_e32 v8, 0x3b800000
	v_lshlrev_b32_e32 v3, 20, v3
	v_and_b32_e32 v1, 0x80000000, v1
	v_lshl_add_u32 v8, v9, 23, v8
	v_or3_b32 v1, v1, v8, v3
.LBB14_1519:
	s_or_b64 exec, exec, s[10:11]
.LBB14_1520:
	s_mov_b64 s[4:5], -1
.LBB14_1521:
	s_mov_b64 s[10:11], 0
.LBB14_1522:
	s_and_b64 vcc, exec, s[10:11]
	s_cbranch_vccz .LBB14_1555
; %bb.1523:
	s_cmp_gt_i32 s24, 22
	s_cbranch_scc0 .LBB14_1533
; %bb.1524:
	s_cmp_lt_i32 s24, 24
	s_cbranch_scc1 .LBB14_1536
; %bb.1525:
	s_cmp_gt_i32 s24, 24
	s_cbranch_scc0 .LBB14_1537
; %bb.1526:
	global_load_ubyte v3, v[5:6], off
	s_movk_i32 s2, 0x7f
	s_waitcnt vmcnt(0)
	v_cmp_lt_i16_e32 vcc, s2, v3
	s_mov_b64 s[2:3], 0
	s_and_saveexec_b64 s[4:5], vcc
	s_xor_b64 s[4:5], exec, s[4:5]
	s_cbranch_execz .LBB14_1549
; %bb.1527:
	s_movk_i32 s2, 0x80
	v_cmp_eq_u16_e32 vcc, s2, v3
	s_mov_b64 s[2:3], -1
	s_and_saveexec_b64 s[10:11], vcc
; %bb.1528:
	s_xor_b64 s[2:3], exec, -1
; %bb.1529:
	s_or_b64 exec, exec, s[10:11]
	s_and_b64 s[2:3], s[2:3], exec
	s_or_saveexec_b64 s[4:5], s[4:5]
	v_mov_b32_e32 v1, 0x7f800001
	s_xor_b64 exec, exec, s[4:5]
	s_cbranch_execnz .LBB14_1550
.LBB14_1530:
	s_or_b64 exec, exec, s[4:5]
	s_and_saveexec_b64 s[4:5], s[2:3]
	s_cbranch_execz .LBB14_1532
.LBB14_1531:
	v_lshlrev_b32_e32 v1, 24, v3
	v_and_b32_e32 v3, 0xffff, v3
	v_and_b32_e32 v8, 3, v3
	v_ffbh_u32_e32 v10, v8
	v_min_u32_e32 v10, 32, v10
	v_subrev_u32_e32 v11, 29, v10
	v_bfe_u32 v9, v3, 2, 5
	v_lshlrev_b32_e32 v3, v11, v3
	v_sub_u32_e32 v10, 30, v10
	v_and_b32_e32 v3, 3, v3
	v_cmp_eq_u32_e32 vcc, 0, v9
	v_cndmask_b32_e32 v9, v9, v10, vcc
	v_cndmask_b32_e32 v3, v8, v3, vcc
	v_mov_b32_e32 v8, 0x37800000
	v_lshlrev_b32_e32 v3, 21, v3
	v_and_b32_e32 v1, 0x80000000, v1
	v_lshl_add_u32 v8, v9, 23, v8
	v_or3_b32 v1, v1, v8, v3
.LBB14_1532:
	s_or_b64 exec, exec, s[4:5]
	s_mov_b64 s[2:3], 0
	s_branch .LBB14_1538
.LBB14_1533:
	s_mov_b64 s[2:3], -1
                                        ; implicit-def: $vgpr1
	s_branch .LBB14_1544
.LBB14_1534:
	s_or_saveexec_b64 s[10:11], s[10:11]
	v_mov_b32_e32 v1, 0x7f800001
	s_xor_b64 exec, exec, s[10:11]
	s_cbranch_execz .LBB14_1517
.LBB14_1535:
	v_cmp_ne_u16_e32 vcc, 0, v3
	s_andn2_b64 s[4:5], s[4:5], exec
	s_and_b64 s[14:15], vcc, exec
	v_mov_b32_e32 v1, 0
	s_or_b64 s[4:5], s[4:5], s[14:15]
	s_or_b64 exec, exec, s[10:11]
	s_and_saveexec_b64 s[10:11], s[4:5]
	s_cbranch_execnz .LBB14_1518
	s_branch .LBB14_1519
.LBB14_1536:
	s_mov_b64 s[2:3], -1
                                        ; implicit-def: $vgpr1
	s_branch .LBB14_1541
.LBB14_1537:
	s_mov_b64 s[2:3], -1
                                        ; implicit-def: $vgpr1
.LBB14_1538:
	s_and_b64 vcc, exec, s[2:3]
	s_cbranch_vccz .LBB14_1540
; %bb.1539:
	global_load_ubyte v1, v[5:6], off
	s_mov_b32 s2, 0x7f800000
	s_waitcnt vmcnt(0)
	v_lshlrev_b32_e32 v1, 24, v1
	v_and_b32_e32 v3, 0x7f000000, v1
	v_ffbh_u32_e32 v8, v3
	v_min_u32_e32 v8, 32, v8
	v_sub_u32_e64 v8, v8, 4 clamp
	v_lshlrev_b32_e32 v10, v8, v3
	v_lshlrev_b32_e32 v8, 23, v8
	v_lshrrev_b32_e32 v10, 4, v10
	v_add_u32_e32 v9, 0x1000000, v3
	v_sub_u32_e32 v8, v10, v8
	v_ashrrev_i32_e32 v9, 8, v9
	v_add_u32_e32 v8, 0x3c000000, v8
	v_and_or_b32 v8, v9, s2, v8
	v_cmp_ne_u32_e32 vcc, 0, v3
	v_cndmask_b32_e32 v3, 0, v8, vcc
	s_brev_b32 s2, 1
	v_and_or_b32 v1, v1, s2, v3
.LBB14_1540:
	s_mov_b64 s[2:3], 0
.LBB14_1541:
	s_andn2_b64 vcc, exec, s[2:3]
	s_cbranch_vccnz .LBB14_1543
; %bb.1542:
	global_load_ubyte v1, v[5:6], off
	s_movk_i32 s2, 0x7f00
	s_brev_b32 s3, 16
	s_waitcnt vmcnt(0)
	v_lshlrev_b16_e32 v3, 8, v1
	v_lshlrev_b32_e32 v1, 25, v1
	v_lshrrev_b32_e32 v8, 4, v1
	v_and_or_b32 v9, v3, s2, 0.5
	v_or_b32_e32 v8, 0x70000000, v8
	v_add_f32_e32 v9, -0.5, v9
	v_mul_f32_e32 v8, 0x7800000, v8
	v_cmp_gt_u32_e32 vcc, s3, v1
	v_bfe_i32 v3, v3, 0, 16
	v_cndmask_b32_e32 v1, v8, v9, vcc
	s_brev_b32 s2, 1
	v_and_or_b32 v1, v3, s2, v1
.LBB14_1543:
	s_mov_b64 s[2:3], 0
	s_mov_b64 s[4:5], -1
.LBB14_1544:
	s_andn2_b64 vcc, exec, s[2:3]
	s_mov_b64 s[2:3], 0
	s_cbranch_vccnz .LBB14_1555
; %bb.1545:
	s_cmp_gt_i32 s24, 14
	s_cbranch_scc0 .LBB14_1548
; %bb.1546:
	s_cmp_eq_u32 s24, 15
	s_cbranch_scc0 .LBB14_1551
; %bb.1547:
	global_load_ushort v1, v[5:6], off
	s_mov_b64 s[0:1], 0
	s_mov_b64 s[4:5], -1
	s_waitcnt vmcnt(0)
	v_lshlrev_b32_e32 v1, 16, v1
	s_branch .LBB14_1552
.LBB14_1548:
	s_mov_b64 s[10:11], -1
                                        ; implicit-def: $vgpr1
	s_branch .LBB14_1553
.LBB14_1549:
	s_or_saveexec_b64 s[4:5], s[4:5]
	v_mov_b32_e32 v1, 0x7f800001
	s_xor_b64 exec, exec, s[4:5]
	s_cbranch_execz .LBB14_1530
.LBB14_1550:
	v_cmp_ne_u16_e32 vcc, 0, v3
	s_andn2_b64 s[2:3], s[2:3], exec
	s_and_b64 s[10:11], vcc, exec
	v_mov_b32_e32 v1, 0
	s_or_b64 s[2:3], s[2:3], s[10:11]
	s_or_b64 exec, exec, s[4:5]
	s_and_saveexec_b64 s[4:5], s[2:3]
	s_cbranch_execnz .LBB14_1531
	s_branch .LBB14_1532
.LBB14_1551:
	s_mov_b64 s[0:1], -1
                                        ; implicit-def: $vgpr1
.LBB14_1552:
	s_mov_b64 s[10:11], 0
.LBB14_1553:
	s_and_b64 vcc, exec, s[10:11]
	s_cbranch_vccz .LBB14_1555
; %bb.1554:
	s_cmp_lg_u32 s24, 11
	s_mov_b64 s[2:3], -1
	s_cselect_b64 s[0:1], -1, 0
.LBB14_1555:
	s_and_b64 vcc, exec, s[0:1]
	s_cbranch_vccnz .LBB14_2100
; %bb.1556:
	s_andn2_b64 vcc, exec, s[2:3]
	s_cbranch_vccnz .LBB14_1558
.LBB14_1557:
	global_load_ubyte v1, v[5:6], off
	s_mov_b64 s[4:5], -1
	s_waitcnt vmcnt(0)
	v_cmp_ne_u16_e32 vcc, 0, v1
	v_cndmask_b32_e64 v1, 0, 1.0, vcc
.LBB14_1558:
	s_mov_b64 s[0:1], 0
.LBB14_1559:
	s_and_b64 vcc, exec, s[0:1]
	s_cbranch_vccz .LBB14_1608
; %bb.1560:
	s_cmp_lt_i32 s24, 5
	s_cbranch_scc1 .LBB14_1565
; %bb.1561:
	s_cmp_lt_i32 s24, 8
	s_cbranch_scc1 .LBB14_1566
	;; [unrolled: 3-line block ×3, first 2 shown]
; %bb.1563:
	s_cmp_gt_i32 s24, 9
	s_cbranch_scc0 .LBB14_1568
; %bb.1564:
	global_load_dwordx2 v[8:9], v[5:6], off
	s_mov_b64 s[0:1], 0
	s_waitcnt vmcnt(0)
	v_cvt_f32_f64_e32 v1, v[8:9]
	s_branch .LBB14_1569
.LBB14_1565:
	s_mov_b64 s[0:1], -1
                                        ; implicit-def: $vgpr1
	s_branch .LBB14_1587
.LBB14_1566:
	s_mov_b64 s[0:1], -1
                                        ; implicit-def: $vgpr1
	s_branch .LBB14_1575
.LBB14_1567:
	s_mov_b64 s[0:1], -1
                                        ; implicit-def: $vgpr1
	s_branch .LBB14_1572
.LBB14_1568:
	s_mov_b64 s[0:1], -1
                                        ; implicit-def: $vgpr1
.LBB14_1569:
	s_andn2_b64 vcc, exec, s[0:1]
	s_cbranch_vccnz .LBB14_1571
; %bb.1570:
	global_load_dword v1, v[5:6], off
.LBB14_1571:
	s_mov_b64 s[0:1], 0
.LBB14_1572:
	s_andn2_b64 vcc, exec, s[0:1]
	s_cbranch_vccnz .LBB14_1574
; %bb.1573:
	global_load_dword v1, v[5:6], off
	s_waitcnt vmcnt(0)
	v_cvt_f32_f16_e32 v1, v1
.LBB14_1574:
	s_mov_b64 s[0:1], 0
.LBB14_1575:
	s_andn2_b64 vcc, exec, s[0:1]
	s_cbranch_vccnz .LBB14_1586
; %bb.1576:
	s_cmp_lt_i32 s24, 6
	s_cbranch_scc1 .LBB14_1579
; %bb.1577:
	s_cmp_gt_i32 s24, 6
	s_cbranch_scc0 .LBB14_1580
; %bb.1578:
	global_load_dwordx2 v[8:9], v[5:6], off
	s_mov_b64 s[0:1], 0
	s_waitcnt vmcnt(0)
	v_cvt_f32_f64_e32 v1, v[8:9]
	s_branch .LBB14_1581
.LBB14_1579:
	s_mov_b64 s[0:1], -1
                                        ; implicit-def: $vgpr1
	s_branch .LBB14_1584
.LBB14_1580:
	s_mov_b64 s[0:1], -1
                                        ; implicit-def: $vgpr1
.LBB14_1581:
	s_andn2_b64 vcc, exec, s[0:1]
	s_cbranch_vccnz .LBB14_1583
; %bb.1582:
	global_load_dword v1, v[5:6], off
.LBB14_1583:
	s_mov_b64 s[0:1], 0
.LBB14_1584:
	s_andn2_b64 vcc, exec, s[0:1]
	s_cbranch_vccnz .LBB14_1586
; %bb.1585:
	global_load_ushort v1, v[5:6], off
	s_waitcnt vmcnt(0)
	v_cvt_f32_f16_e32 v1, v1
.LBB14_1586:
	s_mov_b64 s[0:1], 0
.LBB14_1587:
	s_andn2_b64 vcc, exec, s[0:1]
	s_cbranch_vccnz .LBB14_1607
; %bb.1588:
	s_cmp_lt_i32 s24, 2
	s_cbranch_scc1 .LBB14_1592
; %bb.1589:
	s_cmp_lt_i32 s24, 3
	s_cbranch_scc1 .LBB14_1593
; %bb.1590:
	s_cmp_gt_i32 s24, 3
	s_cbranch_scc0 .LBB14_1594
; %bb.1591:
	global_load_dwordx2 v[8:9], v[5:6], off
	s_mov_b64 s[0:1], 0
	s_waitcnt vmcnt(0)
	v_xor_b32_e32 v3, v8, v9
	v_ffbh_i32_e32 v1, v9
	v_ashrrev_i32_e32 v3, 31, v3
	v_add_u32_e32 v1, -1, v1
	v_add_u32_e32 v3, 32, v3
	v_min_u32_e32 v1, v1, v3
	v_lshlrev_b64 v[8:9], v1, v[8:9]
	v_sub_u32_e32 v1, 32, v1
	v_min_u32_e32 v3, 1, v8
	v_or_b32_e32 v3, v9, v3
	v_cvt_f32_i32_e32 v3, v3
	v_ldexp_f32 v1, v3, v1
	s_branch .LBB14_1595
.LBB14_1592:
	s_mov_b64 s[0:1], -1
                                        ; implicit-def: $vgpr1
	s_branch .LBB14_1601
.LBB14_1593:
	s_mov_b64 s[0:1], -1
                                        ; implicit-def: $vgpr1
	s_branch .LBB14_1598
.LBB14_1594:
	s_mov_b64 s[0:1], -1
                                        ; implicit-def: $vgpr1
.LBB14_1595:
	s_andn2_b64 vcc, exec, s[0:1]
	s_cbranch_vccnz .LBB14_1597
; %bb.1596:
	global_load_dword v1, v[5:6], off
	s_waitcnt vmcnt(0)
	v_cvt_f32_i32_e32 v1, v1
.LBB14_1597:
	s_mov_b64 s[0:1], 0
.LBB14_1598:
	s_andn2_b64 vcc, exec, s[0:1]
	s_cbranch_vccnz .LBB14_1600
; %bb.1599:
	global_load_sshort v1, v[5:6], off
	s_waitcnt vmcnt(0)
	v_cvt_f32_i32_e32 v1, v1
.LBB14_1600:
	s_mov_b64 s[0:1], 0
.LBB14_1601:
	s_andn2_b64 vcc, exec, s[0:1]
	s_cbranch_vccnz .LBB14_1607
; %bb.1602:
	s_cmp_gt_i32 s24, 0
	s_cbranch_scc0 .LBB14_1604
; %bb.1603:
	global_load_sbyte v1, v[5:6], off
	s_mov_b64 s[0:1], 0
	s_waitcnt vmcnt(0)
	v_cvt_f32_i32_e32 v1, v1
	s_branch .LBB14_1605
.LBB14_1604:
	s_mov_b64 s[0:1], -1
                                        ; implicit-def: $vgpr1
.LBB14_1605:
	s_andn2_b64 vcc, exec, s[0:1]
	s_cbranch_vccnz .LBB14_1607
; %bb.1606:
	global_load_ubyte v1, v[5:6], off
	s_waitcnt vmcnt(0)
	v_cvt_f32_ubyte0_e32 v1, v1
.LBB14_1607:
	s_mov_b64 s[4:5], -1
.LBB14_1608:
	s_andn2_b64 vcc, exec, s[4:5]
	s_cbranch_vccnz .LBB14_1697
; %bb.1609:
	s_mov_b32 s0, 0x7f800000
	s_waitcnt vmcnt(0)
	v_cmp_neq_f32_e64 s[0:1], |v1|, s0
	v_mov_b32_e32 v6, 0
	s_and_saveexec_b64 s[10:11], s[0:1]
	s_cbranch_execz .LBB14_1619
; %bb.1610:
	v_cmp_nlt_f32_e64 s[0:1], |v1|, 0.5
                                        ; implicit-def: $vgpr6
	s_and_saveexec_b64 s[2:3], s[0:1]
	s_xor_b64 s[14:15], exec, s[2:3]
	s_cbranch_execz .LBB14_1616
; %bb.1611:
	s_brev_b32 s0, 18
	v_and_b32_e32 v3, 0x7fffffff, v1
	v_cmp_nlt_f32_e64 s[0:1], |v1|, s0
                                        ; implicit-def: $vgpr5
                                        ; implicit-def: $vgpr6
	s_and_saveexec_b64 s[2:3], s[0:1]
	s_xor_b64 s[20:21], exec, s[2:3]
	s_cbranch_execz .LBB14_1613
; %bb.1612:
	v_and_b32_e32 v5, 0x7fffff, v3
	v_or_b32_e32 v16, 0x800000, v5
	s_mov_b32 s0, 0xfe5163ab
	v_mad_u64_u32 v[5:6], s[0:1], v16, s0, 0
	v_mov_b32_e32 v9, 0
	s_mov_b32 s0, 0x3c439041
	v_mov_b32_e32 v8, v6
	v_mad_u64_u32 v[10:11], s[0:1], v16, s0, v[8:9]
	s_mov_b32 s0, 0xdb629599
	v_lshrrev_b32_e32 v6, 23, v3
	v_mov_b32_e32 v8, v11
	v_mad_u64_u32 v[11:12], s[0:1], v16, s0, v[8:9]
	s_mov_b32 s0, 0xf534ddc0
	v_add_u32_e32 v6, 0xffffff88, v6
	v_mov_b32_e32 v8, v12
	v_mad_u64_u32 v[12:13], s[0:1], v16, s0, v[8:9]
	s_mov_b32 s0, 0xfc2757d1
	v_not_b32_e32 v15, 63
	v_mov_b32_e32 v8, v13
	v_mad_u64_u32 v[13:14], s[0:1], v16, s0, v[8:9]
	v_cmp_lt_u32_e32 vcc, 63, v6
	v_cndmask_b32_e32 v8, 0, v15, vcc
	v_add_u32_e32 v6, v8, v6
	v_mov_b32_e32 v8, v14
	s_mov_b32 s0, 0x4e441529
	v_mad_u64_u32 v[14:15], s[0:1], v16, s0, v[8:9]
	v_not_b32_e32 v17, 31
	v_cmp_lt_u32_e64 s[0:1], 31, v6
	v_cndmask_b32_e64 v8, 0, v17, s[0:1]
	v_add_u32_e32 v6, v8, v6
	v_mov_b32_e32 v8, v15
	s_mov_b32 s2, 0xa2f9836e
	v_mad_u64_u32 v[8:9], s[2:3], v16, s2, v[8:9]
	v_cmp_lt_u32_e64 s[2:3], 31, v6
	v_cndmask_b32_e64 v15, 0, v17, s[2:3]
	v_add_u32_e32 v6, v15, v6
	v_cndmask_b32_e32 v15, v14, v12, vcc
	v_cndmask_b32_e32 v8, v8, v13, vcc
	v_cndmask_b32_e32 v9, v9, v14, vcc
	v_cndmask_b32_e64 v16, v8, v15, s[0:1]
	v_cndmask_b32_e64 v8, v9, v8, s[0:1]
	v_cndmask_b32_e32 v9, v13, v11, vcc
	v_cndmask_b32_e64 v13, v15, v9, s[0:1]
	v_sub_u32_e32 v15, 32, v6
	v_cmp_eq_u32_e64 s[4:5], 0, v6
	v_cndmask_b32_e32 v6, v12, v10, vcc
	v_cndmask_b32_e64 v8, v8, v16, s[2:3]
	v_cndmask_b32_e64 v14, v16, v13, s[2:3]
	;; [unrolled: 1-line block ×3, first 2 shown]
	v_alignbit_b32 v16, v8, v14, v15
	v_cndmask_b32_e64 v10, v13, v9, s[2:3]
	v_cndmask_b32_e64 v8, v16, v8, s[4:5]
	v_alignbit_b32 v12, v14, v10, v15
	v_cndmask_b32_e32 v5, v11, v5, vcc
	v_cndmask_b32_e64 v12, v12, v14, s[4:5]
	v_bfe_u32 v16, v8, 29, 1
	v_cndmask_b32_e64 v5, v6, v5, s[0:1]
	v_alignbit_b32 v13, v8, v12, 30
	v_sub_u32_e32 v17, 0, v16
	v_cndmask_b32_e64 v5, v9, v5, s[2:3]
	v_xor_b32_e32 v13, v13, v17
	v_alignbit_b32 v6, v10, v5, v15
	v_cndmask_b32_e64 v6, v6, v10, s[4:5]
	v_ffbh_u32_e32 v10, v13
	v_alignbit_b32 v9, v12, v6, 30
	v_min_u32_e32 v10, 32, v10
	v_alignbit_b32 v5, v6, v5, 30
	v_xor_b32_e32 v9, v9, v17
	v_sub_u32_e32 v11, 31, v10
	v_xor_b32_e32 v5, v5, v17
	v_alignbit_b32 v12, v13, v9, v11
	v_alignbit_b32 v5, v9, v5, v11
	;; [unrolled: 1-line block ×3, first 2 shown]
	v_ffbh_u32_e32 v9, v6
	v_min_u32_e32 v9, 32, v9
	v_lshrrev_b32_e32 v14, 29, v8
	v_not_b32_e32 v11, v9
	v_alignbit_b32 v5, v6, v5, v11
	v_lshlrev_b32_e32 v6, 31, v14
	v_or_b32_e32 v11, 0x33000000, v6
	v_add_lshl_u32 v9, v9, v10, 23
	v_lshrrev_b32_e32 v5, 9, v5
	v_sub_u32_e32 v9, v11, v9
	v_or_b32_e32 v6, 0.5, v6
	v_lshlrev_b32_e32 v10, 23, v10
	v_or_b32_e32 v5, v9, v5
	v_lshrrev_b32_e32 v9, 9, v12
	v_sub_u32_e32 v6, v6, v10
	v_or_b32_e32 v6, v9, v6
	s_mov_b32 s0, 0x3fc90fda
	v_mul_f32_e32 v9, 0x3fc90fda, v6
	v_fma_f32 v10, v6, s0, -v9
	v_fmac_f32_e32 v10, 0x33a22168, v6
	v_fmac_f32_e32 v10, 0x3fc90fda, v5
	v_lshrrev_b32_e32 v5, 30, v8
	v_add_f32_e32 v6, v9, v10
	v_add_u32_e32 v5, v16, v5
.LBB14_1613:
	s_andn2_saveexec_b64 s[0:1], s[20:21]
	s_cbranch_execz .LBB14_1615
; %bb.1614:
	s_mov_b32 s2, 0x3f22f983
	v_mul_f32_e64 v5, |v1|, s2
	v_rndne_f32_e32 v8, v5
	s_mov_b32 s2, 0xbfc90fda
	v_cvt_i32_f32_e32 v5, v8
	v_fma_f32 v6, v8, s2, |v1|
	v_fmac_f32_e32 v6, 0xb3a22168, v8
	v_fmac_f32_e32 v6, 0xa7c234c4, v8
.LBB14_1615:
	s_or_b64 exec, exec, s[0:1]
	v_mul_f32_e32 v8, v6, v6
	v_mov_b32_e32 v9, 0x3c0881c4
	v_fmac_f32_e32 v9, 0xb94c1982, v8
	v_mov_b32_e32 v10, 0xbe2aaa9d
	v_fmac_f32_e32 v10, v8, v9
	v_mul_f32_e32 v9, v8, v10
	v_fmac_f32_e32 v6, v6, v9
	v_mov_b32_e32 v9, 0xbab64f3b
	v_fmac_f32_e32 v9, 0x37d75334, v8
	v_mov_b32_e32 v10, 0x3d2aabf7
	;; [unrolled: 2-line block ×3, first 2 shown]
	v_fmac_f32_e32 v9, v8, v10
	v_fma_f32 v8, v8, v9, 1.0
	v_and_b32_e32 v9, 1, v5
	v_lshlrev_b32_e32 v5, 30, v5
	v_cmp_eq_u32_e32 vcc, 0, v9
	v_and_b32_e32 v5, 0x80000000, v5
	v_xor_b32_e32 v3, v3, v1
	v_cndmask_b32_e32 v6, v8, v6, vcc
	v_xor_b32_e32 v3, v3, v5
	s_movk_i32 s0, 0x1f8
	v_xor_b32_e32 v3, v3, v6
	v_mov_b32_e32 v5, 0x7fc00000
	v_cmp_class_f32_e64 vcc, v1, s0
	v_cndmask_b32_e32 v3, v5, v3, vcc
	v_div_scale_f32 v5, s[0:1], v1, v1, v3
	v_div_scale_f32 v6, vcc, v3, v1, v3
	v_rcp_f32_e32 v8, v5
	v_fma_f32 v9, -v5, v8, 1.0
	v_fmac_f32_e32 v8, v9, v8
	v_mul_f32_e32 v9, v6, v8
	v_fma_f32 v10, -v5, v9, v6
	v_fmac_f32_e32 v9, v10, v8
	v_fma_f32 v5, -v5, v9, v6
	v_div_fmas_f32 v5, v5, v8, v9
	v_div_fixup_f32 v6, v5, v1, v3
                                        ; implicit-def: $vgpr1
.LBB14_1616:
	s_andn2_saveexec_b64 s[0:1], s[14:15]
	s_cbranch_execz .LBB14_1618
; %bb.1617:
	v_mul_f32_e32 v1, v1, v1
	v_mov_b32_e32 v3, 0xb2d7322b
	v_fmac_f32_e32 v3, 0x2f309231, v1
	v_mov_b32_e32 v5, 0x3638ef1d
	v_fmac_f32_e32 v5, v1, v3
	;; [unrolled: 2-line block ×5, first 2 shown]
	v_fma_f32 v6, v1, v3, 1.0
.LBB14_1618:
	s_or_b64 exec, exec, s[0:1]
.LBB14_1619:
	s_or_b64 exec, exec, s[10:11]
	v_mul_lo_u32 v3, s12, v7
	v_mov_b32_e32 v1, s9
	s_and_b32 s20, s33, 0xff
	s_cmp_lt_i32 s20, 11
	v_ashrrev_i32_e32 v5, 31, v3
	v_add_co_u32_e32 v7, vcc, s8, v3
	v_addc_co_u32_e32 v8, vcc, v1, v5, vcc
	s_cbranch_scc1 .LBB14_1743
; %bb.1620:
	s_and_b32 s13, 0xffff, s20
	s_mov_b64 s[10:11], -1
	s_mov_b64 s[2:3], 0
	s_cmp_gt_i32 s13, 25
	s_mov_b64 s[4:5], 0
	s_mov_b64 s[0:1], 0
	s_cbranch_scc0 .LBB14_1653
; %bb.1621:
	s_cmp_gt_i32 s13, 28
	s_cbranch_scc0 .LBB14_1636
; %bb.1622:
	s_cmp_gt_i32 s13, 43
	;; [unrolled: 3-line block ×3, first 2 shown]
	s_cbranch_scc0 .LBB14_1626
; %bb.1624:
	s_mov_b64 s[0:1], -1
	s_mov_b64 s[10:11], 0
	s_cmp_eq_u32 s13, 46
	s_cbranch_scc0 .LBB14_1626
; %bb.1625:
	v_bfe_u32 v1, v0, 16, 1
	s_movk_i32 s0, 0x7fff
	v_add3_u32 v1, v0, v1, s0
	v_cmp_o_f32_e32 vcc, v0, v0
	v_mov_b32_e32 v5, 0x7fc0
	v_cndmask_b32_sdwa v1, v5, v1, vcc dst_sel:DWORD dst_unused:UNUSED_PAD src0_sel:DWORD src1_sel:WORD_1
	global_store_dword v[7:8], v1, off
	s_mov_b64 s[0:1], 0
	s_mov_b64 s[4:5], -1
.LBB14_1626:
	s_and_b64 vcc, exec, s[10:11]
	s_cbranch_vccz .LBB14_1631
; %bb.1627:
	s_cmp_eq_u32 s13, 44
	s_mov_b64 s[0:1], -1
	s_cbranch_scc0 .LBB14_1631
; %bb.1628:
	v_bfe_u32 v1, v0, 23, 8
	s_movk_i32 s0, 0xff
	v_cmp_ne_u32_e32 vcc, s0, v1
	v_mov_b32_e32 v5, 0xff
	s_and_saveexec_b64 s[4:5], vcc
; %bb.1629:
	s_mov_b32 s0, 0x3fffff
	v_and_b32_e32 v9, 0x400000, v0
	v_and_or_b32 v1, v0, s0, v1
	v_cmp_ne_u32_e32 vcc, 0, v9
	v_cmp_ne_u32_e64 s[0:1], 0, v1
	s_and_b64 s[0:1], vcc, s[0:1]
	v_lshrrev_b32_e32 v5, 23, v0
	v_cndmask_b32_e64 v1, 0, 1, s[0:1]
	v_add_u32_e32 v5, v5, v1
; %bb.1630:
	s_or_b64 exec, exec, s[4:5]
	s_mov_b64 s[0:1], 0
	s_mov_b64 s[4:5], -1
	global_store_byte v[7:8], v5, off
.LBB14_1631:
	s_mov_b64 s[10:11], 0
.LBB14_1632:
	s_and_b64 vcc, exec, s[10:11]
	s_cbranch_vccz .LBB14_1635
; %bb.1633:
	s_cmp_eq_u32 s13, 29
	s_mov_b64 s[0:1], -1
	s_cbranch_scc0 .LBB14_1635
; %bb.1634:
	v_trunc_f32_e32 v1, v0
	v_mul_f32_e32 v5, 0x2f800000, v1
	v_floor_f32_e32 v5, v5
	v_fmac_f32_e32 v1, 0xcf800000, v5
	v_cvt_u32_f32_e32 v10, v5
	v_cvt_u32_f32_e32 v9, v1
	s_mov_b64 s[0:1], 0
	s_mov_b64 s[4:5], -1
	global_store_dwordx2 v[7:8], v[9:10], off
.LBB14_1635:
	s_mov_b64 s[10:11], 0
.LBB14_1636:
	s_and_b64 vcc, exec, s[10:11]
	s_cbranch_vccz .LBB14_1652
; %bb.1637:
	s_cmp_lt_i32 s13, 27
	s_mov_b64 s[4:5], -1
	s_cbranch_scc1 .LBB14_1643
; %bb.1638:
	v_cvt_u32_f32_e32 v1, v0
	s_cmp_gt_i32 s13, 27
	s_cbranch_scc0 .LBB14_1640
; %bb.1639:
	s_mov_b64 s[4:5], 0
	global_store_dword v[7:8], v1, off
.LBB14_1640:
	s_andn2_b64 vcc, exec, s[4:5]
	s_cbranch_vccnz .LBB14_1642
; %bb.1641:
	global_store_short v[7:8], v1, off
.LBB14_1642:
	s_mov_b64 s[4:5], 0
.LBB14_1643:
	s_andn2_b64 vcc, exec, s[4:5]
	s_cbranch_vccnz .LBB14_1651
; %bb.1644:
	v_and_b32_e32 v1, 0x7fffffff, v0
	s_mov_b32 s4, 0x43800000
	v_cmp_gt_u32_e32 vcc, s4, v1
	v_mov_b32_e32 v5, 0x80
	s_and_saveexec_b64 s[4:5], vcc
	s_cbranch_execz .LBB14_1650
; %bb.1645:
	s_mov_b32 s10, 0x3bffffff
	v_cmp_lt_u32_e32 vcc, s10, v1
	s_mov_b64 s[10:11], 0
                                        ; implicit-def: $vgpr1
	s_and_saveexec_b64 s[14:15], vcc
	s_xor_b64 s[14:15], exec, s[14:15]
	s_cbranch_execz .LBB14_2101
; %bb.1646:
	v_bfe_u32 v1, v0, 20, 1
	s_mov_b32 s21, 0x487ffff
	v_add3_u32 v1, v0, v1, s21
	s_mov_b64 s[10:11], exec
	v_lshrrev_b32_e32 v1, 20, v1
	s_andn2_saveexec_b64 s[14:15], s[14:15]
	s_cbranch_execnz .LBB14_2102
.LBB14_1647:
	s_or_b64 exec, exec, s[14:15]
	v_mov_b32_e32 v5, 0
	s_and_saveexec_b64 s[14:15], s[10:11]
.LBB14_1648:
	v_lshrrev_b32_e32 v5, 24, v0
	s_movk_i32 s10, 0x80
	v_and_or_b32 v5, v5, s10, v1
.LBB14_1649:
	s_or_b64 exec, exec, s[14:15]
.LBB14_1650:
	s_or_b64 exec, exec, s[4:5]
	global_store_byte v[7:8], v5, off
.LBB14_1651:
	s_mov_b64 s[4:5], -1
.LBB14_1652:
	s_mov_b64 s[10:11], 0
.LBB14_1653:
	s_and_b64 vcc, exec, s[10:11]
	s_cbranch_vccz .LBB14_1693
; %bb.1654:
	s_cmp_gt_i32 s13, 22
	s_mov_b64 s[2:3], -1
	s_cbranch_scc0 .LBB14_1686
; %bb.1655:
	s_cmp_lt_i32 s13, 24
	s_cbranch_scc1 .LBB14_1675
; %bb.1656:
	s_cmp_gt_i32 s13, 24
	s_cbranch_scc0 .LBB14_1664
; %bb.1657:
	v_and_b32_e32 v1, 0x7fffffff, v0
	s_mov_b32 s2, 0x47800000
	v_cmp_gt_u32_e32 vcc, s2, v1
	v_mov_b32_e32 v5, 0x80
	s_and_saveexec_b64 s[2:3], vcc
	s_cbranch_execz .LBB14_1663
; %bb.1658:
	s_mov_b32 s4, 0x37ffffff
	v_cmp_lt_u32_e32 vcc, s4, v1
	s_mov_b64 s[4:5], 0
                                        ; implicit-def: $vgpr1
	s_and_saveexec_b64 s[10:11], vcc
	s_xor_b64 s[10:11], exec, s[10:11]
	s_cbranch_execz .LBB14_2104
; %bb.1659:
	v_bfe_u32 v1, v0, 21, 1
	s_mov_b32 s14, 0x88fffff
	v_add3_u32 v1, v0, v1, s14
	s_mov_b64 s[4:5], exec
	v_lshrrev_b32_e32 v1, 21, v1
	s_andn2_saveexec_b64 s[10:11], s[10:11]
	s_cbranch_execnz .LBB14_2105
.LBB14_1660:
	s_or_b64 exec, exec, s[10:11]
	v_mov_b32_e32 v5, 0
	s_and_saveexec_b64 s[10:11], s[4:5]
.LBB14_1661:
	v_lshrrev_b32_e32 v5, 24, v0
	s_movk_i32 s4, 0x80
	v_and_or_b32 v5, v5, s4, v1
.LBB14_1662:
	s_or_b64 exec, exec, s[10:11]
.LBB14_1663:
	s_or_b64 exec, exec, s[2:3]
	s_mov_b64 s[2:3], 0
	global_store_byte v[7:8], v5, off
.LBB14_1664:
	s_and_b64 vcc, exec, s[2:3]
	s_cbranch_vccz .LBB14_1674
; %bb.1665:
	v_and_b32_e32 v5, 0x7fffffff, v0
	s_mov_b32 s2, 0x43f00000
	v_cmp_gt_u32_e32 vcc, s2, v5
                                        ; implicit-def: $vgpr1
	s_and_saveexec_b64 s[2:3], vcc
	s_xor_b64 s[2:3], exec, s[2:3]
	s_cbranch_execz .LBB14_1671
; %bb.1666:
	s_mov_b32 s4, 0x3c7fffff
	v_cmp_lt_u32_e32 vcc, s4, v5
                                        ; implicit-def: $vgpr1
	s_and_saveexec_b64 s[4:5], vcc
	s_xor_b64 s[4:5], exec, s[4:5]
; %bb.1667:
	v_bfe_u32 v1, v0, 20, 1
	s_mov_b32 s10, 0x407ffff
	v_add3_u32 v1, v0, v1, s10
	v_lshrrev_b32_e32 v5, 20, v1
	v_and_b32_e32 v1, 0xff00000, v1
	s_mov_b32 s10, 0x7f00000
	v_mov_b32_e32 v9, 0x7e
	v_cmp_ne_u32_e32 vcc, s10, v1
	v_cndmask_b32_e32 v1, v9, v5, vcc
; %bb.1668:
	s_andn2_saveexec_b64 s[4:5], s[4:5]
; %bb.1669:
	s_mov_b32 s10, 0x46800000
	v_add_f32_e64 v1, |v0|, s10
; %bb.1670:
	s_or_b64 exec, exec, s[4:5]
                                        ; implicit-def: $vgpr5
.LBB14_1671:
	s_andn2_saveexec_b64 s[2:3], s[2:3]
; %bb.1672:
	s_mov_b32 s4, 0x7f800000
	v_mov_b32_e32 v1, 0x7e
	v_mov_b32_e32 v9, 0x7f
	v_cmp_lt_u32_e32 vcc, s4, v5
	v_cndmask_b32_e32 v1, v1, v9, vcc
; %bb.1673:
	s_or_b64 exec, exec, s[2:3]
	v_lshrrev_b32_e32 v5, 24, v0
	s_movk_i32 s2, 0x80
	v_and_or_b32 v1, v5, s2, v1
	global_store_byte v[7:8], v1, off
.LBB14_1674:
	s_mov_b64 s[2:3], 0
.LBB14_1675:
	s_andn2_b64 vcc, exec, s[2:3]
	s_cbranch_vccnz .LBB14_1685
; %bb.1676:
	v_and_b32_e32 v5, 0x7fffffff, v0
	s_mov_b32 s2, 0x47800000
	v_cmp_gt_u32_e32 vcc, s2, v5
                                        ; implicit-def: $vgpr1
	s_and_saveexec_b64 s[2:3], vcc
	s_xor_b64 s[2:3], exec, s[2:3]
	s_cbranch_execz .LBB14_1682
; %bb.1677:
	s_mov_b32 s4, 0x387fffff
	v_cmp_lt_u32_e32 vcc, s4, v5
                                        ; implicit-def: $vgpr1
	s_and_saveexec_b64 s[4:5], vcc
	s_xor_b64 s[4:5], exec, s[4:5]
; %bb.1678:
	v_bfe_u32 v1, v0, 21, 1
	s_mov_b32 s10, 0x80fffff
	v_add3_u32 v1, v0, v1, s10
	v_lshrrev_b32_e32 v1, 21, v1
; %bb.1679:
	s_andn2_saveexec_b64 s[4:5], s[4:5]
; %bb.1680:
	s_mov_b32 s10, 0x43000000
	v_add_f32_e64 v1, |v0|, s10
; %bb.1681:
	s_or_b64 exec, exec, s[4:5]
                                        ; implicit-def: $vgpr5
.LBB14_1682:
	s_andn2_saveexec_b64 s[2:3], s[2:3]
; %bb.1683:
	s_mov_b32 s4, 0x7f800000
	v_mov_b32_e32 v1, 0x7c
	v_mov_b32_e32 v9, 0x7f
	v_cmp_lt_u32_e32 vcc, s4, v5
	v_cndmask_b32_e32 v1, v1, v9, vcc
; %bb.1684:
	s_or_b64 exec, exec, s[2:3]
	v_lshrrev_b32_e32 v5, 24, v0
	s_movk_i32 s2, 0x80
	v_and_or_b32 v1, v5, s2, v1
	global_store_byte v[7:8], v1, off
.LBB14_1685:
	s_mov_b64 s[2:3], 0
	s_mov_b64 s[4:5], -1
.LBB14_1686:
	s_andn2_b64 vcc, exec, s[2:3]
	s_mov_b64 s[2:3], 0
	s_cbranch_vccnz .LBB14_1693
; %bb.1687:
	s_cmp_gt_i32 s13, 14
	s_mov_b64 s[10:11], -1
	s_cbranch_scc0 .LBB14_1691
; %bb.1688:
	s_cmp_eq_u32 s13, 15
	s_mov_b64 s[0:1], -1
	s_cbranch_scc0 .LBB14_1690
; %bb.1689:
	v_bfe_u32 v1, v0, 16, 1
	s_movk_i32 s0, 0x7fff
	v_add3_u32 v1, v0, v1, s0
	v_cmp_o_f32_e32 vcc, v0, v0
	v_mov_b32_e32 v5, 0x7fc0
	v_cndmask_b32_sdwa v1, v5, v1, vcc dst_sel:DWORD dst_unused:UNUSED_PAD src0_sel:DWORD src1_sel:WORD_1
	global_store_short v[7:8], v1, off
	s_mov_b64 s[0:1], 0
	s_mov_b64 s[4:5], -1
.LBB14_1690:
	s_mov_b64 s[10:11], 0
.LBB14_1691:
	s_and_b64 vcc, exec, s[10:11]
	s_cbranch_vccz .LBB14_1693
; %bb.1692:
	s_cmp_lg_u32 s13, 11
	s_mov_b64 s[2:3], -1
	s_cselect_b64 s[0:1], -1, 0
.LBB14_1693:
	s_and_b64 vcc, exec, s[0:1]
	s_cbranch_vccnz .LBB14_2103
; %bb.1694:
	s_andn2_b64 vcc, exec, s[2:3]
	s_cbranch_vccnz .LBB14_1696
.LBB14_1695:
	v_cmp_neq_f32_e32 vcc, 0, v0
	v_cndmask_b32_e64 v1, 0, 1, vcc
	s_mov_b64 s[4:5], -1
	global_store_byte v[7:8], v1, off
.LBB14_1696:
	s_mov_b64 s[0:1], 0
	s_branch .LBB14_1744
.LBB14_1697:
	s_mov_b64 s[0:1], 0
                                        ; implicit-def: $sgpr20
                                        ; implicit-def: $vgpr0_vgpr1
                                        ; implicit-def: $vgpr6
.LBB14_1698:
	s_mov_b64 s[2:3], 0
.LBB14_1699:
	s_and_b64 s[14:15], s[2:3], exec
	s_andn2_b64 s[2:3], s[16:17], exec
	s_and_b64 s[4:5], s[18:19], exec
	s_and_b64 s[0:1], s[0:1], exec
	s_or_b64 s[16:17], s[2:3], s[4:5]
.LBB14_1700:
	s_or_b64 exec, exec, s[6:7]
	s_and_saveexec_b64 s[2:3], s[16:17]
	s_cbranch_execz .LBB14_1703
; %bb.1701:
	; divergent unreachable
	s_or_b64 exec, exec, s[2:3]
	s_and_saveexec_b64 s[2:3], s[14:15]
	s_xor_b64 s[2:3], exec, s[2:3]
	s_cbranch_execnz .LBB14_1704
.LBB14_1702:
	s_or_b64 exec, exec, s[2:3]
	s_and_saveexec_b64 s[2:3], s[0:1]
	s_cbranch_execnz .LBB14_1705
	s_branch .LBB14_1742
.LBB14_1703:
	s_or_b64 exec, exec, s[2:3]
	s_and_saveexec_b64 s[2:3], s[14:15]
	s_xor_b64 s[2:3], exec, s[2:3]
	s_cbranch_execz .LBB14_1702
.LBB14_1704:
	v_cmp_neq_f32_e32 vcc, 0, v6
	s_waitcnt vmcnt(0)
	v_cndmask_b32_e64 v2, 0, 1, vcc
	global_store_byte v[0:1], v2, off
	s_or_b64 exec, exec, s[2:3]
	s_and_saveexec_b64 s[2:3], s[0:1]
	s_cbranch_execz .LBB14_1742
.LBB14_1705:
	s_sext_i32_i16 s2, s20
	s_cmp_lt_i32 s2, 5
	s_mov_b64 s[0:1], -1
	s_cbranch_scc1 .LBB14_1726
; %bb.1706:
	s_cmp_lt_i32 s2, 8
	s_cbranch_scc1 .LBB14_1716
; %bb.1707:
	s_cmp_lt_i32 s2, 9
	s_cbranch_scc1 .LBB14_1713
; %bb.1708:
	s_cmp_gt_i32 s2, 9
	s_cbranch_scc0 .LBB14_1710
; %bb.1709:
	s_waitcnt vmcnt(0)
	v_cvt_f64_f32_e32 v[2:3], v6
	v_mov_b32_e32 v4, 0
	v_mov_b32_e32 v5, v4
	s_mov_b64 s[0:1], 0
	global_store_dwordx4 v[0:1], v[2:5], off
.LBB14_1710:
	s_andn2_b64 vcc, exec, s[0:1]
	s_cbranch_vccnz .LBB14_1712
; %bb.1711:
	v_mov_b32_e32 v7, 0
	s_waitcnt vmcnt(0)
	global_store_dwordx2 v[0:1], v[6:7], off
.LBB14_1712:
	s_mov_b64 s[0:1], 0
.LBB14_1713:
	s_andn2_b64 vcc, exec, s[0:1]
	s_cbranch_vccnz .LBB14_1715
; %bb.1714:
	s_waitcnt vmcnt(0)
	v_cvt_f16_f32_e32 v2, v6
	global_store_dword v[0:1], v2, off
.LBB14_1715:
	s_mov_b64 s[0:1], 0
.LBB14_1716:
	s_andn2_b64 vcc, exec, s[0:1]
	s_cbranch_vccnz .LBB14_1725
; %bb.1717:
	s_sext_i32_i16 s2, s20
	s_cmp_lt_i32 s2, 6
	s_mov_b64 s[0:1], -1
	s_cbranch_scc1 .LBB14_1723
; %bb.1718:
	s_cmp_gt_i32 s2, 6
	s_cbranch_scc0 .LBB14_1720
; %bb.1719:
	s_waitcnt vmcnt(0)
	v_cvt_f64_f32_e32 v[2:3], v6
	s_mov_b64 s[0:1], 0
	global_store_dwordx2 v[0:1], v[2:3], off
.LBB14_1720:
	s_andn2_b64 vcc, exec, s[0:1]
	s_cbranch_vccnz .LBB14_1722
; %bb.1721:
	s_waitcnt vmcnt(0)
	global_store_dword v[0:1], v6, off
.LBB14_1722:
	s_mov_b64 s[0:1], 0
.LBB14_1723:
	s_andn2_b64 vcc, exec, s[0:1]
	s_cbranch_vccnz .LBB14_1725
; %bb.1724:
	s_waitcnt vmcnt(0)
	v_cvt_f16_f32_e32 v2, v6
	global_store_short v[0:1], v2, off
.LBB14_1725:
	s_mov_b64 s[0:1], 0
.LBB14_1726:
	s_andn2_b64 vcc, exec, s[0:1]
	s_cbranch_vccnz .LBB14_1742
; %bb.1727:
	s_sext_i32_i16 s2, s20
	s_cmp_lt_i32 s2, 2
	s_mov_b64 s[0:1], -1
	s_cbranch_scc1 .LBB14_1737
; %bb.1728:
	s_cmp_lt_i32 s2, 3
	s_cbranch_scc1 .LBB14_1734
; %bb.1729:
	s_cmp_gt_i32 s2, 3
	s_cbranch_scc0 .LBB14_1731
; %bb.1730:
	s_waitcnt vmcnt(0)
	v_trunc_f32_e32 v2, v6
	s_mov_b32 s0, 0x2f800000
	v_mul_f32_e64 v3, |v2|, s0
	v_floor_f32_e32 v3, v3
	s_mov_b32 s0, 0xcf800000
	v_cvt_u32_f32_e32 v4, v3
	v_fma_f32 v3, v3, s0, |v2|
	v_cvt_u32_f32_e32 v3, v3
	v_ashrrev_i32_e32 v5, 31, v2
	v_xor_b32_e32 v4, v4, v5
	s_mov_b64 s[0:1], 0
	v_xor_b32_e32 v2, v3, v5
	v_sub_co_u32_e32 v2, vcc, v2, v5
	v_subb_co_u32_e32 v3, vcc, v4, v5, vcc
	global_store_dwordx2 v[0:1], v[2:3], off
.LBB14_1731:
	s_andn2_b64 vcc, exec, s[0:1]
	s_cbranch_vccnz .LBB14_1733
; %bb.1732:
	s_waitcnt vmcnt(0)
	v_cvt_i32_f32_e32 v2, v6
	global_store_dword v[0:1], v2, off
.LBB14_1733:
	s_mov_b64 s[0:1], 0
.LBB14_1734:
	s_andn2_b64 vcc, exec, s[0:1]
	s_cbranch_vccnz .LBB14_1736
; %bb.1735:
	s_waitcnt vmcnt(0)
	v_cvt_i32_f32_e32 v2, v6
	global_store_short v[0:1], v2, off
.LBB14_1736:
	s_mov_b64 s[0:1], 0
.LBB14_1737:
	s_andn2_b64 vcc, exec, s[0:1]
	s_cbranch_vccnz .LBB14_1742
; %bb.1738:
	s_sext_i32_i16 s0, s20
	s_cmp_gt_i32 s0, 0
	s_mov_b64 s[0:1], -1
	s_cbranch_scc0 .LBB14_1740
; %bb.1739:
	s_waitcnt vmcnt(0)
	v_cvt_i32_f32_e32 v2, v6
	s_mov_b64 s[0:1], 0
	global_store_byte v[0:1], v2, off
.LBB14_1740:
	s_andn2_b64 vcc, exec, s[0:1]
	s_cbranch_vccnz .LBB14_1742
; %bb.1741:
	s_waitcnt vmcnt(0)
	v_trunc_f32_e32 v2, v6
	s_mov_b32 s0, 0x2f800000
	v_mul_f32_e64 v3, |v2|, s0
	v_floor_f32_e32 v3, v3
	s_mov_b32 s0, 0xcf800000
	v_fma_f32 v3, v3, s0, |v2|
	v_cvt_u32_f32_e32 v3, v3
	v_ashrrev_i32_e32 v2, 31, v2
	v_xor_b32_e32 v3, v3, v2
	v_sub_u32_e32 v2, v3, v2
	global_store_byte v[0:1], v2, off
	s_endpgm
.LBB14_1742:
	s_endpgm
.LBB14_1743:
	s_mov_b64 s[0:1], -1
	s_mov_b64 s[4:5], 0
.LBB14_1744:
	s_and_b64 vcc, exec, s[0:1]
	s_cbranch_vccz .LBB14_1783
; %bb.1745:
	s_and_b32 s2, 0xffff, s20
	s_cmp_lt_i32 s2, 5
	s_mov_b64 s[0:1], -1
	s_cbranch_scc1 .LBB14_1766
; %bb.1746:
	s_cmp_lt_i32 s2, 8
	s_cbranch_scc1 .LBB14_1756
; %bb.1747:
	s_cmp_lt_i32 s2, 9
	s_cbranch_scc1 .LBB14_1753
; %bb.1748:
	s_cmp_gt_i32 s2, 9
	s_cbranch_scc0 .LBB14_1750
; %bb.1749:
	v_cvt_f64_f32_e32 v[9:10], v0
	v_mov_b32_e32 v11, 0
	v_mov_b32_e32 v12, v11
	s_mov_b64 s[0:1], 0
	global_store_dwordx4 v[7:8], v[9:12], off
.LBB14_1750:
	s_andn2_b64 vcc, exec, s[0:1]
	s_cbranch_vccnz .LBB14_1752
; %bb.1751:
	v_mov_b32_e32 v1, 0
	global_store_dwordx2 v[7:8], v[0:1], off
.LBB14_1752:
	s_mov_b64 s[0:1], 0
.LBB14_1753:
	s_andn2_b64 vcc, exec, s[0:1]
	s_cbranch_vccnz .LBB14_1755
; %bb.1754:
	v_cvt_f16_f32_e32 v1, v0
	global_store_dword v[7:8], v1, off
.LBB14_1755:
	s_mov_b64 s[0:1], 0
.LBB14_1756:
	s_andn2_b64 vcc, exec, s[0:1]
	s_cbranch_vccnz .LBB14_1765
; %bb.1757:
	s_cmp_lt_i32 s2, 6
	s_mov_b64 s[0:1], -1
	s_cbranch_scc1 .LBB14_1763
; %bb.1758:
	s_cmp_gt_i32 s2, 6
	s_cbranch_scc0 .LBB14_1760
; %bb.1759:
	v_cvt_f64_f32_e32 v[9:10], v0
	s_mov_b64 s[0:1], 0
	global_store_dwordx2 v[7:8], v[9:10], off
.LBB14_1760:
	s_andn2_b64 vcc, exec, s[0:1]
	s_cbranch_vccnz .LBB14_1762
; %bb.1761:
	global_store_dword v[7:8], v0, off
.LBB14_1762:
	s_mov_b64 s[0:1], 0
.LBB14_1763:
	s_andn2_b64 vcc, exec, s[0:1]
	s_cbranch_vccnz .LBB14_1765
; %bb.1764:
	v_cvt_f16_f32_e32 v1, v0
	global_store_short v[7:8], v1, off
.LBB14_1765:
	s_mov_b64 s[0:1], 0
.LBB14_1766:
	s_andn2_b64 vcc, exec, s[0:1]
	s_cbranch_vccnz .LBB14_1782
; %bb.1767:
	s_cmp_lt_i32 s2, 2
	s_mov_b64 s[0:1], -1
	s_cbranch_scc1 .LBB14_1777
; %bb.1768:
	s_cmp_lt_i32 s2, 3
	s_cbranch_scc1 .LBB14_1774
; %bb.1769:
	s_cmp_gt_i32 s2, 3
	s_cbranch_scc0 .LBB14_1771
; %bb.1770:
	v_trunc_f32_e32 v1, v0
	s_mov_b32 s0, 0x2f800000
	v_mul_f32_e64 v5, |v1|, s0
	v_floor_f32_e32 v5, v5
	s_mov_b32 s0, 0xcf800000
	v_cvt_u32_f32_e32 v9, v5
	v_fma_f32 v5, v5, s0, |v1|
	v_cvt_u32_f32_e32 v5, v5
	v_ashrrev_i32_e32 v1, 31, v1
	v_xor_b32_e32 v10, v9, v1
	s_mov_b64 s[0:1], 0
	v_xor_b32_e32 v5, v5, v1
	v_sub_co_u32_e32 v9, vcc, v5, v1
	v_subb_co_u32_e32 v10, vcc, v10, v1, vcc
	global_store_dwordx2 v[7:8], v[9:10], off
.LBB14_1771:
	s_andn2_b64 vcc, exec, s[0:1]
	s_cbranch_vccnz .LBB14_1773
; %bb.1772:
	v_cvt_i32_f32_e32 v1, v0
	global_store_dword v[7:8], v1, off
.LBB14_1773:
	s_mov_b64 s[0:1], 0
.LBB14_1774:
	s_andn2_b64 vcc, exec, s[0:1]
	s_cbranch_vccnz .LBB14_1776
; %bb.1775:
	v_cvt_i32_f32_e32 v1, v0
	global_store_short v[7:8], v1, off
.LBB14_1776:
	s_mov_b64 s[0:1], 0
.LBB14_1777:
	s_andn2_b64 vcc, exec, s[0:1]
	s_cbranch_vccnz .LBB14_1782
; %bb.1778:
	s_cmp_gt_i32 s2, 0
	s_mov_b64 s[0:1], -1
	s_cbranch_scc0 .LBB14_1780
; %bb.1779:
	v_cvt_i32_f32_e32 v1, v0
	s_mov_b64 s[0:1], 0
	global_store_byte v[7:8], v1, off
.LBB14_1780:
	s_andn2_b64 vcc, exec, s[0:1]
	s_cbranch_vccnz .LBB14_1782
; %bb.1781:
	v_trunc_f32_e32 v0, v0
	s_mov_b32 s0, 0x2f800000
	v_mul_f32_e64 v1, |v0|, s0
	v_floor_f32_e32 v1, v1
	s_mov_b32 s0, 0xcf800000
	v_fma_f32 v1, v1, s0, |v0|
	v_cvt_u32_f32_e32 v1, v1
	v_ashrrev_i32_e32 v0, 31, v0
	v_xor_b32_e32 v1, v1, v0
	v_sub_u32_e32 v0, v1, v0
	global_store_byte v[7:8], v0, off
.LBB14_1782:
	s_mov_b64 s[4:5], -1
.LBB14_1783:
	s_andn2_b64 vcc, exec, s[4:5]
	s_cbranch_vccnz .LBB14_2098
; %bb.1784:
	s_lshl_b32 s14, s12, 7
	v_add_u32_e32 v5, s14, v3
	v_ashrrev_i32_e32 v1, 31, v5
	v_mov_b32_e32 v3, s9
	v_add_co_u32_e32 v0, vcc, s8, v5
	s_cmp_lt_i32 s20, 11
	v_addc_co_u32_e32 v1, vcc, v3, v1, vcc
	s_cbranch_scc1 .LBB14_1862
; %bb.1785:
	s_and_b32 s15, 0xffff, s20
	s_mov_b64 s[10:11], -1
	s_mov_b64 s[2:3], 0
	s_cmp_gt_i32 s15, 25
	s_mov_b64 s[4:5], 0
	s_mov_b64 s[0:1], 0
	s_cbranch_scc0 .LBB14_1818
; %bb.1786:
	s_cmp_gt_i32 s15, 28
	s_cbranch_scc0 .LBB14_1801
; %bb.1787:
	s_cmp_gt_i32 s15, 43
	;; [unrolled: 3-line block ×3, first 2 shown]
	s_cbranch_scc0 .LBB14_1791
; %bb.1789:
	s_mov_b64 s[0:1], -1
	s_mov_b64 s[10:11], 0
	s_cmp_eq_u32 s15, 46
	s_cbranch_scc0 .LBB14_1791
; %bb.1790:
	v_bfe_u32 v3, v2, 16, 1
	s_movk_i32 s0, 0x7fff
	v_add3_u32 v3, v2, v3, s0
	v_cmp_o_f32_e32 vcc, v2, v2
	v_mov_b32_e32 v7, 0x7fc0
	v_cndmask_b32_sdwa v3, v7, v3, vcc dst_sel:DWORD dst_unused:UNUSED_PAD src0_sel:DWORD src1_sel:WORD_1
	global_store_dword v[0:1], v3, off
	s_mov_b64 s[0:1], 0
	s_mov_b64 s[4:5], -1
.LBB14_1791:
	s_and_b64 vcc, exec, s[10:11]
	s_cbranch_vccz .LBB14_1796
; %bb.1792:
	s_cmp_eq_u32 s15, 44
	s_mov_b64 s[0:1], -1
	s_cbranch_scc0 .LBB14_1796
; %bb.1793:
	v_bfe_u32 v3, v2, 23, 8
	s_movk_i32 s0, 0xff
	v_cmp_ne_u32_e32 vcc, s0, v3
	v_mov_b32_e32 v7, 0xff
	s_and_saveexec_b64 s[4:5], vcc
; %bb.1794:
	s_mov_b32 s0, 0x3fffff
	v_and_b32_e32 v8, 0x400000, v2
	v_and_or_b32 v3, v2, s0, v3
	v_cmp_ne_u32_e32 vcc, 0, v8
	v_cmp_ne_u32_e64 s[0:1], 0, v3
	s_and_b64 s[0:1], vcc, s[0:1]
	v_lshrrev_b32_e32 v7, 23, v2
	v_cndmask_b32_e64 v3, 0, 1, s[0:1]
	v_add_u32_e32 v7, v7, v3
; %bb.1795:
	s_or_b64 exec, exec, s[4:5]
	s_mov_b64 s[0:1], 0
	s_mov_b64 s[4:5], -1
	global_store_byte v[0:1], v7, off
.LBB14_1796:
	s_mov_b64 s[10:11], 0
.LBB14_1797:
	s_and_b64 vcc, exec, s[10:11]
	s_cbranch_vccz .LBB14_1800
; %bb.1798:
	s_cmp_eq_u32 s15, 29
	s_mov_b64 s[0:1], -1
	s_cbranch_scc0 .LBB14_1800
; %bb.1799:
	v_trunc_f32_e32 v3, v2
	v_mul_f32_e32 v7, 0x2f800000, v3
	v_floor_f32_e32 v7, v7
	v_fmac_f32_e32 v3, 0xcf800000, v7
	v_cvt_u32_f32_e32 v8, v7
	v_cvt_u32_f32_e32 v7, v3
	s_mov_b64 s[0:1], 0
	s_mov_b64 s[4:5], -1
	global_store_dwordx2 v[0:1], v[7:8], off
.LBB14_1800:
	s_mov_b64 s[10:11], 0
.LBB14_1801:
	s_and_b64 vcc, exec, s[10:11]
	s_cbranch_vccz .LBB14_1817
; %bb.1802:
	s_cmp_lt_i32 s15, 27
	s_mov_b64 s[4:5], -1
	s_cbranch_scc1 .LBB14_1808
; %bb.1803:
	v_cvt_u32_f32_e32 v3, v2
	s_cmp_gt_i32 s15, 27
	s_cbranch_scc0 .LBB14_1805
; %bb.1804:
	s_mov_b64 s[4:5], 0
	global_store_dword v[0:1], v3, off
.LBB14_1805:
	s_andn2_b64 vcc, exec, s[4:5]
	s_cbranch_vccnz .LBB14_1807
; %bb.1806:
	global_store_short v[0:1], v3, off
.LBB14_1807:
	s_mov_b64 s[4:5], 0
.LBB14_1808:
	s_andn2_b64 vcc, exec, s[4:5]
	s_cbranch_vccnz .LBB14_1816
; %bb.1809:
	v_and_b32_e32 v3, 0x7fffffff, v2
	s_mov_b32 s4, 0x43800000
	v_cmp_gt_u32_e32 vcc, s4, v3
	v_mov_b32_e32 v7, 0x80
	s_and_saveexec_b64 s[4:5], vcc
	s_cbranch_execz .LBB14_1815
; %bb.1810:
	s_mov_b32 s10, 0x3bffffff
	v_cmp_lt_u32_e32 vcc, s10, v3
	s_mov_b64 s[10:11], 0
                                        ; implicit-def: $vgpr3
	s_and_saveexec_b64 s[12:13], vcc
	s_xor_b64 s[12:13], exec, s[12:13]
	s_cbranch_execz .LBB14_2106
; %bb.1811:
	v_bfe_u32 v3, v2, 20, 1
	s_mov_b32 s21, 0x487ffff
	v_add3_u32 v3, v2, v3, s21
	s_mov_b64 s[10:11], exec
	v_lshrrev_b32_e32 v3, 20, v3
	s_andn2_saveexec_b64 s[12:13], s[12:13]
	s_cbranch_execnz .LBB14_2107
.LBB14_1812:
	s_or_b64 exec, exec, s[12:13]
	v_mov_b32_e32 v7, 0
	s_and_saveexec_b64 s[12:13], s[10:11]
.LBB14_1813:
	v_lshrrev_b32_e32 v7, 24, v2
	s_movk_i32 s10, 0x80
	v_and_or_b32 v7, v7, s10, v3
.LBB14_1814:
	s_or_b64 exec, exec, s[12:13]
.LBB14_1815:
	s_or_b64 exec, exec, s[4:5]
	global_store_byte v[0:1], v7, off
.LBB14_1816:
	s_mov_b64 s[4:5], -1
.LBB14_1817:
	s_mov_b64 s[10:11], 0
.LBB14_1818:
	s_and_b64 vcc, exec, s[10:11]
	s_cbranch_vccz .LBB14_1858
; %bb.1819:
	s_cmp_gt_i32 s15, 22
	s_mov_b64 s[2:3], -1
	s_cbranch_scc0 .LBB14_1851
; %bb.1820:
	s_cmp_lt_i32 s15, 24
	s_cbranch_scc1 .LBB14_1840
; %bb.1821:
	s_cmp_gt_i32 s15, 24
	s_cbranch_scc0 .LBB14_1829
; %bb.1822:
	v_and_b32_e32 v3, 0x7fffffff, v2
	s_mov_b32 s2, 0x47800000
	v_cmp_gt_u32_e32 vcc, s2, v3
	v_mov_b32_e32 v7, 0x80
	s_and_saveexec_b64 s[2:3], vcc
	s_cbranch_execz .LBB14_1828
; %bb.1823:
	s_mov_b32 s4, 0x37ffffff
	v_cmp_lt_u32_e32 vcc, s4, v3
	s_mov_b64 s[4:5], 0
                                        ; implicit-def: $vgpr3
	s_and_saveexec_b64 s[10:11], vcc
	s_xor_b64 s[10:11], exec, s[10:11]
	s_cbranch_execz .LBB14_2109
; %bb.1824:
	v_bfe_u32 v3, v2, 21, 1
	s_mov_b32 s12, 0x88fffff
	v_add3_u32 v3, v2, v3, s12
	s_mov_b64 s[4:5], exec
	v_lshrrev_b32_e32 v3, 21, v3
	s_andn2_saveexec_b64 s[10:11], s[10:11]
	s_cbranch_execnz .LBB14_2110
.LBB14_1825:
	s_or_b64 exec, exec, s[10:11]
	v_mov_b32_e32 v7, 0
	s_and_saveexec_b64 s[10:11], s[4:5]
.LBB14_1826:
	v_lshrrev_b32_e32 v7, 24, v2
	s_movk_i32 s4, 0x80
	v_and_or_b32 v7, v7, s4, v3
.LBB14_1827:
	s_or_b64 exec, exec, s[10:11]
.LBB14_1828:
	s_or_b64 exec, exec, s[2:3]
	s_mov_b64 s[2:3], 0
	global_store_byte v[0:1], v7, off
.LBB14_1829:
	s_and_b64 vcc, exec, s[2:3]
	s_cbranch_vccz .LBB14_1839
; %bb.1830:
	v_and_b32_e32 v7, 0x7fffffff, v2
	s_mov_b32 s2, 0x43f00000
	v_cmp_gt_u32_e32 vcc, s2, v7
                                        ; implicit-def: $vgpr3
	s_and_saveexec_b64 s[2:3], vcc
	s_xor_b64 s[2:3], exec, s[2:3]
	s_cbranch_execz .LBB14_1836
; %bb.1831:
	s_mov_b32 s4, 0x3c7fffff
	v_cmp_lt_u32_e32 vcc, s4, v7
                                        ; implicit-def: $vgpr3
	s_and_saveexec_b64 s[4:5], vcc
	s_xor_b64 s[4:5], exec, s[4:5]
; %bb.1832:
	v_bfe_u32 v3, v2, 20, 1
	s_mov_b32 s10, 0x407ffff
	v_add3_u32 v3, v2, v3, s10
	v_lshrrev_b32_e32 v7, 20, v3
	v_and_b32_e32 v3, 0xff00000, v3
	s_mov_b32 s10, 0x7f00000
	v_mov_b32_e32 v8, 0x7e
	v_cmp_ne_u32_e32 vcc, s10, v3
	v_cndmask_b32_e32 v3, v8, v7, vcc
; %bb.1833:
	s_andn2_saveexec_b64 s[4:5], s[4:5]
; %bb.1834:
	s_mov_b32 s10, 0x46800000
	v_add_f32_e64 v3, |v2|, s10
; %bb.1835:
	s_or_b64 exec, exec, s[4:5]
                                        ; implicit-def: $vgpr7
.LBB14_1836:
	s_andn2_saveexec_b64 s[2:3], s[2:3]
; %bb.1837:
	s_mov_b32 s4, 0x7f800000
	v_mov_b32_e32 v3, 0x7e
	v_mov_b32_e32 v8, 0x7f
	v_cmp_lt_u32_e32 vcc, s4, v7
	v_cndmask_b32_e32 v3, v3, v8, vcc
; %bb.1838:
	s_or_b64 exec, exec, s[2:3]
	v_lshrrev_b32_e32 v7, 24, v2
	s_movk_i32 s2, 0x80
	v_and_or_b32 v3, v7, s2, v3
	global_store_byte v[0:1], v3, off
.LBB14_1839:
	s_mov_b64 s[2:3], 0
.LBB14_1840:
	s_andn2_b64 vcc, exec, s[2:3]
	s_cbranch_vccnz .LBB14_1850
; %bb.1841:
	v_and_b32_e32 v7, 0x7fffffff, v2
	s_mov_b32 s2, 0x47800000
	v_cmp_gt_u32_e32 vcc, s2, v7
                                        ; implicit-def: $vgpr3
	s_and_saveexec_b64 s[2:3], vcc
	s_xor_b64 s[2:3], exec, s[2:3]
	s_cbranch_execz .LBB14_1847
; %bb.1842:
	s_mov_b32 s4, 0x387fffff
	v_cmp_lt_u32_e32 vcc, s4, v7
                                        ; implicit-def: $vgpr3
	s_and_saveexec_b64 s[4:5], vcc
	s_xor_b64 s[4:5], exec, s[4:5]
; %bb.1843:
	v_bfe_u32 v3, v2, 21, 1
	s_mov_b32 s10, 0x80fffff
	v_add3_u32 v3, v2, v3, s10
	v_lshrrev_b32_e32 v3, 21, v3
; %bb.1844:
	s_andn2_saveexec_b64 s[4:5], s[4:5]
; %bb.1845:
	s_mov_b32 s10, 0x43000000
	v_add_f32_e64 v3, |v2|, s10
; %bb.1846:
	s_or_b64 exec, exec, s[4:5]
                                        ; implicit-def: $vgpr7
.LBB14_1847:
	s_andn2_saveexec_b64 s[2:3], s[2:3]
; %bb.1848:
	s_mov_b32 s4, 0x7f800000
	v_mov_b32_e32 v3, 0x7c
	v_mov_b32_e32 v8, 0x7f
	v_cmp_lt_u32_e32 vcc, s4, v7
	v_cndmask_b32_e32 v3, v3, v8, vcc
; %bb.1849:
	s_or_b64 exec, exec, s[2:3]
	v_lshrrev_b32_e32 v7, 24, v2
	s_movk_i32 s2, 0x80
	v_and_or_b32 v3, v7, s2, v3
	global_store_byte v[0:1], v3, off
.LBB14_1850:
	s_mov_b64 s[2:3], 0
	s_mov_b64 s[4:5], -1
.LBB14_1851:
	s_andn2_b64 vcc, exec, s[2:3]
	s_mov_b64 s[2:3], 0
	s_cbranch_vccnz .LBB14_1858
; %bb.1852:
	s_cmp_gt_i32 s15, 14
	s_mov_b64 s[10:11], -1
	s_cbranch_scc0 .LBB14_1856
; %bb.1853:
	s_cmp_eq_u32 s15, 15
	s_mov_b64 s[0:1], -1
	s_cbranch_scc0 .LBB14_1855
; %bb.1854:
	v_bfe_u32 v3, v2, 16, 1
	s_movk_i32 s0, 0x7fff
	v_add3_u32 v3, v2, v3, s0
	v_cmp_o_f32_e32 vcc, v2, v2
	v_mov_b32_e32 v7, 0x7fc0
	v_cndmask_b32_sdwa v3, v7, v3, vcc dst_sel:DWORD dst_unused:UNUSED_PAD src0_sel:DWORD src1_sel:WORD_1
	global_store_short v[0:1], v3, off
	s_mov_b64 s[0:1], 0
	s_mov_b64 s[4:5], -1
.LBB14_1855:
	s_mov_b64 s[10:11], 0
.LBB14_1856:
	s_and_b64 vcc, exec, s[10:11]
	s_cbranch_vccz .LBB14_1858
; %bb.1857:
	s_cmp_lg_u32 s15, 11
	s_mov_b64 s[2:3], -1
	s_cselect_b64 s[0:1], -1, 0
.LBB14_1858:
	s_and_b64 vcc, exec, s[0:1]
	s_cbranch_vccnz .LBB14_2108
; %bb.1859:
	s_andn2_b64 vcc, exec, s[2:3]
	s_cbranch_vccnz .LBB14_1861
.LBB14_1860:
	v_cmp_neq_f32_e32 vcc, 0, v2
	v_cndmask_b32_e64 v3, 0, 1, vcc
	s_mov_b64 s[4:5], -1
	global_store_byte v[0:1], v3, off
.LBB14_1861:
	s_mov_b64 s[0:1], 0
	s_branch .LBB14_1863
.LBB14_1862:
	s_mov_b64 s[0:1], -1
	s_mov_b64 s[4:5], 0
.LBB14_1863:
	s_and_b64 vcc, exec, s[0:1]
	s_cbranch_vccz .LBB14_1902
; %bb.1864:
	s_and_b32 s2, 0xffff, s20
	s_cmp_lt_i32 s2, 5
	s_mov_b64 s[0:1], -1
	s_cbranch_scc1 .LBB14_1885
; %bb.1865:
	s_cmp_lt_i32 s2, 8
	s_cbranch_scc1 .LBB14_1875
; %bb.1866:
	s_cmp_lt_i32 s2, 9
	s_cbranch_scc1 .LBB14_1872
; %bb.1867:
	s_cmp_gt_i32 s2, 9
	s_cbranch_scc0 .LBB14_1869
; %bb.1868:
	v_cvt_f64_f32_e32 v[7:8], v2
	v_mov_b32_e32 v9, 0
	v_mov_b32_e32 v10, v9
	s_mov_b64 s[0:1], 0
	global_store_dwordx4 v[0:1], v[7:10], off
.LBB14_1869:
	s_andn2_b64 vcc, exec, s[0:1]
	s_cbranch_vccnz .LBB14_1871
; %bb.1870:
	v_mov_b32_e32 v3, 0
	global_store_dwordx2 v[0:1], v[2:3], off
.LBB14_1871:
	s_mov_b64 s[0:1], 0
.LBB14_1872:
	s_andn2_b64 vcc, exec, s[0:1]
	s_cbranch_vccnz .LBB14_1874
; %bb.1873:
	v_cvt_f16_f32_e32 v3, v2
	global_store_dword v[0:1], v3, off
.LBB14_1874:
	s_mov_b64 s[0:1], 0
.LBB14_1875:
	s_andn2_b64 vcc, exec, s[0:1]
	s_cbranch_vccnz .LBB14_1884
; %bb.1876:
	s_cmp_lt_i32 s2, 6
	s_mov_b64 s[0:1], -1
	s_cbranch_scc1 .LBB14_1882
; %bb.1877:
	s_cmp_gt_i32 s2, 6
	s_cbranch_scc0 .LBB14_1879
; %bb.1878:
	v_cvt_f64_f32_e32 v[7:8], v2
	s_mov_b64 s[0:1], 0
	global_store_dwordx2 v[0:1], v[7:8], off
.LBB14_1879:
	s_andn2_b64 vcc, exec, s[0:1]
	s_cbranch_vccnz .LBB14_1881
; %bb.1880:
	global_store_dword v[0:1], v2, off
.LBB14_1881:
	s_mov_b64 s[0:1], 0
.LBB14_1882:
	s_andn2_b64 vcc, exec, s[0:1]
	s_cbranch_vccnz .LBB14_1884
; %bb.1883:
	v_cvt_f16_f32_e32 v3, v2
	global_store_short v[0:1], v3, off
.LBB14_1884:
	s_mov_b64 s[0:1], 0
.LBB14_1885:
	s_andn2_b64 vcc, exec, s[0:1]
	s_cbranch_vccnz .LBB14_1901
; %bb.1886:
	s_cmp_lt_i32 s2, 2
	s_mov_b64 s[0:1], -1
	s_cbranch_scc1 .LBB14_1896
; %bb.1887:
	s_cmp_lt_i32 s2, 3
	s_cbranch_scc1 .LBB14_1893
; %bb.1888:
	s_cmp_gt_i32 s2, 3
	s_cbranch_scc0 .LBB14_1890
; %bb.1889:
	v_trunc_f32_e32 v3, v2
	s_mov_b32 s0, 0x2f800000
	v_mul_f32_e64 v7, |v3|, s0
	v_floor_f32_e32 v7, v7
	s_mov_b32 s0, 0xcf800000
	v_cvt_u32_f32_e32 v8, v7
	v_fma_f32 v7, v7, s0, |v3|
	v_cvt_u32_f32_e32 v7, v7
	v_ashrrev_i32_e32 v3, 31, v3
	v_xor_b32_e32 v8, v8, v3
	s_mov_b64 s[0:1], 0
	v_xor_b32_e32 v7, v7, v3
	v_sub_co_u32_e32 v7, vcc, v7, v3
	v_subb_co_u32_e32 v8, vcc, v8, v3, vcc
	global_store_dwordx2 v[0:1], v[7:8], off
.LBB14_1890:
	s_andn2_b64 vcc, exec, s[0:1]
	s_cbranch_vccnz .LBB14_1892
; %bb.1891:
	v_cvt_i32_f32_e32 v3, v2
	global_store_dword v[0:1], v3, off
.LBB14_1892:
	s_mov_b64 s[0:1], 0
.LBB14_1893:
	s_andn2_b64 vcc, exec, s[0:1]
	s_cbranch_vccnz .LBB14_1895
; %bb.1894:
	v_cvt_i32_f32_e32 v3, v2
	global_store_short v[0:1], v3, off
.LBB14_1895:
	s_mov_b64 s[0:1], 0
.LBB14_1896:
	s_andn2_b64 vcc, exec, s[0:1]
	s_cbranch_vccnz .LBB14_1901
; %bb.1897:
	s_cmp_gt_i32 s2, 0
	s_mov_b64 s[0:1], -1
	s_cbranch_scc0 .LBB14_1899
; %bb.1898:
	v_cvt_i32_f32_e32 v3, v2
	s_mov_b64 s[0:1], 0
	global_store_byte v[0:1], v3, off
.LBB14_1899:
	s_andn2_b64 vcc, exec, s[0:1]
	s_cbranch_vccnz .LBB14_1901
; %bb.1900:
	v_trunc_f32_e32 v2, v2
	s_mov_b32 s0, 0x2f800000
	v_mul_f32_e64 v3, |v2|, s0
	v_floor_f32_e32 v3, v3
	s_mov_b32 s0, 0xcf800000
	v_fma_f32 v3, v3, s0, |v2|
	v_cvt_u32_f32_e32 v3, v3
	v_ashrrev_i32_e32 v2, 31, v2
	v_xor_b32_e32 v3, v3, v2
	v_sub_u32_e32 v2, v3, v2
	global_store_byte v[0:1], v2, off
.LBB14_1901:
	s_mov_b64 s[4:5], -1
.LBB14_1902:
	s_andn2_b64 vcc, exec, s[4:5]
	s_cbranch_vccnz .LBB14_2098
; %bb.1903:
	v_add_u32_e32 v2, s14, v5
	v_ashrrev_i32_e32 v1, 31, v2
	v_mov_b32_e32 v3, s9
	v_add_co_u32_e32 v0, vcc, s8, v2
	s_cmp_lt_i32 s20, 11
	v_addc_co_u32_e32 v1, vcc, v3, v1, vcc
	s_cbranch_scc1 .LBB14_1981
; %bb.1904:
	s_and_b32 s15, 0xffff, s20
	s_mov_b64 s[10:11], -1
	s_mov_b64 s[2:3], 0
	s_cmp_gt_i32 s15, 25
	s_mov_b64 s[4:5], 0
	s_mov_b64 s[0:1], 0
	s_cbranch_scc0 .LBB14_1937
; %bb.1905:
	s_cmp_gt_i32 s15, 28
	s_cbranch_scc0 .LBB14_1920
; %bb.1906:
	s_cmp_gt_i32 s15, 43
	;; [unrolled: 3-line block ×3, first 2 shown]
	s_cbranch_scc0 .LBB14_1910
; %bb.1908:
	s_mov_b64 s[0:1], -1
	s_mov_b64 s[10:11], 0
	s_cmp_eq_u32 s15, 46
	s_cbranch_scc0 .LBB14_1910
; %bb.1909:
	v_bfe_u32 v3, v4, 16, 1
	s_movk_i32 s0, 0x7fff
	v_add3_u32 v3, v4, v3, s0
	v_cmp_o_f32_e32 vcc, v4, v4
	v_mov_b32_e32 v5, 0x7fc0
	v_cndmask_b32_sdwa v3, v5, v3, vcc dst_sel:DWORD dst_unused:UNUSED_PAD src0_sel:DWORD src1_sel:WORD_1
	global_store_dword v[0:1], v3, off
	s_mov_b64 s[0:1], 0
	s_mov_b64 s[4:5], -1
.LBB14_1910:
	s_and_b64 vcc, exec, s[10:11]
	s_cbranch_vccz .LBB14_1915
; %bb.1911:
	s_cmp_eq_u32 s15, 44
	s_mov_b64 s[0:1], -1
	s_cbranch_scc0 .LBB14_1915
; %bb.1912:
	v_bfe_u32 v3, v4, 23, 8
	s_movk_i32 s0, 0xff
	v_cmp_ne_u32_e32 vcc, s0, v3
	v_mov_b32_e32 v5, 0xff
	s_and_saveexec_b64 s[4:5], vcc
; %bb.1913:
	s_mov_b32 s0, 0x3fffff
	v_and_b32_e32 v7, 0x400000, v4
	v_and_or_b32 v3, v4, s0, v3
	v_cmp_ne_u32_e32 vcc, 0, v7
	v_cmp_ne_u32_e64 s[0:1], 0, v3
	s_and_b64 s[0:1], vcc, s[0:1]
	v_lshrrev_b32_e32 v5, 23, v4
	v_cndmask_b32_e64 v3, 0, 1, s[0:1]
	v_add_u32_e32 v5, v5, v3
; %bb.1914:
	s_or_b64 exec, exec, s[4:5]
	s_mov_b64 s[0:1], 0
	s_mov_b64 s[4:5], -1
	global_store_byte v[0:1], v5, off
.LBB14_1915:
	s_mov_b64 s[10:11], 0
.LBB14_1916:
	s_and_b64 vcc, exec, s[10:11]
	s_cbranch_vccz .LBB14_1919
; %bb.1917:
	s_cmp_eq_u32 s15, 29
	s_mov_b64 s[0:1], -1
	s_cbranch_scc0 .LBB14_1919
; %bb.1918:
	v_trunc_f32_e32 v3, v4
	v_mul_f32_e32 v5, 0x2f800000, v3
	v_floor_f32_e32 v5, v5
	v_fmac_f32_e32 v3, 0xcf800000, v5
	v_cvt_u32_f32_e32 v8, v5
	v_cvt_u32_f32_e32 v7, v3
	s_mov_b64 s[0:1], 0
	s_mov_b64 s[4:5], -1
	global_store_dwordx2 v[0:1], v[7:8], off
.LBB14_1919:
	s_mov_b64 s[10:11], 0
.LBB14_1920:
	s_and_b64 vcc, exec, s[10:11]
	s_cbranch_vccz .LBB14_1936
; %bb.1921:
	s_cmp_lt_i32 s15, 27
	s_mov_b64 s[4:5], -1
	s_cbranch_scc1 .LBB14_1927
; %bb.1922:
	v_cvt_u32_f32_e32 v3, v4
	s_cmp_gt_i32 s15, 27
	s_cbranch_scc0 .LBB14_1924
; %bb.1923:
	s_mov_b64 s[4:5], 0
	global_store_dword v[0:1], v3, off
.LBB14_1924:
	s_andn2_b64 vcc, exec, s[4:5]
	s_cbranch_vccnz .LBB14_1926
; %bb.1925:
	global_store_short v[0:1], v3, off
.LBB14_1926:
	s_mov_b64 s[4:5], 0
.LBB14_1927:
	s_andn2_b64 vcc, exec, s[4:5]
	s_cbranch_vccnz .LBB14_1935
; %bb.1928:
	v_and_b32_e32 v3, 0x7fffffff, v4
	s_mov_b32 s4, 0x43800000
	v_cmp_gt_u32_e32 vcc, s4, v3
	v_mov_b32_e32 v5, 0x80
	s_and_saveexec_b64 s[4:5], vcc
	s_cbranch_execz .LBB14_1934
; %bb.1929:
	s_mov_b32 s10, 0x3bffffff
	v_cmp_lt_u32_e32 vcc, s10, v3
	s_mov_b64 s[10:11], 0
                                        ; implicit-def: $vgpr3
	s_and_saveexec_b64 s[12:13], vcc
	s_xor_b64 s[12:13], exec, s[12:13]
	s_cbranch_execz .LBB14_2111
; %bb.1930:
	v_bfe_u32 v3, v4, 20, 1
	s_mov_b32 s21, 0x487ffff
	v_add3_u32 v3, v4, v3, s21
	s_mov_b64 s[10:11], exec
	v_lshrrev_b32_e32 v3, 20, v3
	s_andn2_saveexec_b64 s[12:13], s[12:13]
	s_cbranch_execnz .LBB14_2112
.LBB14_1931:
	s_or_b64 exec, exec, s[12:13]
	v_mov_b32_e32 v5, 0
	s_and_saveexec_b64 s[12:13], s[10:11]
.LBB14_1932:
	v_lshrrev_b32_e32 v5, 24, v4
	s_movk_i32 s10, 0x80
	v_and_or_b32 v5, v5, s10, v3
.LBB14_1933:
	s_or_b64 exec, exec, s[12:13]
.LBB14_1934:
	s_or_b64 exec, exec, s[4:5]
	global_store_byte v[0:1], v5, off
.LBB14_1935:
	s_mov_b64 s[4:5], -1
.LBB14_1936:
	s_mov_b64 s[10:11], 0
.LBB14_1937:
	s_and_b64 vcc, exec, s[10:11]
	s_cbranch_vccz .LBB14_1977
; %bb.1938:
	s_cmp_gt_i32 s15, 22
	s_mov_b64 s[2:3], -1
	s_cbranch_scc0 .LBB14_1970
; %bb.1939:
	s_cmp_lt_i32 s15, 24
	s_cbranch_scc1 .LBB14_1959
; %bb.1940:
	s_cmp_gt_i32 s15, 24
	s_cbranch_scc0 .LBB14_1948
; %bb.1941:
	v_and_b32_e32 v3, 0x7fffffff, v4
	s_mov_b32 s2, 0x47800000
	v_cmp_gt_u32_e32 vcc, s2, v3
	v_mov_b32_e32 v5, 0x80
	s_and_saveexec_b64 s[2:3], vcc
	s_cbranch_execz .LBB14_1947
; %bb.1942:
	s_mov_b32 s4, 0x37ffffff
	v_cmp_lt_u32_e32 vcc, s4, v3
	s_mov_b64 s[4:5], 0
                                        ; implicit-def: $vgpr3
	s_and_saveexec_b64 s[10:11], vcc
	s_xor_b64 s[10:11], exec, s[10:11]
	s_cbranch_execz .LBB14_2114
; %bb.1943:
	v_bfe_u32 v3, v4, 21, 1
	s_mov_b32 s12, 0x88fffff
	v_add3_u32 v3, v4, v3, s12
	s_mov_b64 s[4:5], exec
	v_lshrrev_b32_e32 v3, 21, v3
	s_andn2_saveexec_b64 s[10:11], s[10:11]
	s_cbranch_execnz .LBB14_2115
.LBB14_1944:
	s_or_b64 exec, exec, s[10:11]
	v_mov_b32_e32 v5, 0
	s_and_saveexec_b64 s[10:11], s[4:5]
.LBB14_1945:
	v_lshrrev_b32_e32 v5, 24, v4
	s_movk_i32 s4, 0x80
	v_and_or_b32 v5, v5, s4, v3
.LBB14_1946:
	s_or_b64 exec, exec, s[10:11]
.LBB14_1947:
	s_or_b64 exec, exec, s[2:3]
	s_mov_b64 s[2:3], 0
	global_store_byte v[0:1], v5, off
.LBB14_1948:
	s_and_b64 vcc, exec, s[2:3]
	s_cbranch_vccz .LBB14_1958
; %bb.1949:
	v_and_b32_e32 v5, 0x7fffffff, v4
	s_mov_b32 s2, 0x43f00000
	v_cmp_gt_u32_e32 vcc, s2, v5
                                        ; implicit-def: $vgpr3
	s_and_saveexec_b64 s[2:3], vcc
	s_xor_b64 s[2:3], exec, s[2:3]
	s_cbranch_execz .LBB14_1955
; %bb.1950:
	s_mov_b32 s4, 0x3c7fffff
	v_cmp_lt_u32_e32 vcc, s4, v5
                                        ; implicit-def: $vgpr3
	s_and_saveexec_b64 s[4:5], vcc
	s_xor_b64 s[4:5], exec, s[4:5]
; %bb.1951:
	v_bfe_u32 v3, v4, 20, 1
	s_mov_b32 s10, 0x407ffff
	v_add3_u32 v3, v4, v3, s10
	v_lshrrev_b32_e32 v5, 20, v3
	v_and_b32_e32 v3, 0xff00000, v3
	s_mov_b32 s10, 0x7f00000
	v_mov_b32_e32 v7, 0x7e
	v_cmp_ne_u32_e32 vcc, s10, v3
	v_cndmask_b32_e32 v3, v7, v5, vcc
; %bb.1952:
	s_andn2_saveexec_b64 s[4:5], s[4:5]
; %bb.1953:
	s_mov_b32 s10, 0x46800000
	v_add_f32_e64 v3, |v4|, s10
; %bb.1954:
	s_or_b64 exec, exec, s[4:5]
                                        ; implicit-def: $vgpr5
.LBB14_1955:
	s_andn2_saveexec_b64 s[2:3], s[2:3]
; %bb.1956:
	s_mov_b32 s4, 0x7f800000
	v_mov_b32_e32 v3, 0x7e
	v_mov_b32_e32 v7, 0x7f
	v_cmp_lt_u32_e32 vcc, s4, v5
	v_cndmask_b32_e32 v3, v3, v7, vcc
; %bb.1957:
	s_or_b64 exec, exec, s[2:3]
	v_lshrrev_b32_e32 v5, 24, v4
	s_movk_i32 s2, 0x80
	v_and_or_b32 v3, v5, s2, v3
	global_store_byte v[0:1], v3, off
.LBB14_1958:
	s_mov_b64 s[2:3], 0
.LBB14_1959:
	s_andn2_b64 vcc, exec, s[2:3]
	s_cbranch_vccnz .LBB14_1969
; %bb.1960:
	v_and_b32_e32 v5, 0x7fffffff, v4
	s_mov_b32 s2, 0x47800000
	v_cmp_gt_u32_e32 vcc, s2, v5
                                        ; implicit-def: $vgpr3
	s_and_saveexec_b64 s[2:3], vcc
	s_xor_b64 s[2:3], exec, s[2:3]
	s_cbranch_execz .LBB14_1966
; %bb.1961:
	s_mov_b32 s4, 0x387fffff
	v_cmp_lt_u32_e32 vcc, s4, v5
                                        ; implicit-def: $vgpr3
	s_and_saveexec_b64 s[4:5], vcc
	s_xor_b64 s[4:5], exec, s[4:5]
; %bb.1962:
	v_bfe_u32 v3, v4, 21, 1
	s_mov_b32 s10, 0x80fffff
	v_add3_u32 v3, v4, v3, s10
	v_lshrrev_b32_e32 v3, 21, v3
; %bb.1963:
	s_andn2_saveexec_b64 s[4:5], s[4:5]
; %bb.1964:
	s_mov_b32 s10, 0x43000000
	v_add_f32_e64 v3, |v4|, s10
; %bb.1965:
	s_or_b64 exec, exec, s[4:5]
                                        ; implicit-def: $vgpr5
.LBB14_1966:
	s_andn2_saveexec_b64 s[2:3], s[2:3]
; %bb.1967:
	s_mov_b32 s4, 0x7f800000
	v_mov_b32_e32 v3, 0x7c
	v_mov_b32_e32 v7, 0x7f
	v_cmp_lt_u32_e32 vcc, s4, v5
	v_cndmask_b32_e32 v3, v3, v7, vcc
; %bb.1968:
	s_or_b64 exec, exec, s[2:3]
	v_lshrrev_b32_e32 v5, 24, v4
	s_movk_i32 s2, 0x80
	v_and_or_b32 v3, v5, s2, v3
	global_store_byte v[0:1], v3, off
.LBB14_1969:
	s_mov_b64 s[2:3], 0
	s_mov_b64 s[4:5], -1
.LBB14_1970:
	s_andn2_b64 vcc, exec, s[2:3]
	s_mov_b64 s[2:3], 0
	s_cbranch_vccnz .LBB14_1977
; %bb.1971:
	s_cmp_gt_i32 s15, 14
	s_mov_b64 s[10:11], -1
	s_cbranch_scc0 .LBB14_1975
; %bb.1972:
	s_cmp_eq_u32 s15, 15
	s_mov_b64 s[0:1], -1
	s_cbranch_scc0 .LBB14_1974
; %bb.1973:
	v_bfe_u32 v3, v4, 16, 1
	s_movk_i32 s0, 0x7fff
	v_add3_u32 v3, v4, v3, s0
	v_cmp_o_f32_e32 vcc, v4, v4
	v_mov_b32_e32 v5, 0x7fc0
	v_cndmask_b32_sdwa v3, v5, v3, vcc dst_sel:DWORD dst_unused:UNUSED_PAD src0_sel:DWORD src1_sel:WORD_1
	global_store_short v[0:1], v3, off
	s_mov_b64 s[0:1], 0
	s_mov_b64 s[4:5], -1
.LBB14_1974:
	s_mov_b64 s[10:11], 0
.LBB14_1975:
	s_and_b64 vcc, exec, s[10:11]
	s_cbranch_vccz .LBB14_1977
; %bb.1976:
	s_cmp_lg_u32 s15, 11
	s_mov_b64 s[2:3], -1
	s_cselect_b64 s[0:1], -1, 0
.LBB14_1977:
	s_and_b64 vcc, exec, s[0:1]
	s_cbranch_vccnz .LBB14_2113
; %bb.1978:
	s_andn2_b64 vcc, exec, s[2:3]
	s_cbranch_vccnz .LBB14_1980
.LBB14_1979:
	v_cmp_neq_f32_e32 vcc, 0, v4
	v_cndmask_b32_e64 v3, 0, 1, vcc
	s_mov_b64 s[4:5], -1
	global_store_byte v[0:1], v3, off
.LBB14_1980:
	s_mov_b64 s[0:1], 0
	s_branch .LBB14_1982
.LBB14_1981:
	s_mov_b64 s[0:1], -1
	s_mov_b64 s[4:5], 0
.LBB14_1982:
	s_and_b64 vcc, exec, s[0:1]
	s_cbranch_vccz .LBB14_2021
; %bb.1983:
	s_and_b32 s2, 0xffff, s20
	s_cmp_lt_i32 s2, 5
	s_mov_b64 s[0:1], -1
	s_cbranch_scc1 .LBB14_2004
; %bb.1984:
	s_cmp_lt_i32 s2, 8
	s_cbranch_scc1 .LBB14_1994
; %bb.1985:
	s_cmp_lt_i32 s2, 9
	s_cbranch_scc1 .LBB14_1991
; %bb.1986:
	s_cmp_gt_i32 s2, 9
	s_cbranch_scc0 .LBB14_1988
; %bb.1987:
	v_cvt_f64_f32_e32 v[7:8], v4
	v_mov_b32_e32 v9, 0
	v_mov_b32_e32 v10, v9
	s_mov_b64 s[0:1], 0
	global_store_dwordx4 v[0:1], v[7:10], off
.LBB14_1988:
	s_andn2_b64 vcc, exec, s[0:1]
	s_cbranch_vccnz .LBB14_1990
; %bb.1989:
	v_mov_b32_e32 v5, 0
	global_store_dwordx2 v[0:1], v[4:5], off
.LBB14_1990:
	s_mov_b64 s[0:1], 0
.LBB14_1991:
	s_andn2_b64 vcc, exec, s[0:1]
	s_cbranch_vccnz .LBB14_1993
; %bb.1992:
	v_cvt_f16_f32_e32 v3, v4
	global_store_dword v[0:1], v3, off
.LBB14_1993:
	s_mov_b64 s[0:1], 0
.LBB14_1994:
	s_andn2_b64 vcc, exec, s[0:1]
	s_cbranch_vccnz .LBB14_2003
; %bb.1995:
	s_cmp_lt_i32 s2, 6
	s_mov_b64 s[0:1], -1
	s_cbranch_scc1 .LBB14_2001
; %bb.1996:
	s_cmp_gt_i32 s2, 6
	s_cbranch_scc0 .LBB14_1998
; %bb.1997:
	v_cvt_f64_f32_e32 v[7:8], v4
	s_mov_b64 s[0:1], 0
	global_store_dwordx2 v[0:1], v[7:8], off
.LBB14_1998:
	s_andn2_b64 vcc, exec, s[0:1]
	s_cbranch_vccnz .LBB14_2000
; %bb.1999:
	global_store_dword v[0:1], v4, off
.LBB14_2000:
	s_mov_b64 s[0:1], 0
.LBB14_2001:
	s_andn2_b64 vcc, exec, s[0:1]
	s_cbranch_vccnz .LBB14_2003
; %bb.2002:
	v_cvt_f16_f32_e32 v3, v4
	global_store_short v[0:1], v3, off
.LBB14_2003:
	s_mov_b64 s[0:1], 0
.LBB14_2004:
	s_andn2_b64 vcc, exec, s[0:1]
	s_cbranch_vccnz .LBB14_2020
; %bb.2005:
	s_cmp_lt_i32 s2, 2
	s_mov_b64 s[0:1], -1
	s_cbranch_scc1 .LBB14_2015
; %bb.2006:
	s_cmp_lt_i32 s2, 3
	s_cbranch_scc1 .LBB14_2012
; %bb.2007:
	s_cmp_gt_i32 s2, 3
	s_cbranch_scc0 .LBB14_2009
; %bb.2008:
	v_trunc_f32_e32 v3, v4
	s_mov_b32 s0, 0x2f800000
	v_mul_f32_e64 v5, |v3|, s0
	v_floor_f32_e32 v5, v5
	s_mov_b32 s0, 0xcf800000
	v_cvt_u32_f32_e32 v7, v5
	v_fma_f32 v5, v5, s0, |v3|
	v_cvt_u32_f32_e32 v5, v5
	v_ashrrev_i32_e32 v3, 31, v3
	v_xor_b32_e32 v8, v7, v3
	s_mov_b64 s[0:1], 0
	v_xor_b32_e32 v5, v5, v3
	v_sub_co_u32_e32 v7, vcc, v5, v3
	v_subb_co_u32_e32 v8, vcc, v8, v3, vcc
	global_store_dwordx2 v[0:1], v[7:8], off
.LBB14_2009:
	s_andn2_b64 vcc, exec, s[0:1]
	s_cbranch_vccnz .LBB14_2011
; %bb.2010:
	v_cvt_i32_f32_e32 v3, v4
	global_store_dword v[0:1], v3, off
.LBB14_2011:
	s_mov_b64 s[0:1], 0
.LBB14_2012:
	s_andn2_b64 vcc, exec, s[0:1]
	s_cbranch_vccnz .LBB14_2014
; %bb.2013:
	v_cvt_i32_f32_e32 v3, v4
	global_store_short v[0:1], v3, off
.LBB14_2014:
	s_mov_b64 s[0:1], 0
.LBB14_2015:
	s_andn2_b64 vcc, exec, s[0:1]
	s_cbranch_vccnz .LBB14_2020
; %bb.2016:
	s_cmp_gt_i32 s2, 0
	s_mov_b64 s[0:1], -1
	s_cbranch_scc0 .LBB14_2018
; %bb.2017:
	v_cvt_i32_f32_e32 v3, v4
	s_mov_b64 s[0:1], 0
	global_store_byte v[0:1], v3, off
.LBB14_2018:
	s_andn2_b64 vcc, exec, s[0:1]
	s_cbranch_vccnz .LBB14_2020
; %bb.2019:
	v_trunc_f32_e32 v3, v4
	s_mov_b32 s0, 0x2f800000
	v_mul_f32_e64 v4, |v3|, s0
	v_floor_f32_e32 v4, v4
	s_mov_b32 s0, 0xcf800000
	v_fma_f32 v4, v4, s0, |v3|
	v_cvt_u32_f32_e32 v4, v4
	v_ashrrev_i32_e32 v3, 31, v3
	v_xor_b32_e32 v4, v4, v3
	v_sub_u32_e32 v3, v4, v3
	global_store_byte v[0:1], v3, off
.LBB14_2020:
	s_mov_b64 s[4:5], -1
.LBB14_2021:
	s_andn2_b64 vcc, exec, s[4:5]
	s_cbranch_vccnz .LBB14_2098
; %bb.2022:
	v_add_u32_e32 v0, s14, v2
	v_ashrrev_i32_e32 v1, 31, v0
	v_mov_b32_e32 v2, s9
	v_add_co_u32_e32 v0, vcc, s8, v0
	s_cmp_lt_i32 s20, 11
	v_addc_co_u32_e32 v1, vcc, v2, v1, vcc
	s_cbranch_scc1 .LBB14_2099
; %bb.2023:
	s_and_b32 s12, 0xffff, s20
	s_mov_b64 s[4:5], -1
	s_mov_b64 s[2:3], 0
	s_cmp_gt_i32 s12, 25
	s_mov_b64 s[0:1], 0
	s_cbranch_scc0 .LBB14_2056
; %bb.2024:
	s_cmp_gt_i32 s12, 28
	s_cbranch_scc0 .LBB14_2040
; %bb.2025:
	s_cmp_gt_i32 s12, 43
	;; [unrolled: 3-line block ×3, first 2 shown]
	s_cbranch_scc0 .LBB14_2030
; %bb.2027:
	s_cmp_eq_u32 s12, 46
	s_mov_b64 s[0:1], -1
	s_cbranch_scc0 .LBB14_2029
; %bb.2028:
	v_bfe_u32 v2, v6, 16, 1
	s_movk_i32 s0, 0x7fff
	v_add3_u32 v2, v6, v2, s0
	v_cmp_o_f32_e32 vcc, v6, v6
	v_mov_b32_e32 v3, 0x7fc0
	v_cndmask_b32_sdwa v2, v3, v2, vcc dst_sel:DWORD dst_unused:UNUSED_PAD src0_sel:DWORD src1_sel:WORD_1
	global_store_dword v[0:1], v2, off
	s_mov_b64 s[0:1], 0
.LBB14_2029:
	s_mov_b64 s[4:5], 0
.LBB14_2030:
	s_and_b64 vcc, exec, s[4:5]
	s_cbranch_vccz .LBB14_2035
; %bb.2031:
	s_cmp_eq_u32 s12, 44
	s_mov_b64 s[0:1], -1
	s_cbranch_scc0 .LBB14_2035
; %bb.2032:
	v_bfe_u32 v2, v6, 23, 8
	s_movk_i32 s0, 0xff
	v_cmp_ne_u32_e32 vcc, s0, v2
	v_mov_b32_e32 v3, 0xff
	s_and_saveexec_b64 s[4:5], vcc
; %bb.2033:
	s_mov_b32 s0, 0x3fffff
	v_and_b32_e32 v4, 0x400000, v6
	v_and_or_b32 v2, v6, s0, v2
	v_cmp_ne_u32_e32 vcc, 0, v4
	v_cmp_ne_u32_e64 s[0:1], 0, v2
	s_and_b64 s[0:1], vcc, s[0:1]
	v_lshrrev_b32_e32 v3, 23, v6
	v_cndmask_b32_e64 v2, 0, 1, s[0:1]
	v_add_u32_e32 v3, v3, v2
; %bb.2034:
	s_or_b64 exec, exec, s[4:5]
	s_mov_b64 s[0:1], 0
	global_store_byte v[0:1], v3, off
.LBB14_2035:
	s_mov_b64 s[4:5], 0
.LBB14_2036:
	s_and_b64 vcc, exec, s[4:5]
	s_cbranch_vccz .LBB14_2039
; %bb.2037:
	s_cmp_eq_u32 s12, 29
	s_mov_b64 s[0:1], -1
	s_cbranch_scc0 .LBB14_2039
; %bb.2038:
	v_trunc_f32_e32 v2, v6
	v_mul_f32_e32 v3, 0x2f800000, v2
	v_floor_f32_e32 v4, v3
	v_fmac_f32_e32 v2, 0xcf800000, v4
	v_cvt_u32_f32_e32 v3, v4
	v_cvt_u32_f32_e32 v2, v2
	s_mov_b64 s[0:1], 0
	global_store_dwordx2 v[0:1], v[2:3], off
.LBB14_2039:
	s_mov_b64 s[4:5], 0
.LBB14_2040:
	s_and_b64 vcc, exec, s[4:5]
	s_cbranch_vccz .LBB14_2055
; %bb.2041:
	s_cmp_lt_i32 s12, 27
	s_mov_b64 s[4:5], -1
	s_cbranch_scc1 .LBB14_2047
; %bb.2042:
	v_cvt_u32_f32_e32 v2, v6
	s_cmp_gt_i32 s12, 27
	s_cbranch_scc0 .LBB14_2044
; %bb.2043:
	global_store_dword v[0:1], v2, off
	s_mov_b64 s[4:5], 0
.LBB14_2044:
	s_andn2_b64 vcc, exec, s[4:5]
	s_cbranch_vccnz .LBB14_2046
; %bb.2045:
	global_store_short v[0:1], v2, off
.LBB14_2046:
	s_mov_b64 s[4:5], 0
.LBB14_2047:
	s_andn2_b64 vcc, exec, s[4:5]
	s_cbranch_vccnz .LBB14_2055
; %bb.2048:
	v_and_b32_e32 v2, 0x7fffffff, v6
	s_mov_b32 s4, 0x43800000
	v_cmp_gt_u32_e32 vcc, s4, v2
	v_mov_b32_e32 v3, 0x80
	s_and_saveexec_b64 s[4:5], vcc
	s_cbranch_execz .LBB14_2054
; %bb.2049:
	s_mov_b32 s8, 0x3bffffff
	v_cmp_lt_u32_e32 vcc, s8, v2
	s_mov_b64 s[8:9], 0
                                        ; implicit-def: $vgpr2
	s_and_saveexec_b64 s[10:11], vcc
	s_xor_b64 s[10:11], exec, s[10:11]
	s_cbranch_execz .LBB14_2116
; %bb.2050:
	v_bfe_u32 v2, v6, 20, 1
	s_mov_b32 s13, 0x487ffff
	v_add3_u32 v2, v6, v2, s13
	s_mov_b64 s[8:9], exec
	v_lshrrev_b32_e32 v2, 20, v2
	s_andn2_saveexec_b64 s[10:11], s[10:11]
	s_cbranch_execnz .LBB14_2117
.LBB14_2051:
	s_or_b64 exec, exec, s[10:11]
	v_mov_b32_e32 v3, 0
	s_and_saveexec_b64 s[10:11], s[8:9]
.LBB14_2052:
	v_lshrrev_b32_e32 v3, 24, v6
	s_movk_i32 s8, 0x80
	v_and_or_b32 v3, v3, s8, v2
.LBB14_2053:
	s_or_b64 exec, exec, s[10:11]
.LBB14_2054:
	s_or_b64 exec, exec, s[4:5]
	global_store_byte v[0:1], v3, off
.LBB14_2055:
	s_mov_b64 s[4:5], 0
.LBB14_2056:
	s_and_b64 vcc, exec, s[4:5]
	s_cbranch_vccz .LBB14_2096
; %bb.2057:
	s_cmp_gt_i32 s12, 22
	s_mov_b64 s[2:3], -1
	s_cbranch_scc0 .LBB14_2089
; %bb.2058:
	s_cmp_lt_i32 s12, 24
	s_cbranch_scc1 .LBB14_2078
; %bb.2059:
	s_cmp_gt_i32 s12, 24
	s_cbranch_scc0 .LBB14_2067
; %bb.2060:
	v_and_b32_e32 v2, 0x7fffffff, v6
	s_mov_b32 s2, 0x47800000
	v_cmp_gt_u32_e32 vcc, s2, v2
	v_mov_b32_e32 v3, 0x80
	s_and_saveexec_b64 s[2:3], vcc
	s_cbranch_execz .LBB14_2066
; %bb.2061:
	s_mov_b32 s4, 0x37ffffff
	v_cmp_lt_u32_e32 vcc, s4, v2
	s_mov_b64 s[4:5], 0
                                        ; implicit-def: $vgpr2
	s_and_saveexec_b64 s[8:9], vcc
	s_xor_b64 s[8:9], exec, s[8:9]
	s_cbranch_execz .LBB14_2119
; %bb.2062:
	v_bfe_u32 v2, v6, 21, 1
	s_mov_b32 s10, 0x88fffff
	v_add3_u32 v2, v6, v2, s10
	s_mov_b64 s[4:5], exec
	v_lshrrev_b32_e32 v2, 21, v2
	s_andn2_saveexec_b64 s[8:9], s[8:9]
	s_cbranch_execnz .LBB14_2120
.LBB14_2063:
	s_or_b64 exec, exec, s[8:9]
	v_mov_b32_e32 v3, 0
	s_and_saveexec_b64 s[8:9], s[4:5]
.LBB14_2064:
	v_lshrrev_b32_e32 v3, 24, v6
	s_movk_i32 s4, 0x80
	v_and_or_b32 v3, v3, s4, v2
.LBB14_2065:
	s_or_b64 exec, exec, s[8:9]
.LBB14_2066:
	s_or_b64 exec, exec, s[2:3]
	s_mov_b64 s[2:3], 0
	global_store_byte v[0:1], v3, off
.LBB14_2067:
	s_and_b64 vcc, exec, s[2:3]
	s_cbranch_vccz .LBB14_2077
; %bb.2068:
	v_and_b32_e32 v3, 0x7fffffff, v6
	s_mov_b32 s2, 0x43f00000
	v_cmp_gt_u32_e32 vcc, s2, v3
                                        ; implicit-def: $vgpr2
	s_and_saveexec_b64 s[2:3], vcc
	s_xor_b64 s[2:3], exec, s[2:3]
	s_cbranch_execz .LBB14_2074
; %bb.2069:
	s_mov_b32 s4, 0x3c7fffff
	v_cmp_lt_u32_e32 vcc, s4, v3
                                        ; implicit-def: $vgpr2
	s_and_saveexec_b64 s[4:5], vcc
	s_xor_b64 s[4:5], exec, s[4:5]
; %bb.2070:
	v_bfe_u32 v2, v6, 20, 1
	s_mov_b32 s8, 0x407ffff
	v_add3_u32 v2, v6, v2, s8
	v_lshrrev_b32_e32 v3, 20, v2
	v_and_b32_e32 v2, 0xff00000, v2
	s_mov_b32 s8, 0x7f00000
	v_mov_b32_e32 v4, 0x7e
	v_cmp_ne_u32_e32 vcc, s8, v2
	v_cndmask_b32_e32 v2, v4, v3, vcc
; %bb.2071:
	s_andn2_saveexec_b64 s[4:5], s[4:5]
; %bb.2072:
	s_mov_b32 s8, 0x46800000
	v_add_f32_e64 v2, |v6|, s8
; %bb.2073:
	s_or_b64 exec, exec, s[4:5]
                                        ; implicit-def: $vgpr3
.LBB14_2074:
	s_andn2_saveexec_b64 s[2:3], s[2:3]
; %bb.2075:
	s_mov_b32 s4, 0x7f800000
	v_mov_b32_e32 v2, 0x7e
	v_mov_b32_e32 v4, 0x7f
	v_cmp_lt_u32_e32 vcc, s4, v3
	v_cndmask_b32_e32 v2, v2, v4, vcc
; %bb.2076:
	s_or_b64 exec, exec, s[2:3]
	v_lshrrev_b32_e32 v3, 24, v6
	s_movk_i32 s2, 0x80
	v_and_or_b32 v2, v3, s2, v2
	global_store_byte v[0:1], v2, off
.LBB14_2077:
	s_mov_b64 s[2:3], 0
.LBB14_2078:
	s_andn2_b64 vcc, exec, s[2:3]
	s_cbranch_vccnz .LBB14_2088
; %bb.2079:
	v_and_b32_e32 v3, 0x7fffffff, v6
	s_mov_b32 s2, 0x47800000
	v_cmp_gt_u32_e32 vcc, s2, v3
                                        ; implicit-def: $vgpr2
	s_and_saveexec_b64 s[2:3], vcc
	s_xor_b64 s[2:3], exec, s[2:3]
	s_cbranch_execz .LBB14_2085
; %bb.2080:
	s_mov_b32 s4, 0x387fffff
	v_cmp_lt_u32_e32 vcc, s4, v3
                                        ; implicit-def: $vgpr2
	s_and_saveexec_b64 s[4:5], vcc
	s_xor_b64 s[4:5], exec, s[4:5]
; %bb.2081:
	v_bfe_u32 v2, v6, 21, 1
	s_mov_b32 s8, 0x80fffff
	v_add3_u32 v2, v6, v2, s8
	v_lshrrev_b32_e32 v2, 21, v2
; %bb.2082:
	s_andn2_saveexec_b64 s[4:5], s[4:5]
; %bb.2083:
	s_mov_b32 s8, 0x43000000
	v_add_f32_e64 v2, |v6|, s8
; %bb.2084:
	s_or_b64 exec, exec, s[4:5]
                                        ; implicit-def: $vgpr3
.LBB14_2085:
	s_andn2_saveexec_b64 s[2:3], s[2:3]
; %bb.2086:
	s_mov_b32 s4, 0x7f800000
	v_mov_b32_e32 v2, 0x7c
	v_mov_b32_e32 v4, 0x7f
	v_cmp_lt_u32_e32 vcc, s4, v3
	v_cndmask_b32_e32 v2, v2, v4, vcc
; %bb.2087:
	s_or_b64 exec, exec, s[2:3]
	v_lshrrev_b32_e32 v3, 24, v6
	s_movk_i32 s2, 0x80
	v_and_or_b32 v2, v3, s2, v2
	global_store_byte v[0:1], v2, off
.LBB14_2088:
	s_mov_b64 s[2:3], 0
.LBB14_2089:
	s_andn2_b64 vcc, exec, s[2:3]
	s_mov_b64 s[2:3], 0
	s_cbranch_vccnz .LBB14_2096
; %bb.2090:
	s_cmp_gt_i32 s12, 14
	s_mov_b64 s[4:5], -1
	s_cbranch_scc0 .LBB14_2094
; %bb.2091:
	s_cmp_eq_u32 s12, 15
	s_mov_b64 s[0:1], -1
	s_cbranch_scc0 .LBB14_2093
; %bb.2092:
	v_bfe_u32 v2, v6, 16, 1
	s_movk_i32 s0, 0x7fff
	v_add3_u32 v2, v6, v2, s0
	v_cmp_o_f32_e32 vcc, v6, v6
	v_mov_b32_e32 v3, 0x7fc0
	v_cndmask_b32_sdwa v2, v3, v2, vcc dst_sel:DWORD dst_unused:UNUSED_PAD src0_sel:DWORD src1_sel:WORD_1
	global_store_short v[0:1], v2, off
	s_mov_b64 s[0:1], 0
.LBB14_2093:
	s_mov_b64 s[4:5], 0
.LBB14_2094:
	s_and_b64 vcc, exec, s[4:5]
	s_cbranch_vccz .LBB14_2096
; %bb.2095:
	s_cmp_lg_u32 s12, 11
	s_mov_b64 s[2:3], -1
	s_cselect_b64 s[0:1], -1, 0
.LBB14_2096:
	s_and_b64 vcc, exec, s[0:1]
	s_cbranch_vccnz .LBB14_2118
.LBB14_2097:
	s_mov_b64 s[0:1], 0
	s_branch .LBB14_1699
.LBB14_2098:
	s_mov_b64 s[0:1], 0
                                        ; implicit-def: $sgpr20
                                        ; implicit-def: $vgpr0_vgpr1
	s_branch .LBB14_1698
.LBB14_2099:
	s_mov_b64 s[2:3], 0
	s_mov_b64 s[0:1], -1
	s_branch .LBB14_1699
.LBB14_2100:
	s_trap 2
	s_or_b64 s[18:19], s[18:19], exec
	s_cbranch_execz .LBB14_1557
	s_branch .LBB14_1558
.LBB14_2101:
	s_andn2_saveexec_b64 s[14:15], s[14:15]
	s_cbranch_execz .LBB14_1647
.LBB14_2102:
	s_mov_b32 s21, 0x46000000
	v_add_f32_e64 v1, |v0|, s21
	v_and_b32_e32 v1, 0xff, v1
	v_cmp_ne_u32_e32 vcc, 0, v1
	s_andn2_b64 s[10:11], s[10:11], exec
	s_and_b64 s[22:23], vcc, exec
	s_or_b64 s[10:11], s[10:11], s[22:23]
	s_or_b64 exec, exec, s[14:15]
	v_mov_b32_e32 v5, 0
	s_and_saveexec_b64 s[14:15], s[10:11]
	s_cbranch_execnz .LBB14_1648
	s_branch .LBB14_1649
.LBB14_2103:
	s_trap 2
	s_or_b64 s[18:19], s[18:19], exec
	s_cbranch_execz .LBB14_1695
	s_branch .LBB14_1696
.LBB14_2104:
	s_andn2_saveexec_b64 s[10:11], s[10:11]
	s_cbranch_execz .LBB14_1660
.LBB14_2105:
	s_mov_b32 s14, 0x42800000
	v_add_f32_e64 v1, |v0|, s14
	v_and_b32_e32 v1, 0xff, v1
	v_cmp_ne_u32_e32 vcc, 0, v1
	s_andn2_b64 s[4:5], s[4:5], exec
	s_and_b64 s[14:15], vcc, exec
	s_or_b64 s[4:5], s[4:5], s[14:15]
	s_or_b64 exec, exec, s[10:11]
	v_mov_b32_e32 v5, 0
	s_and_saveexec_b64 s[10:11], s[4:5]
	s_cbranch_execnz .LBB14_1661
	s_branch .LBB14_1662
.LBB14_2106:
	s_andn2_saveexec_b64 s[12:13], s[12:13]
	s_cbranch_execz .LBB14_1812
.LBB14_2107:
	s_mov_b32 s21, 0x46000000
	v_add_f32_e64 v3, |v2|, s21
	v_and_b32_e32 v3, 0xff, v3
	v_cmp_ne_u32_e32 vcc, 0, v3
	s_andn2_b64 s[10:11], s[10:11], exec
	s_and_b64 s[22:23], vcc, exec
	s_or_b64 s[10:11], s[10:11], s[22:23]
	s_or_b64 exec, exec, s[12:13]
	v_mov_b32_e32 v7, 0
	s_and_saveexec_b64 s[12:13], s[10:11]
	s_cbranch_execnz .LBB14_1813
	s_branch .LBB14_1814
.LBB14_2108:
	s_trap 2
	s_or_b64 s[18:19], s[18:19], exec
	s_cbranch_execz .LBB14_1860
	s_branch .LBB14_1861
.LBB14_2109:
	s_andn2_saveexec_b64 s[10:11], s[10:11]
	s_cbranch_execz .LBB14_1825
.LBB14_2110:
	s_mov_b32 s12, 0x42800000
	v_add_f32_e64 v3, |v2|, s12
	v_and_b32_e32 v3, 0xff, v3
	v_cmp_ne_u32_e32 vcc, 0, v3
	s_andn2_b64 s[4:5], s[4:5], exec
	s_and_b64 s[12:13], vcc, exec
	s_or_b64 s[4:5], s[4:5], s[12:13]
	s_or_b64 exec, exec, s[10:11]
	v_mov_b32_e32 v7, 0
	s_and_saveexec_b64 s[10:11], s[4:5]
	s_cbranch_execnz .LBB14_1826
	s_branch .LBB14_1827
.LBB14_2111:
	s_andn2_saveexec_b64 s[12:13], s[12:13]
	s_cbranch_execz .LBB14_1931
.LBB14_2112:
	s_mov_b32 s21, 0x46000000
	v_add_f32_e64 v3, |v4|, s21
	v_and_b32_e32 v3, 0xff, v3
	v_cmp_ne_u32_e32 vcc, 0, v3
	s_andn2_b64 s[10:11], s[10:11], exec
	s_and_b64 s[22:23], vcc, exec
	s_or_b64 s[10:11], s[10:11], s[22:23]
	s_or_b64 exec, exec, s[12:13]
	v_mov_b32_e32 v5, 0
	s_and_saveexec_b64 s[12:13], s[10:11]
	s_cbranch_execnz .LBB14_1932
	s_branch .LBB14_1933
.LBB14_2113:
	s_trap 2
	s_or_b64 s[18:19], s[18:19], exec
	s_cbranch_execz .LBB14_1979
	s_branch .LBB14_1980
.LBB14_2114:
	s_andn2_saveexec_b64 s[10:11], s[10:11]
	s_cbranch_execz .LBB14_1944
.LBB14_2115:
	s_mov_b32 s12, 0x42800000
	v_add_f32_e64 v3, |v4|, s12
	v_and_b32_e32 v3, 0xff, v3
	v_cmp_ne_u32_e32 vcc, 0, v3
	s_andn2_b64 s[4:5], s[4:5], exec
	s_and_b64 s[12:13], vcc, exec
	s_or_b64 s[4:5], s[4:5], s[12:13]
	s_or_b64 exec, exec, s[10:11]
	v_mov_b32_e32 v5, 0
	s_and_saveexec_b64 s[10:11], s[4:5]
	s_cbranch_execnz .LBB14_1945
	s_branch .LBB14_1946
.LBB14_2116:
	s_andn2_saveexec_b64 s[10:11], s[10:11]
	s_cbranch_execz .LBB14_2051
.LBB14_2117:
	s_mov_b32 s13, 0x46000000
	v_add_f32_e64 v2, |v6|, s13
	v_and_b32_e32 v2, 0xff, v2
	v_cmp_ne_u32_e32 vcc, 0, v2
	s_andn2_b64 s[8:9], s[8:9], exec
	s_and_b64 s[14:15], vcc, exec
	s_or_b64 s[8:9], s[8:9], s[14:15]
	s_or_b64 exec, exec, s[10:11]
	v_mov_b32_e32 v3, 0
	s_and_saveexec_b64 s[10:11], s[8:9]
	s_cbranch_execnz .LBB14_2052
	s_branch .LBB14_2053
.LBB14_2118:
	s_mov_b64 s[2:3], 0
	s_or_b64 s[18:19], s[18:19], exec
	s_trap 2
	s_branch .LBB14_2097
.LBB14_2119:
	s_andn2_saveexec_b64 s[8:9], s[8:9]
	s_cbranch_execz .LBB14_2063
.LBB14_2120:
	s_mov_b32 s10, 0x42800000
	v_add_f32_e64 v2, |v6|, s10
	v_and_b32_e32 v2, 0xff, v2
	v_cmp_ne_u32_e32 vcc, 0, v2
	s_andn2_b64 s[4:5], s[4:5], exec
	s_and_b64 s[10:11], vcc, exec
	s_or_b64 s[4:5], s[4:5], s[10:11]
	s_or_b64 exec, exec, s[8:9]
	v_mov_b32_e32 v3, 0
	s_and_saveexec_b64 s[8:9], s[4:5]
	s_cbranch_execnz .LBB14_2064
	s_branch .LBB14_2065
	.section	.rodata,"a",@progbits
	.p2align	6, 0x0
	.amdhsa_kernel _ZN2at6native32elementwise_kernel_manual_unrollILi128ELi4EZNS0_15gpu_kernel_implIZZZNS0_12_GLOBAL__N_131spherical_bessel_j0_kernel_cudaERNS_18TensorIteratorBaseEENKUlvE_clEvENKUlvE0_clEvEUlfE_EEvS5_RKT_EUlibE_EEviT1_
		.amdhsa_group_segment_fixed_size 0
		.amdhsa_private_segment_fixed_size 0
		.amdhsa_kernarg_size 40
		.amdhsa_user_sgpr_count 6
		.amdhsa_user_sgpr_private_segment_buffer 1
		.amdhsa_user_sgpr_dispatch_ptr 0
		.amdhsa_user_sgpr_queue_ptr 0
		.amdhsa_user_sgpr_kernarg_segment_ptr 1
		.amdhsa_user_sgpr_dispatch_id 0
		.amdhsa_user_sgpr_flat_scratch_init 0
		.amdhsa_user_sgpr_private_segment_size 0
		.amdhsa_uses_dynamic_stack 0
		.amdhsa_system_sgpr_private_segment_wavefront_offset 0
		.amdhsa_system_sgpr_workgroup_id_x 1
		.amdhsa_system_sgpr_workgroup_id_y 0
		.amdhsa_system_sgpr_workgroup_id_z 0
		.amdhsa_system_sgpr_workgroup_info 0
		.amdhsa_system_vgpr_workitem_id 0
		.amdhsa_next_free_vgpr 18
		.amdhsa_next_free_sgpr 44
		.amdhsa_reserve_vcc 1
		.amdhsa_reserve_flat_scratch 0
		.amdhsa_float_round_mode_32 0
		.amdhsa_float_round_mode_16_64 0
		.amdhsa_float_denorm_mode_32 3
		.amdhsa_float_denorm_mode_16_64 3
		.amdhsa_dx10_clamp 1
		.amdhsa_ieee_mode 1
		.amdhsa_fp16_overflow 0
		.amdhsa_exception_fp_ieee_invalid_op 0
		.amdhsa_exception_fp_denorm_src 0
		.amdhsa_exception_fp_ieee_div_zero 0
		.amdhsa_exception_fp_ieee_overflow 0
		.amdhsa_exception_fp_ieee_underflow 0
		.amdhsa_exception_fp_ieee_inexact 0
		.amdhsa_exception_int_div_zero 0
	.end_amdhsa_kernel
	.section	.text._ZN2at6native32elementwise_kernel_manual_unrollILi128ELi4EZNS0_15gpu_kernel_implIZZZNS0_12_GLOBAL__N_131spherical_bessel_j0_kernel_cudaERNS_18TensorIteratorBaseEENKUlvE_clEvENKUlvE0_clEvEUlfE_EEvS5_RKT_EUlibE_EEviT1_,"axG",@progbits,_ZN2at6native32elementwise_kernel_manual_unrollILi128ELi4EZNS0_15gpu_kernel_implIZZZNS0_12_GLOBAL__N_131spherical_bessel_j0_kernel_cudaERNS_18TensorIteratorBaseEENKUlvE_clEvENKUlvE0_clEvEUlfE_EEvS5_RKT_EUlibE_EEviT1_,comdat
.Lfunc_end14:
	.size	_ZN2at6native32elementwise_kernel_manual_unrollILi128ELi4EZNS0_15gpu_kernel_implIZZZNS0_12_GLOBAL__N_131spherical_bessel_j0_kernel_cudaERNS_18TensorIteratorBaseEENKUlvE_clEvENKUlvE0_clEvEUlfE_EEvS5_RKT_EUlibE_EEviT1_, .Lfunc_end14-_ZN2at6native32elementwise_kernel_manual_unrollILi128ELi4EZNS0_15gpu_kernel_implIZZZNS0_12_GLOBAL__N_131spherical_bessel_j0_kernel_cudaERNS_18TensorIteratorBaseEENKUlvE_clEvENKUlvE0_clEvEUlfE_EEvS5_RKT_EUlibE_EEviT1_
                                        ; -- End function
	.set _ZN2at6native32elementwise_kernel_manual_unrollILi128ELi4EZNS0_15gpu_kernel_implIZZZNS0_12_GLOBAL__N_131spherical_bessel_j0_kernel_cudaERNS_18TensorIteratorBaseEENKUlvE_clEvENKUlvE0_clEvEUlfE_EEvS5_RKT_EUlibE_EEviT1_.num_vgpr, 18
	.set _ZN2at6native32elementwise_kernel_manual_unrollILi128ELi4EZNS0_15gpu_kernel_implIZZZNS0_12_GLOBAL__N_131spherical_bessel_j0_kernel_cudaERNS_18TensorIteratorBaseEENKUlvE_clEvENKUlvE0_clEvEUlfE_EEvS5_RKT_EUlibE_EEviT1_.num_agpr, 0
	.set _ZN2at6native32elementwise_kernel_manual_unrollILi128ELi4EZNS0_15gpu_kernel_implIZZZNS0_12_GLOBAL__N_131spherical_bessel_j0_kernel_cudaERNS_18TensorIteratorBaseEENKUlvE_clEvENKUlvE0_clEvEUlfE_EEvS5_RKT_EUlibE_EEviT1_.numbered_sgpr, 44
	.set _ZN2at6native32elementwise_kernel_manual_unrollILi128ELi4EZNS0_15gpu_kernel_implIZZZNS0_12_GLOBAL__N_131spherical_bessel_j0_kernel_cudaERNS_18TensorIteratorBaseEENKUlvE_clEvENKUlvE0_clEvEUlfE_EEvS5_RKT_EUlibE_EEviT1_.num_named_barrier, 0
	.set _ZN2at6native32elementwise_kernel_manual_unrollILi128ELi4EZNS0_15gpu_kernel_implIZZZNS0_12_GLOBAL__N_131spherical_bessel_j0_kernel_cudaERNS_18TensorIteratorBaseEENKUlvE_clEvENKUlvE0_clEvEUlfE_EEvS5_RKT_EUlibE_EEviT1_.private_seg_size, 0
	.set _ZN2at6native32elementwise_kernel_manual_unrollILi128ELi4EZNS0_15gpu_kernel_implIZZZNS0_12_GLOBAL__N_131spherical_bessel_j0_kernel_cudaERNS_18TensorIteratorBaseEENKUlvE_clEvENKUlvE0_clEvEUlfE_EEvS5_RKT_EUlibE_EEviT1_.uses_vcc, 1
	.set _ZN2at6native32elementwise_kernel_manual_unrollILi128ELi4EZNS0_15gpu_kernel_implIZZZNS0_12_GLOBAL__N_131spherical_bessel_j0_kernel_cudaERNS_18TensorIteratorBaseEENKUlvE_clEvENKUlvE0_clEvEUlfE_EEvS5_RKT_EUlibE_EEviT1_.uses_flat_scratch, 0
	.set _ZN2at6native32elementwise_kernel_manual_unrollILi128ELi4EZNS0_15gpu_kernel_implIZZZNS0_12_GLOBAL__N_131spherical_bessel_j0_kernel_cudaERNS_18TensorIteratorBaseEENKUlvE_clEvENKUlvE0_clEvEUlfE_EEvS5_RKT_EUlibE_EEviT1_.has_dyn_sized_stack, 0
	.set _ZN2at6native32elementwise_kernel_manual_unrollILi128ELi4EZNS0_15gpu_kernel_implIZZZNS0_12_GLOBAL__N_131spherical_bessel_j0_kernel_cudaERNS_18TensorIteratorBaseEENKUlvE_clEvENKUlvE0_clEvEUlfE_EEvS5_RKT_EUlibE_EEviT1_.has_recursion, 0
	.set _ZN2at6native32elementwise_kernel_manual_unrollILi128ELi4EZNS0_15gpu_kernel_implIZZZNS0_12_GLOBAL__N_131spherical_bessel_j0_kernel_cudaERNS_18TensorIteratorBaseEENKUlvE_clEvENKUlvE0_clEvEUlfE_EEvS5_RKT_EUlibE_EEviT1_.has_indirect_call, 0
	.section	.AMDGPU.csdata,"",@progbits
; Kernel info:
; codeLenInByte = 40636
; TotalNumSgprs: 48
; NumVgprs: 18
; ScratchSize: 0
; MemoryBound: 1
; FloatMode: 240
; IeeeMode: 1
; LDSByteSize: 0 bytes/workgroup (compile time only)
; SGPRBlocks: 5
; VGPRBlocks: 4
; NumSGPRsForWavesPerEU: 48
; NumVGPRsForWavesPerEU: 18
; Occupancy: 10
; WaveLimiterHint : 0
; COMPUTE_PGM_RSRC2:SCRATCH_EN: 0
; COMPUTE_PGM_RSRC2:USER_SGPR: 6
; COMPUTE_PGM_RSRC2:TRAP_HANDLER: 0
; COMPUTE_PGM_RSRC2:TGID_X_EN: 1
; COMPUTE_PGM_RSRC2:TGID_Y_EN: 0
; COMPUTE_PGM_RSRC2:TGID_Z_EN: 0
; COMPUTE_PGM_RSRC2:TIDIG_COMP_CNT: 0
	.section	.text._ZN2at6native32elementwise_kernel_manual_unrollILi128ELi4EZNS0_15gpu_kernel_implIZZZNS0_12_GLOBAL__N_131spherical_bessel_j0_kernel_cudaERNS_18TensorIteratorBaseEENKUlvE_clEvENKUlvE0_clEvEUlfE_EEvS5_RKT_EUlibE0_EEviT1_,"axG",@progbits,_ZN2at6native32elementwise_kernel_manual_unrollILi128ELi4EZNS0_15gpu_kernel_implIZZZNS0_12_GLOBAL__N_131spherical_bessel_j0_kernel_cudaERNS_18TensorIteratorBaseEENKUlvE_clEvENKUlvE0_clEvEUlfE_EEvS5_RKT_EUlibE0_EEviT1_,comdat
	.globl	_ZN2at6native32elementwise_kernel_manual_unrollILi128ELi4EZNS0_15gpu_kernel_implIZZZNS0_12_GLOBAL__N_131spherical_bessel_j0_kernel_cudaERNS_18TensorIteratorBaseEENKUlvE_clEvENKUlvE0_clEvEUlfE_EEvS5_RKT_EUlibE0_EEviT1_ ; -- Begin function _ZN2at6native32elementwise_kernel_manual_unrollILi128ELi4EZNS0_15gpu_kernel_implIZZZNS0_12_GLOBAL__N_131spherical_bessel_j0_kernel_cudaERNS_18TensorIteratorBaseEENKUlvE_clEvENKUlvE0_clEvEUlfE_EEvS5_RKT_EUlibE0_EEviT1_
	.p2align	8
	.type	_ZN2at6native32elementwise_kernel_manual_unrollILi128ELi4EZNS0_15gpu_kernel_implIZZZNS0_12_GLOBAL__N_131spherical_bessel_j0_kernel_cudaERNS_18TensorIteratorBaseEENKUlvE_clEvENKUlvE0_clEvEUlfE_EEvS5_RKT_EUlibE0_EEviT1_,@function
_ZN2at6native32elementwise_kernel_manual_unrollILi128ELi4EZNS0_15gpu_kernel_implIZZZNS0_12_GLOBAL__N_131spherical_bessel_j0_kernel_cudaERNS_18TensorIteratorBaseEENKUlvE_clEvENKUlvE0_clEvEUlfE_EEvS5_RKT_EUlibE0_EEviT1_: ; @_ZN2at6native32elementwise_kernel_manual_unrollILi128ELi4EZNS0_15gpu_kernel_implIZZZNS0_12_GLOBAL__N_131spherical_bessel_j0_kernel_cudaERNS_18TensorIteratorBaseEENKUlvE_clEvENKUlvE0_clEvEUlfE_EEvS5_RKT_EUlibE0_EEviT1_
; %bb.0:
	s_load_dword s70, s[4:5], 0x0
	s_load_dword s33, s[4:5], 0x8
	s_add_u32 s34, s4, 8
	s_addc_u32 s35, s5, 0
	v_lshl_or_b32 v8, s6, 9, v0
	v_or_b32_e32 v15, 0x180, v8
	s_waitcnt lgkmcnt(0)
	s_add_i32 s72, s33, -1
	s_cmp_gt_u32 s72, 1
	v_cmp_le_i32_e32 vcc, s70, v15
	s_cselect_b64 s[42:43], -1, 0
	s_mov_b64 s[40:41], 0
	s_mov_b64 s[6:7], 0
	s_and_saveexec_b64 s[0:1], vcc
	s_xor_b64 s[44:45], exec, s[0:1]
	s_cbranch_execz .LBB15_1126
; %bb.1:
	v_mov_b32_e32 v0, 0
	global_load_ushort v0, v0, s[34:35] offset:345
	s_load_dwordx4 s[36:39], s[34:35], 0x4
	s_load_dwordx2 s[46:47], s[34:35], 0x14
	s_load_dwordx4 s[28:31], s[34:35], 0xc4
	s_load_dwordx4 s[24:27], s[34:35], 0x148
	s_cmp_lg_u32 s33, 0
	s_cselect_b64 s[52:53], -1, 0
	s_add_u32 s50, s34, 0xc4
	s_addc_u32 s51, s35, 0
	s_min_u32 s75, s72, 15
	s_cmp_gt_u32 s33, 1
	s_cselect_b64 s[48:49], -1, 0
	v_cmp_gt_i32_e32 vcc, s70, v8
	s_mov_b64 s[2:3], -1
	s_mov_b64 s[62:63], 0
	s_mov_b64 s[56:57], 0
	s_mov_b64 s[54:55], 0
	s_waitcnt vmcnt(0)
	v_readfirstlane_b32 s73, v0
	s_and_b32 s0, 0xffff, s73
	s_lshr_b32 s74, s0, 8
	s_and_saveexec_b64 s[58:59], vcc
	s_cbranch_execz .LBB15_276
; %bb.2:
	s_andn2_b64 vcc, exec, s[42:43]
	s_cbranch_vccnz .LBB15_7
; %bb.3:
	s_andn2_b64 vcc, exec, s[52:53]
	s_cbranch_vccnz .LBB15_8
; %bb.4:
	s_add_i32 s57, s75, 1
	s_cmp_eq_u32 s72, 2
	s_cbranch_scc1 .LBB15_9
; %bb.5:
	s_and_b32 s56, s57, 28
	v_mov_b32_e32 v2, 0
	s_mov_b32 s60, 0
	s_mov_b64 s[6:7], s[34:35]
	s_mov_b64 s[54:55], s[50:51]
	v_mov_b32_e32 v0, 0
	v_mov_b32_e32 v1, v8
.LBB15_6:                               ; =>This Inner Loop Header: Depth=1
	s_load_dwordx8 s[16:23], s[6:7], 0x4
	s_load_dwordx4 s[0:3], s[6:7], 0x24
	s_load_dwordx8 s[8:15], s[54:55], 0x0
	s_add_u32 s6, s6, 48
	s_addc_u32 s7, s7, 0
	s_waitcnt lgkmcnt(0)
	v_mul_hi_u32 v3, s17, v1
	s_add_i32 s60, s60, 4
	s_add_u32 s54, s54, 32
	s_addc_u32 s55, s55, 0
	v_add_u32_e32 v3, v1, v3
	v_lshrrev_b32_e32 v3, s18, v3
	v_mul_lo_u32 v4, v3, s16
	v_mul_hi_u32 v5, s20, v3
	s_cmp_lg_u32 s56, s60
	v_sub_u32_e32 v1, v1, v4
	v_add_u32_e32 v4, v3, v5
	v_mul_lo_u32 v5, v1, s8
	v_mul_lo_u32 v6, v1, s9
	v_lshrrev_b32_e32 v1, s21, v4
	v_mul_lo_u32 v4, v1, s19
	v_mul_hi_u32 v7, s23, v1
	v_sub_u32_e32 v3, v3, v4
	v_add_u32_e32 v4, v1, v7
	v_lshrrev_b32_e32 v4, s0, v4
	v_mul_hi_u32 v9, s2, v4
	v_mul_lo_u32 v10, v4, s22
	v_mul_lo_u32 v7, v3, s10
	;; [unrolled: 1-line block ×3, first 2 shown]
	v_sub_u32_e32 v10, v1, v10
	v_add_u32_e32 v1, v4, v9
	v_lshrrev_b32_e32 v1, s3, v1
	v_mul_lo_u32 v9, v1, s1
	v_mul_lo_u32 v11, v10, s12
	;; [unrolled: 1-line block ×3, first 2 shown]
	v_add3_u32 v0, v5, v0, v7
	v_sub_u32_e32 v4, v4, v9
	v_mul_lo_u32 v9, v4, s14
	v_mul_lo_u32 v4, v4, s15
	v_add3_u32 v2, v6, v2, v3
	v_add3_u32 v0, v11, v0, v9
	;; [unrolled: 1-line block ×3, first 2 shown]
	s_cbranch_scc1 .LBB15_6
	s_branch .LBB15_10
.LBB15_7:
                                        ; implicit-def: $vgpr0
                                        ; implicit-def: $vgpr2
	s_branch .LBB15_14
.LBB15_8:
	v_mov_b32_e32 v0, 0
	v_mov_b32_e32 v2, 0
	s_branch .LBB15_13
.LBB15_9:
	s_mov_b32 s56, 0
	v_mov_b32_e32 v0, 0
	v_mov_b32_e32 v2, 0
	;; [unrolled: 1-line block ×3, first 2 shown]
.LBB15_10:
	s_and_b32 s6, s57, 3
	s_cmp_eq_u32 s6, 0
	s_cbranch_scc1 .LBB15_13
; %bb.11:
	s_lshl_b32 s0, s56, 3
	s_add_u32 s0, s34, s0
	s_addc_u32 s1, s35, 0
	s_add_u32 s0, s0, 0xc4
	s_addc_u32 s1, s1, 0
	s_mul_i32 s2, s56, 12
	s_add_u32 s2, s34, s2
	s_addc_u32 s3, s35, 0
.LBB15_12:                              ; =>This Inner Loop Header: Depth=1
	s_load_dwordx2 s[8:9], s[2:3], 0x4
	s_load_dword s7, s[2:3], 0xc
	s_load_dwordx2 s[10:11], s[0:1], 0x0
	s_add_u32 s2, s2, 12
	s_addc_u32 s3, s3, 0
	s_waitcnt lgkmcnt(0)
	v_mul_hi_u32 v3, s9, v1
	s_add_u32 s0, s0, 8
	s_addc_u32 s1, s1, 0
	s_add_i32 s6, s6, -1
	v_add_u32_e32 v3, v1, v3
	v_lshrrev_b32_e32 v4, s7, v3
	v_mul_lo_u32 v3, v4, s8
	s_cmp_lg_u32 s6, 0
	v_sub_u32_e32 v3, v1, v3
	v_mad_u64_u32 v[0:1], s[8:9], v3, s10, v[0:1]
	v_mad_u64_u32 v[2:3], s[8:9], v3, s11, v[2:3]
	v_mov_b32_e32 v1, v4
	s_cbranch_scc1 .LBB15_12
.LBB15_13:
	s_cbranch_execnz .LBB15_16
.LBB15_14:
	s_waitcnt lgkmcnt(0)
	v_mul_hi_u32 v0, s37, v8
	s_andn2_b64 vcc, exec, s[48:49]
	v_add_u32_e32 v0, v8, v0
	v_lshrrev_b32_e32 v1, s38, v0
	v_mul_lo_u32 v0, v1, s36
	v_sub_u32_e32 v2, v8, v0
	v_mul_lo_u32 v0, v2, s28
	v_mul_lo_u32 v2, v2, s29
	s_cbranch_vccnz .LBB15_16
; %bb.15:
	v_mul_hi_u32 v3, s46, v1
	v_add_u32_e32 v3, v1, v3
	v_lshrrev_b32_e32 v3, s47, v3
	v_mul_lo_u32 v3, v3, s39
	v_sub_u32_e32 v3, v1, v3
	v_mad_u64_u32 v[0:1], s[0:1], v3, s30, v[0:1]
	v_mad_u64_u32 v[2:3], s[0:1], v3, s31, v[2:3]
.LBB15_16:
	s_waitcnt lgkmcnt(0)
	v_mov_b32_e32 v3, s27
	s_and_b32 s10, 0xffff, s74
	v_add_co_u32_e32 v1, vcc, s26, v2
	s_cmp_lt_i32 s10, 11
	v_addc_co_u32_e32 v2, vcc, 0, v3, vcc
	s_cbranch_scc1 .LBB15_23
; %bb.17:
	s_cmp_gt_i32 s10, 25
	s_cbranch_scc0 .LBB15_42
; %bb.18:
	s_cmp_gt_i32 s10, 28
	s_cbranch_scc0 .LBB15_45
; %bb.19:
	s_cmp_gt_i32 s10, 43
	s_cbranch_scc0 .LBB15_47
; %bb.20:
	s_cmp_gt_i32 s10, 45
	s_cbranch_scc0 .LBB15_49
; %bb.21:
	s_cmp_eq_u32 s10, 46
	s_mov_b64 s[2:3], 0
	s_cbranch_scc0 .LBB15_51
; %bb.22:
	global_load_dword v3, v[1:2], off
	s_mov_b64 s[0:1], -1
	s_mov_b64 s[8:9], 0
	s_waitcnt vmcnt(0)
	v_lshlrev_b32_e32 v3, 16, v3
	s_branch .LBB15_53
.LBB15_23:
	s_mov_b64 s[8:9], 0
                                        ; implicit-def: $vgpr3
	s_mov_b64 s[0:1], 0
	s_cbranch_execnz .LBB15_226
.LBB15_24:
	s_andn2_b64 vcc, exec, s[0:1]
	s_cbranch_vccnz .LBB15_273
.LBB15_25:
	s_mov_b32 s0, 0x7f800000
	s_waitcnt vmcnt(0)
	v_cmp_neq_f32_e64 s[0:1], |v3|, s0
	v_mov_b32_e32 v1, 0
	s_and_saveexec_b64 s[10:11], s[0:1]
	s_cbranch_execz .LBB15_35
; %bb.26:
	v_cmp_nlt_f32_e64 s[0:1], |v3|, 0.5
                                        ; implicit-def: $vgpr1
	s_and_saveexec_b64 s[2:3], s[0:1]
	s_xor_b64 s[12:13], exec, s[2:3]
	s_cbranch_execz .LBB15_32
; %bb.27:
	s_brev_b32 s0, 18
	v_and_b32_e32 v1, 0x7fffffff, v3
	v_cmp_nlt_f32_e64 s[0:1], |v3|, s0
                                        ; implicit-def: $vgpr2
                                        ; implicit-def: $vgpr4
	s_and_saveexec_b64 s[2:3], s[0:1]
	s_xor_b64 s[14:15], exec, s[2:3]
	s_cbranch_execz .LBB15_29
; %bb.28:
	v_and_b32_e32 v2, 0x7fffff, v1
	v_or_b32_e32 v2, 0x800000, v2
	s_mov_b32 s0, 0xfe5163ab
	v_mad_u64_u32 v[4:5], s[0:1], v2, s0, 0
	v_mov_b32_e32 v6, 0
	s_mov_b32 s0, 0x3c439041
	v_mad_u64_u32 v[9:10], s[0:1], v2, s0, v[5:6]
	s_mov_b32 s0, 0xdb629599
	v_not_b32_e32 v7, 63
	v_mov_b32_e32 v5, v10
	v_mad_u64_u32 v[10:11], s[0:1], v2, s0, v[5:6]
	s_mov_b32 s0, 0xf534ddc0
	v_not_b32_e32 v15, 31
	v_mov_b32_e32 v5, v11
	v_mad_u64_u32 v[11:12], s[0:1], v2, s0, v[5:6]
	v_lshrrev_b32_e32 v5, 23, v1
	v_add_u32_e32 v14, 0xffffff88, v5
	v_mov_b32_e32 v5, v12
	s_mov_b32 s0, 0xfc2757d1
	v_mad_u64_u32 v[12:13], s[0:1], v2, s0, v[5:6]
	v_cmp_lt_u32_e32 vcc, 63, v14
	v_cndmask_b32_e32 v5, 0, v7, vcc
	v_add_u32_e32 v7, v5, v14
	v_mov_b32_e32 v5, v13
	s_mov_b32 s0, 0x4e441529
	v_mad_u64_u32 v[13:14], s[0:1], v2, s0, v[5:6]
	v_cmp_lt_u32_e64 s[0:1], 31, v7
	v_cndmask_b32_e64 v5, 0, v15, s[0:1]
	v_add_u32_e32 v7, v5, v7
	v_mov_b32_e32 v5, v14
	s_mov_b32 s2, 0xa2f9836e
	v_mad_u64_u32 v[5:6], s[2:3], v2, s2, v[5:6]
	v_cmp_lt_u32_e64 s[2:3], 31, v7
	v_cndmask_b32_e64 v2, 0, v15, s[2:3]
	v_add_u32_e32 v2, v2, v7
	v_cndmask_b32_e32 v7, v13, v11, vcc
	v_cndmask_b32_e32 v5, v5, v12, vcc
	;; [unrolled: 1-line block ×3, first 2 shown]
	v_cndmask_b32_e64 v14, v5, v7, s[0:1]
	v_cndmask_b32_e64 v5, v6, v5, s[0:1]
	v_cndmask_b32_e32 v6, v12, v10, vcc
	v_cndmask_b32_e64 v7, v7, v6, s[0:1]
	v_cndmask_b32_e64 v5, v5, v14, s[2:3]
	;; [unrolled: 1-line block ×3, first 2 shown]
	v_sub_u32_e32 v13, 32, v2
	v_alignbit_b32 v14, v5, v12, v13
	v_cmp_eq_u32_e64 s[6:7], 0, v2
	v_cndmask_b32_e64 v2, v14, v5, s[6:7]
	v_cndmask_b32_e32 v5, v11, v9, vcc
	v_cndmask_b32_e64 v6, v6, v5, s[0:1]
	v_cndmask_b32_e64 v7, v7, v6, s[2:3]
	v_alignbit_b32 v9, v12, v7, v13
	v_cndmask_b32_e32 v4, v10, v4, vcc
	v_cndmask_b32_e64 v9, v9, v12, s[6:7]
	v_bfe_u32 v14, v2, 29, 1
	v_cndmask_b32_e64 v4, v5, v4, s[0:1]
	v_alignbit_b32 v11, v2, v9, 30
	v_sub_u32_e32 v15, 0, v14
	v_cndmask_b32_e64 v4, v6, v4, s[2:3]
	v_xor_b32_e32 v11, v11, v15
	v_alignbit_b32 v5, v7, v4, v13
	v_cndmask_b32_e64 v5, v5, v7, s[6:7]
	v_ffbh_u32_e32 v7, v11
	v_alignbit_b32 v6, v9, v5, 30
	v_min_u32_e32 v7, 32, v7
	v_alignbit_b32 v4, v5, v4, 30
	v_xor_b32_e32 v6, v6, v15
	v_sub_u32_e32 v9, 31, v7
	v_xor_b32_e32 v4, v4, v15
	v_alignbit_b32 v10, v11, v6, v9
	v_alignbit_b32 v4, v6, v4, v9
	;; [unrolled: 1-line block ×3, first 2 shown]
	v_ffbh_u32_e32 v6, v5
	v_min_u32_e32 v6, 32, v6
	v_lshrrev_b32_e32 v12, 29, v2
	v_not_b32_e32 v9, v6
	v_alignbit_b32 v4, v5, v4, v9
	v_lshlrev_b32_e32 v5, 31, v12
	v_or_b32_e32 v9, 0x33000000, v5
	v_add_lshl_u32 v6, v6, v7, 23
	v_lshrrev_b32_e32 v4, 9, v4
	v_sub_u32_e32 v6, v9, v6
	v_or_b32_e32 v5, 0.5, v5
	v_lshlrev_b32_e32 v7, 23, v7
	v_or_b32_e32 v4, v6, v4
	v_lshrrev_b32_e32 v6, 9, v10
	v_sub_u32_e32 v5, v5, v7
	v_or_b32_e32 v5, v6, v5
	s_mov_b32 s0, 0x3fc90fda
	v_mul_f32_e32 v6, 0x3fc90fda, v5
	v_fma_f32 v7, v5, s0, -v6
	v_fmac_f32_e32 v7, 0x33a22168, v5
	v_fmac_f32_e32 v7, 0x3fc90fda, v4
	v_lshrrev_b32_e32 v2, 30, v2
	v_add_f32_e32 v4, v6, v7
	v_add_u32_e32 v2, v14, v2
.LBB15_29:
	s_andn2_saveexec_b64 s[0:1], s[14:15]
	s_cbranch_execz .LBB15_31
; %bb.30:
	s_mov_b32 s2, 0x3f22f983
	v_mul_f32_e64 v2, |v3|, s2
	v_rndne_f32_e32 v5, v2
	s_mov_b32 s2, 0xbfc90fda
	v_cvt_i32_f32_e32 v2, v5
	v_fma_f32 v4, v5, s2, |v3|
	v_fmac_f32_e32 v4, 0xb3a22168, v5
	v_fmac_f32_e32 v4, 0xa7c234c4, v5
.LBB15_31:
	s_or_b64 exec, exec, s[0:1]
	v_mul_f32_e32 v5, v4, v4
	v_mov_b32_e32 v6, 0x3c0881c4
	v_fmac_f32_e32 v6, 0xb94c1982, v5
	v_mov_b32_e32 v7, 0xbe2aaa9d
	v_fmac_f32_e32 v7, v5, v6
	v_mul_f32_e32 v6, v5, v7
	v_fmac_f32_e32 v4, v4, v6
	v_mov_b32_e32 v6, 0xbab64f3b
	v_fmac_f32_e32 v6, 0x37d75334, v5
	v_mov_b32_e32 v7, 0x3d2aabf7
	;; [unrolled: 2-line block ×3, first 2 shown]
	v_fmac_f32_e32 v6, v5, v7
	v_fma_f32 v5, v5, v6, 1.0
	v_and_b32_e32 v6, 1, v2
	v_lshlrev_b32_e32 v2, 30, v2
	v_cmp_eq_u32_e32 vcc, 0, v6
	v_and_b32_e32 v2, 0x80000000, v2
	v_xor_b32_e32 v1, v1, v3
	v_cndmask_b32_e32 v4, v5, v4, vcc
	v_xor_b32_e32 v1, v1, v2
	s_movk_i32 s0, 0x1f8
	v_xor_b32_e32 v1, v1, v4
	v_mov_b32_e32 v2, 0x7fc00000
	v_cmp_class_f32_e64 vcc, v3, s0
	v_cndmask_b32_e32 v1, v2, v1, vcc
	v_div_scale_f32 v2, s[0:1], v3, v3, v1
	v_div_scale_f32 v4, vcc, v1, v3, v1
	v_rcp_f32_e32 v5, v2
	v_fma_f32 v6, -v2, v5, 1.0
	v_fmac_f32_e32 v5, v6, v5
	v_mul_f32_e32 v6, v4, v5
	v_fma_f32 v7, -v2, v6, v4
	v_fmac_f32_e32 v6, v7, v5
	v_fma_f32 v2, -v2, v6, v4
	v_div_fmas_f32 v2, v2, v5, v6
	v_div_fixup_f32 v1, v2, v3, v1
                                        ; implicit-def: $vgpr3
.LBB15_32:
	s_andn2_saveexec_b64 s[0:1], s[12:13]
	s_cbranch_execz .LBB15_34
; %bb.33:
	v_mul_f32_e32 v1, v3, v3
	v_mov_b32_e32 v2, 0xb2d7322b
	v_fmac_f32_e32 v2, 0x2f309231, v1
	v_mov_b32_e32 v3, 0x3638ef1d
	v_fmac_f32_e32 v3, v1, v2
	;; [unrolled: 2-line block ×5, first 2 shown]
	v_fma_f32 v1, v1, v2, 1.0
.LBB15_34:
	s_or_b64 exec, exec, s[0:1]
.LBB15_35:
	s_or_b64 exec, exec, s[10:11]
	v_mov_b32_e32 v2, s25
	s_and_b32 s12, s73, 0xff
	v_add_co_u32_e32 v3, vcc, s24, v0
	s_cmp_lt_i32 s12, 11
	v_addc_co_u32_e32 v4, vcc, 0, v2, vcc
	s_cbranch_scc1 .LBB15_43
; %bb.36:
	s_and_b32 s13, 0xffff, s12
	s_cmp_gt_i32 s13, 25
	s_cbranch_scc0 .LBB15_46
; %bb.37:
	s_cmp_gt_i32 s13, 28
	s_cbranch_scc0 .LBB15_48
; %bb.38:
	;; [unrolled: 3-line block ×4, first 2 shown]
	s_mov_b64 s[6:7], 0
	s_mov_b64 s[0:1], -1
	s_cmp_eq_u32 s13, 46
	s_mov_b64 s[2:3], 0
	s_cbranch_scc0 .LBB15_57
; %bb.41:
	v_bfe_u32 v0, v1, 16, 1
	s_movk_i32 s0, 0x7fff
	v_add3_u32 v0, v1, v0, s0
	v_cmp_o_f32_e32 vcc, v1, v1
	v_mov_b32_e32 v2, 0x7fc0
	v_cndmask_b32_sdwa v0, v2, v0, vcc dst_sel:DWORD dst_unused:UNUSED_PAD src0_sel:DWORD src1_sel:WORD_1
	global_store_dword v[3:4], v0, off
	s_mov_b64 s[2:3], -1
	s_mov_b64 s[0:1], 0
	s_branch .LBB15_57
.LBB15_42:
	s_mov_b64 s[8:9], 0
	s_mov_b64 s[0:1], 0
                                        ; implicit-def: $vgpr3
	s_cbranch_execnz .LBB15_191
	s_branch .LBB15_225
.LBB15_43:
	s_mov_b64 s[0:1], 0
	s_mov_b64 s[2:3], 0
	s_cbranch_execnz .LBB15_126
.LBB15_44:
	s_andn2_b64 vcc, exec, s[2:3]
	s_cbranch_vccnz .LBB15_274
	s_branch .LBB15_164
.LBB15_45:
	s_mov_b64 s[2:3], -1
	s_mov_b64 s[8:9], 0
	s_mov_b64 s[0:1], 0
                                        ; implicit-def: $vgpr3
	s_branch .LBB15_172
.LBB15_46:
	s_mov_b64 s[6:7], -1
	s_mov_b64 s[0:1], 0
	s_mov_b64 s[2:3], 0
	s_branch .LBB15_84
.LBB15_47:
	s_mov_b64 s[2:3], -1
	s_mov_b64 s[8:9], 0
	s_mov_b64 s[0:1], 0
                                        ; implicit-def: $vgpr3
	s_branch .LBB15_167
.LBB15_48:
	s_mov_b64 s[6:7], -1
	s_mov_b64 s[0:1], 0
	s_mov_b64 s[2:3], 0
	s_branch .LBB15_67
.LBB15_49:
	s_mov_b64 s[2:3], -1
	s_mov_b64 s[8:9], 0
	s_branch .LBB15_52
.LBB15_50:
	s_mov_b64 s[6:7], -1
	s_mov_b64 s[0:1], 0
	s_mov_b64 s[2:3], 0
	s_branch .LBB15_63
.LBB15_51:
	s_mov_b64 s[8:9], -1
.LBB15_52:
	s_mov_b64 s[0:1], 0
                                        ; implicit-def: $vgpr3
.LBB15_53:
	s_and_b64 vcc, exec, s[2:3]
	s_cbranch_vccz .LBB15_166
; %bb.54:
	s_cmp_eq_u32 s10, 44
	s_cbranch_scc0 .LBB15_165
; %bb.55:
	global_load_ubyte v3, v[1:2], off
	s_movk_i32 s2, 0xff
	v_mov_b32_e32 v4, 0x7f800001
	v_mov_b32_e32 v5, 0x400000
	s_mov_b64 s[0:1], -1
	s_mov_b64 s[8:9], 0
	s_waitcnt vmcnt(0)
	v_lshlrev_b32_e32 v6, 23, v3
	v_cmp_ne_u32_e32 vcc, s2, v3
	v_cndmask_b32_e32 v4, v4, v6, vcc
	v_cmp_ne_u32_e32 vcc, 0, v3
	v_cndmask_b32_e32 v3, v5, v4, vcc
	s_branch .LBB15_166
.LBB15_56:
	s_mov_b64 s[6:7], -1
	s_mov_b64 s[0:1], 0
	s_mov_b64 s[2:3], 0
.LBB15_57:
	s_and_b64 vcc, exec, s[6:7]
	s_cbranch_vccz .LBB15_62
; %bb.58:
	s_cmp_eq_u32 s13, 44
	s_mov_b64 s[0:1], -1
	s_cbranch_scc0 .LBB15_62
; %bb.59:
	v_bfe_u32 v0, v1, 23, 8
	s_movk_i32 s0, 0xff
	v_cmp_ne_u32_e32 vcc, s0, v0
	v_mov_b32_e32 v2, 0xff
	s_and_saveexec_b64 s[2:3], vcc
; %bb.60:
	s_mov_b32 s0, 0x3fffff
	v_and_b32_e32 v5, 0x400000, v1
	v_and_or_b32 v0, v1, s0, v0
	v_cmp_ne_u32_e32 vcc, 0, v5
	v_cmp_ne_u32_e64 s[0:1], 0, v0
	s_and_b64 s[0:1], vcc, s[0:1]
	v_lshrrev_b32_e32 v2, 23, v1
	v_cndmask_b32_e64 v0, 0, 1, s[0:1]
	v_add_u32_e32 v2, v2, v0
; %bb.61:
	s_or_b64 exec, exec, s[2:3]
	s_mov_b64 s[2:3], -1
	s_mov_b64 s[0:1], 0
	global_store_byte v[3:4], v2, off
.LBB15_62:
	s_mov_b64 s[6:7], 0
.LBB15_63:
	s_and_b64 vcc, exec, s[6:7]
	s_cbranch_vccz .LBB15_66
; %bb.64:
	s_cmp_eq_u32 s13, 29
	s_mov_b64 s[0:1], -1
	s_cbranch_scc0 .LBB15_66
; %bb.65:
	v_trunc_f32_e32 v0, v1
	v_mul_f32_e32 v2, 0x2f800000, v0
	v_floor_f32_e32 v2, v2
	v_fmac_f32_e32 v0, 0xcf800000, v2
	v_cvt_u32_f32_e32 v6, v2
	v_cvt_u32_f32_e32 v5, v0
	s_mov_b64 s[2:3], -1
	s_mov_b64 s[0:1], 0
	s_mov_b64 s[6:7], 0
	global_store_dwordx2 v[3:4], v[5:6], off
	s_branch .LBB15_67
.LBB15_66:
	s_mov_b64 s[6:7], 0
.LBB15_67:
	s_and_b64 vcc, exec, s[6:7]
	s_cbranch_vccz .LBB15_83
; %bb.68:
	s_cmp_lt_i32 s13, 27
	s_mov_b64 s[2:3], -1
	s_cbranch_scc1 .LBB15_74
; %bb.69:
	v_cvt_u32_f32_e32 v0, v1
	s_cmp_gt_i32 s13, 27
	s_cbranch_scc0 .LBB15_71
; %bb.70:
	s_mov_b64 s[2:3], 0
	global_store_dword v[3:4], v0, off
.LBB15_71:
	s_andn2_b64 vcc, exec, s[2:3]
	s_cbranch_vccnz .LBB15_73
; %bb.72:
	global_store_short v[3:4], v0, off
.LBB15_73:
	s_mov_b64 s[2:3], 0
.LBB15_74:
	s_andn2_b64 vcc, exec, s[2:3]
	s_cbranch_vccnz .LBB15_82
; %bb.75:
	v_and_b32_e32 v0, 0x7fffffff, v1
	s_mov_b32 s2, 0x43800000
	v_cmp_gt_u32_e32 vcc, s2, v0
	v_mov_b32_e32 v2, 0x80
	s_and_saveexec_b64 s[2:3], vcc
	s_cbranch_execz .LBB15_81
; %bb.76:
	s_mov_b32 s6, 0x3bffffff
	v_cmp_lt_u32_e32 vcc, s6, v0
	s_mov_b64 s[6:7], 0
                                        ; implicit-def: $vgpr0
	s_and_saveexec_b64 s[10:11], vcc
	s_xor_b64 s[10:11], exec, s[10:11]
	s_cbranch_execz .LBB15_327
; %bb.77:
	v_bfe_u32 v0, v1, 20, 1
	s_mov_b32 s14, 0x487ffff
	v_add3_u32 v0, v1, v0, s14
	s_mov_b64 s[6:7], exec
	v_lshrrev_b32_e32 v0, 20, v0
	s_andn2_saveexec_b64 s[10:11], s[10:11]
	s_cbranch_execnz .LBB15_328
.LBB15_78:
	s_or_b64 exec, exec, s[10:11]
	v_mov_b32_e32 v2, 0
	s_and_saveexec_b64 s[10:11], s[6:7]
.LBB15_79:
	v_lshrrev_b32_e32 v2, 24, v1
	s_movk_i32 s6, 0x80
	v_and_or_b32 v2, v2, s6, v0
.LBB15_80:
	s_or_b64 exec, exec, s[10:11]
.LBB15_81:
	s_or_b64 exec, exec, s[2:3]
	global_store_byte v[3:4], v2, off
.LBB15_82:
	s_mov_b64 s[2:3], -1
.LBB15_83:
	s_mov_b64 s[6:7], 0
.LBB15_84:
	s_and_b64 vcc, exec, s[6:7]
	s_cbranch_vccz .LBB15_125
; %bb.85:
	s_cmp_gt_i32 s13, 22
	s_mov_b64 s[6:7], -1
	s_cbranch_scc0 .LBB15_117
; %bb.86:
	s_cmp_lt_i32 s13, 24
	s_mov_b64 s[2:3], -1
	s_cbranch_scc1 .LBB15_106
; %bb.87:
	s_cmp_gt_i32 s13, 24
	s_cbranch_scc0 .LBB15_95
; %bb.88:
	v_and_b32_e32 v0, 0x7fffffff, v1
	s_mov_b32 s2, 0x47800000
	v_cmp_gt_u32_e32 vcc, s2, v0
	v_mov_b32_e32 v2, 0x80
	s_and_saveexec_b64 s[2:3], vcc
	s_cbranch_execz .LBB15_94
; %bb.89:
	s_mov_b32 s6, 0x37ffffff
	v_cmp_lt_u32_e32 vcc, s6, v0
	s_mov_b64 s[6:7], 0
                                        ; implicit-def: $vgpr0
	s_and_saveexec_b64 s[10:11], vcc
	s_xor_b64 s[10:11], exec, s[10:11]
	s_cbranch_execz .LBB15_331
; %bb.90:
	v_bfe_u32 v0, v1, 21, 1
	s_mov_b32 s14, 0x88fffff
	v_add3_u32 v0, v1, v0, s14
	s_mov_b64 s[6:7], exec
	v_lshrrev_b32_e32 v0, 21, v0
	s_andn2_saveexec_b64 s[10:11], s[10:11]
	s_cbranch_execnz .LBB15_332
.LBB15_91:
	s_or_b64 exec, exec, s[10:11]
	v_mov_b32_e32 v2, 0
	s_and_saveexec_b64 s[10:11], s[6:7]
.LBB15_92:
	v_lshrrev_b32_e32 v2, 24, v1
	s_movk_i32 s6, 0x80
	v_and_or_b32 v2, v2, s6, v0
.LBB15_93:
	s_or_b64 exec, exec, s[10:11]
.LBB15_94:
	s_or_b64 exec, exec, s[2:3]
	s_mov_b64 s[2:3], 0
	global_store_byte v[3:4], v2, off
.LBB15_95:
	s_and_b64 vcc, exec, s[2:3]
	s_cbranch_vccz .LBB15_105
; %bb.96:
	v_and_b32_e32 v2, 0x7fffffff, v1
	s_mov_b32 s2, 0x43f00000
	v_cmp_gt_u32_e32 vcc, s2, v2
                                        ; implicit-def: $vgpr0
	s_and_saveexec_b64 s[2:3], vcc
	s_xor_b64 s[2:3], exec, s[2:3]
	s_cbranch_execz .LBB15_102
; %bb.97:
	s_mov_b32 s6, 0x3c7fffff
	v_cmp_lt_u32_e32 vcc, s6, v2
                                        ; implicit-def: $vgpr0
	s_and_saveexec_b64 s[6:7], vcc
	s_xor_b64 s[6:7], exec, s[6:7]
; %bb.98:
	v_bfe_u32 v0, v1, 20, 1
	s_mov_b32 s10, 0x407ffff
	v_add3_u32 v0, v1, v0, s10
	v_lshrrev_b32_e32 v2, 20, v0
	v_and_b32_e32 v0, 0xff00000, v0
	s_mov_b32 s10, 0x7f00000
	v_mov_b32_e32 v5, 0x7e
	v_cmp_ne_u32_e32 vcc, s10, v0
	v_cndmask_b32_e32 v0, v5, v2, vcc
; %bb.99:
	s_andn2_saveexec_b64 s[6:7], s[6:7]
; %bb.100:
	s_mov_b32 s10, 0x46800000
	v_add_f32_e64 v0, |v1|, s10
; %bb.101:
	s_or_b64 exec, exec, s[6:7]
                                        ; implicit-def: $vgpr2
.LBB15_102:
	s_andn2_saveexec_b64 s[2:3], s[2:3]
; %bb.103:
	s_mov_b32 s6, 0x7f800000
	v_mov_b32_e32 v0, 0x7e
	v_mov_b32_e32 v5, 0x7f
	v_cmp_lt_u32_e32 vcc, s6, v2
	v_cndmask_b32_e32 v0, v0, v5, vcc
; %bb.104:
	s_or_b64 exec, exec, s[2:3]
	v_lshrrev_b32_e32 v2, 24, v1
	s_movk_i32 s2, 0x80
	v_and_or_b32 v0, v2, s2, v0
	global_store_byte v[3:4], v0, off
.LBB15_105:
	s_mov_b64 s[2:3], 0
.LBB15_106:
	s_andn2_b64 vcc, exec, s[2:3]
	s_cbranch_vccnz .LBB15_116
; %bb.107:
	v_and_b32_e32 v2, 0x7fffffff, v1
	s_mov_b32 s2, 0x47800000
	v_cmp_gt_u32_e32 vcc, s2, v2
                                        ; implicit-def: $vgpr0
	s_and_saveexec_b64 s[2:3], vcc
	s_xor_b64 s[2:3], exec, s[2:3]
	s_cbranch_execz .LBB15_113
; %bb.108:
	s_mov_b32 s6, 0x387fffff
	v_cmp_lt_u32_e32 vcc, s6, v2
                                        ; implicit-def: $vgpr0
	s_and_saveexec_b64 s[6:7], vcc
	s_xor_b64 s[6:7], exec, s[6:7]
; %bb.109:
	v_bfe_u32 v0, v1, 21, 1
	s_mov_b32 s10, 0x80fffff
	v_add3_u32 v0, v1, v0, s10
	v_lshrrev_b32_e32 v0, 21, v0
; %bb.110:
	s_andn2_saveexec_b64 s[6:7], s[6:7]
; %bb.111:
	s_mov_b32 s10, 0x43000000
	v_add_f32_e64 v0, |v1|, s10
; %bb.112:
	s_or_b64 exec, exec, s[6:7]
                                        ; implicit-def: $vgpr2
.LBB15_113:
	s_andn2_saveexec_b64 s[2:3], s[2:3]
; %bb.114:
	s_mov_b32 s6, 0x7f800000
	v_mov_b32_e32 v0, 0x7c
	v_mov_b32_e32 v5, 0x7f
	v_cmp_lt_u32_e32 vcc, s6, v2
	v_cndmask_b32_e32 v0, v0, v5, vcc
; %bb.115:
	s_or_b64 exec, exec, s[2:3]
	v_lshrrev_b32_e32 v2, 24, v1
	s_movk_i32 s2, 0x80
	v_and_or_b32 v0, v2, s2, v0
	global_store_byte v[3:4], v0, off
.LBB15_116:
	s_mov_b64 s[6:7], 0
	s_mov_b64 s[2:3], -1
.LBB15_117:
	s_andn2_b64 vcc, exec, s[6:7]
	s_cbranch_vccnz .LBB15_125
; %bb.118:
	s_cmp_gt_i32 s13, 14
	s_mov_b64 s[6:7], -1
	s_cbranch_scc0 .LBB15_122
; %bb.119:
	s_cmp_eq_u32 s13, 15
	s_mov_b64 s[0:1], -1
	s_cbranch_scc0 .LBB15_121
; %bb.120:
	v_bfe_u32 v0, v1, 16, 1
	s_movk_i32 s0, 0x7fff
	v_add3_u32 v0, v1, v0, s0
	v_cmp_o_f32_e32 vcc, v1, v1
	v_mov_b32_e32 v2, 0x7fc0
	v_cndmask_b32_sdwa v0, v2, v0, vcc dst_sel:DWORD dst_unused:UNUSED_PAD src0_sel:DWORD src1_sel:WORD_1
	global_store_short v[3:4], v0, off
	s_mov_b64 s[2:3], -1
	s_mov_b64 s[0:1], 0
.LBB15_121:
	s_mov_b64 s[6:7], 0
.LBB15_122:
	s_and_b64 vcc, exec, s[6:7]
	s_cbranch_vccz .LBB15_125
; %bb.123:
	s_cmp_eq_u32 s13, 11
	s_mov_b64 s[0:1], -1
	s_cbranch_scc0 .LBB15_125
; %bb.124:
	v_cmp_neq_f32_e32 vcc, 0, v1
	v_cndmask_b32_e64 v0, 0, 1, vcc
	s_mov_b64 s[2:3], -1
	s_mov_b64 s[0:1], 0
	global_store_byte v[3:4], v0, off
.LBB15_125:
	s_branch .LBB15_44
.LBB15_126:
	s_and_b32 s6, 0xffff, s12
	s_cmp_lt_i32 s6, 5
	s_mov_b64 s[2:3], -1
	s_cbranch_scc1 .LBB15_147
; %bb.127:
	s_cmp_lt_i32 s6, 8
	s_cbranch_scc1 .LBB15_137
; %bb.128:
	s_cmp_lt_i32 s6, 9
	s_cbranch_scc1 .LBB15_134
; %bb.129:
	s_cmp_gt_i32 s6, 9
	s_cbranch_scc0 .LBB15_131
; %bb.130:
	v_cvt_f64_f32_e32 v[9:10], v1
	v_mov_b32_e32 v11, 0
	v_mov_b32_e32 v12, v11
	s_mov_b64 s[2:3], 0
	global_store_dwordx4 v[3:4], v[9:12], off
.LBB15_131:
	s_andn2_b64 vcc, exec, s[2:3]
	s_cbranch_vccnz .LBB15_133
; %bb.132:
	v_mov_b32_e32 v2, 0
	global_store_dwordx2 v[3:4], v[1:2], off
.LBB15_133:
	s_mov_b64 s[2:3], 0
.LBB15_134:
	s_andn2_b64 vcc, exec, s[2:3]
	s_cbranch_vccnz .LBB15_136
; %bb.135:
	v_cvt_f16_f32_e32 v0, v1
	global_store_dword v[3:4], v0, off
.LBB15_136:
	s_mov_b64 s[2:3], 0
.LBB15_137:
	s_andn2_b64 vcc, exec, s[2:3]
	s_cbranch_vccnz .LBB15_146
; %bb.138:
	s_cmp_lt_i32 s6, 6
	s_mov_b64 s[2:3], -1
	s_cbranch_scc1 .LBB15_144
; %bb.139:
	s_cmp_gt_i32 s6, 6
	s_cbranch_scc0 .LBB15_141
; %bb.140:
	v_cvt_f64_f32_e32 v[5:6], v1
	s_mov_b64 s[2:3], 0
	global_store_dwordx2 v[3:4], v[5:6], off
.LBB15_141:
	s_andn2_b64 vcc, exec, s[2:3]
	s_cbranch_vccnz .LBB15_143
; %bb.142:
	global_store_dword v[3:4], v1, off
.LBB15_143:
	s_mov_b64 s[2:3], 0
.LBB15_144:
	s_andn2_b64 vcc, exec, s[2:3]
	s_cbranch_vccnz .LBB15_146
; %bb.145:
	v_cvt_f16_f32_e32 v0, v1
	global_store_short v[3:4], v0, off
.LBB15_146:
	s_mov_b64 s[2:3], 0
.LBB15_147:
	s_andn2_b64 vcc, exec, s[2:3]
	s_cbranch_vccnz .LBB15_163
; %bb.148:
	s_cmp_lt_i32 s6, 2
	s_mov_b64 s[2:3], -1
	s_cbranch_scc1 .LBB15_158
; %bb.149:
	s_cmp_lt_i32 s6, 3
	s_cbranch_scc1 .LBB15_155
; %bb.150:
	s_cmp_gt_i32 s6, 3
	s_cbranch_scc0 .LBB15_152
; %bb.151:
	v_trunc_f32_e32 v0, v1
	s_mov_b32 s2, 0x2f800000
	v_mul_f32_e64 v2, |v0|, s2
	v_floor_f32_e32 v2, v2
	s_mov_b32 s2, 0xcf800000
	v_cvt_u32_f32_e32 v5, v2
	v_fma_f32 v2, v2, s2, |v0|
	v_cvt_u32_f32_e32 v2, v2
	v_ashrrev_i32_e32 v0, 31, v0
	v_xor_b32_e32 v6, v5, v0
	s_mov_b64 s[2:3], 0
	v_xor_b32_e32 v2, v2, v0
	v_sub_co_u32_e32 v5, vcc, v2, v0
	v_subb_co_u32_e32 v6, vcc, v6, v0, vcc
	global_store_dwordx2 v[3:4], v[5:6], off
.LBB15_152:
	s_andn2_b64 vcc, exec, s[2:3]
	s_cbranch_vccnz .LBB15_154
; %bb.153:
	v_cvt_i32_f32_e32 v0, v1
	global_store_dword v[3:4], v0, off
.LBB15_154:
	s_mov_b64 s[2:3], 0
.LBB15_155:
	s_andn2_b64 vcc, exec, s[2:3]
	s_cbranch_vccnz .LBB15_157
; %bb.156:
	v_cvt_i32_f32_e32 v0, v1
	global_store_short v[3:4], v0, off
.LBB15_157:
	s_mov_b64 s[2:3], 0
.LBB15_158:
	s_andn2_b64 vcc, exec, s[2:3]
	s_cbranch_vccnz .LBB15_163
; %bb.159:
	s_cmp_gt_i32 s6, 0
	s_mov_b64 s[2:3], -1
	s_cbranch_scc0 .LBB15_161
; %bb.160:
	v_cvt_i32_f32_e32 v0, v1
	s_mov_b64 s[2:3], 0
	global_store_byte v[3:4], v0, off
.LBB15_161:
	s_andn2_b64 vcc, exec, s[2:3]
	s_cbranch_vccnz .LBB15_163
; %bb.162:
	v_trunc_f32_e32 v0, v1
	s_mov_b32 s2, 0x2f800000
	v_mul_f32_e64 v1, |v0|, s2
	v_floor_f32_e32 v1, v1
	s_mov_b32 s2, 0xcf800000
	v_fma_f32 v1, v1, s2, |v0|
	v_cvt_u32_f32_e32 v1, v1
	v_ashrrev_i32_e32 v0, 31, v0
	v_xor_b32_e32 v1, v1, v0
	v_sub_u32_e32 v0, v1, v0
	global_store_byte v[3:4], v0, off
.LBB15_163:
.LBB15_164:
	v_add_u32_e32 v8, 0x80, v8
	s_mov_b64 s[2:3], -1
	s_branch .LBB15_275
.LBB15_165:
	s_mov_b64 s[8:9], -1
                                        ; implicit-def: $vgpr3
.LBB15_166:
	s_mov_b64 s[2:3], 0
.LBB15_167:
	s_and_b64 vcc, exec, s[2:3]
	s_cbranch_vccz .LBB15_171
; %bb.168:
	s_cmp_eq_u32 s10, 29
	s_cbranch_scc0 .LBB15_170
; %bb.169:
	global_load_dwordx2 v[3:4], v[1:2], off
	s_mov_b64 s[0:1], -1
	s_mov_b64 s[8:9], 0
	s_mov_b64 s[2:3], 0
	s_waitcnt vmcnt(0)
	v_ffbh_u32_e32 v5, v4
	v_min_u32_e32 v5, 32, v5
	v_lshlrev_b64 v[3:4], v5, v[3:4]
	v_min_u32_e32 v3, 1, v3
	v_or_b32_e32 v3, v4, v3
	v_cvt_f32_u32_e32 v3, v3
	v_sub_u32_e32 v4, 32, v5
	v_ldexp_f32 v3, v3, v4
	s_branch .LBB15_172
.LBB15_170:
	s_mov_b64 s[8:9], -1
                                        ; implicit-def: $vgpr3
.LBB15_171:
	s_mov_b64 s[2:3], 0
.LBB15_172:
	s_and_b64 vcc, exec, s[2:3]
	s_cbranch_vccz .LBB15_190
; %bb.173:
	s_cmp_lt_i32 s10, 27
	s_cbranch_scc1 .LBB15_176
; %bb.174:
	s_cmp_gt_i32 s10, 27
	s_cbranch_scc0 .LBB15_177
; %bb.175:
	global_load_dword v3, v[1:2], off
	s_mov_b64 s[0:1], 0
	s_waitcnt vmcnt(0)
	v_cvt_f32_u32_e32 v3, v3
	s_branch .LBB15_178
.LBB15_176:
	s_mov_b64 s[0:1], -1
                                        ; implicit-def: $vgpr3
	s_branch .LBB15_181
.LBB15_177:
	s_mov_b64 s[0:1], -1
                                        ; implicit-def: $vgpr3
.LBB15_178:
	s_andn2_b64 vcc, exec, s[0:1]
	s_cbranch_vccnz .LBB15_180
; %bb.179:
	global_load_ushort v3, v[1:2], off
	s_waitcnt vmcnt(0)
	v_cvt_f32_u32_e32 v3, v3
.LBB15_180:
	s_mov_b64 s[0:1], 0
.LBB15_181:
	s_andn2_b64 vcc, exec, s[0:1]
	s_cbranch_vccnz .LBB15_189
; %bb.182:
	global_load_ubyte v4, v[1:2], off
	s_movk_i32 s0, 0x7f
	s_waitcnt vmcnt(0)
	v_cmp_lt_i16_e32 vcc, s0, v4
	s_mov_b64 s[0:1], 0
	s_and_saveexec_b64 s[2:3], vcc
	s_xor_b64 s[2:3], exec, s[2:3]
	s_cbranch_execz .LBB15_202
; %bb.183:
	s_movk_i32 s0, 0x80
	v_cmp_eq_u16_e32 vcc, s0, v4
	s_mov_b64 s[0:1], -1
	s_and_saveexec_b64 s[6:7], vcc
; %bb.184:
	s_xor_b64 s[0:1], exec, -1
; %bb.185:
	s_or_b64 exec, exec, s[6:7]
	s_and_b64 s[0:1], s[0:1], exec
	s_or_saveexec_b64 s[2:3], s[2:3]
	v_mov_b32_e32 v3, 0x7f800001
	s_xor_b64 exec, exec, s[2:3]
	s_cbranch_execnz .LBB15_203
.LBB15_186:
	s_or_b64 exec, exec, s[2:3]
	s_and_saveexec_b64 s[2:3], s[0:1]
	s_cbranch_execz .LBB15_188
.LBB15_187:
	v_lshlrev_b32_e32 v3, 24, v4
	v_and_b32_e32 v4, 0xffff, v4
	v_and_b32_e32 v5, 7, v4
	v_ffbh_u32_e32 v7, v5
	v_min_u32_e32 v7, 32, v7
	v_subrev_u32_e32 v9, 28, v7
	v_bfe_u32 v6, v4, 3, 4
	v_lshlrev_b32_e32 v4, v9, v4
	v_sub_u32_e32 v7, 29, v7
	v_and_b32_e32 v4, 7, v4
	v_cmp_eq_u32_e32 vcc, 0, v6
	v_cndmask_b32_e32 v6, v6, v7, vcc
	v_cndmask_b32_e32 v4, v5, v4, vcc
	v_mov_b32_e32 v5, 0x3b800000
	v_lshlrev_b32_e32 v4, 20, v4
	v_and_b32_e32 v3, 0x80000000, v3
	v_lshl_add_u32 v5, v6, 23, v5
	v_or3_b32 v3, v3, v5, v4
.LBB15_188:
	s_or_b64 exec, exec, s[2:3]
.LBB15_189:
	s_mov_b64 s[0:1], -1
.LBB15_190:
	s_branch .LBB15_225
.LBB15_191:
	s_cmp_gt_i32 s10, 22
	s_cbranch_scc0 .LBB15_201
; %bb.192:
	s_cmp_lt_i32 s10, 24
	s_cbranch_scc1 .LBB15_204
; %bb.193:
	s_cmp_gt_i32 s10, 24
	s_cbranch_scc0 .LBB15_205
; %bb.194:
	global_load_ubyte v4, v[1:2], off
	s_movk_i32 s0, 0x7f
	s_waitcnt vmcnt(0)
	v_cmp_lt_i16_e32 vcc, s0, v4
	s_mov_b64 s[0:1], 0
	s_and_saveexec_b64 s[2:3], vcc
	s_xor_b64 s[2:3], exec, s[2:3]
	s_cbranch_execz .LBB15_217
; %bb.195:
	s_movk_i32 s0, 0x80
	v_cmp_eq_u16_e32 vcc, s0, v4
	s_mov_b64 s[0:1], -1
	s_and_saveexec_b64 s[6:7], vcc
; %bb.196:
	s_xor_b64 s[0:1], exec, -1
; %bb.197:
	s_or_b64 exec, exec, s[6:7]
	s_and_b64 s[0:1], s[0:1], exec
	s_or_saveexec_b64 s[2:3], s[2:3]
	v_mov_b32_e32 v3, 0x7f800001
	s_xor_b64 exec, exec, s[2:3]
	s_cbranch_execnz .LBB15_218
.LBB15_198:
	s_or_b64 exec, exec, s[2:3]
	s_and_saveexec_b64 s[2:3], s[0:1]
	s_cbranch_execz .LBB15_200
.LBB15_199:
	v_lshlrev_b32_e32 v3, 24, v4
	v_and_b32_e32 v4, 0xffff, v4
	v_and_b32_e32 v5, 3, v4
	v_ffbh_u32_e32 v7, v5
	v_min_u32_e32 v7, 32, v7
	v_subrev_u32_e32 v9, 29, v7
	v_bfe_u32 v6, v4, 2, 5
	v_lshlrev_b32_e32 v4, v9, v4
	v_sub_u32_e32 v7, 30, v7
	v_and_b32_e32 v4, 3, v4
	v_cmp_eq_u32_e32 vcc, 0, v6
	v_cndmask_b32_e32 v6, v6, v7, vcc
	v_cndmask_b32_e32 v4, v5, v4, vcc
	v_mov_b32_e32 v5, 0x37800000
	v_lshlrev_b32_e32 v4, 21, v4
	v_and_b32_e32 v3, 0x80000000, v3
	v_lshl_add_u32 v5, v6, 23, v5
	v_or3_b32 v3, v3, v5, v4
.LBB15_200:
	s_or_b64 exec, exec, s[2:3]
	s_mov_b64 s[0:1], 0
	s_branch .LBB15_206
.LBB15_201:
	s_mov_b64 s[2:3], -1
                                        ; implicit-def: $vgpr3
	s_branch .LBB15_212
.LBB15_202:
	s_or_saveexec_b64 s[2:3], s[2:3]
	v_mov_b32_e32 v3, 0x7f800001
	s_xor_b64 exec, exec, s[2:3]
	s_cbranch_execz .LBB15_186
.LBB15_203:
	v_cmp_ne_u16_e32 vcc, 0, v4
	s_andn2_b64 s[0:1], s[0:1], exec
	s_and_b64 s[6:7], vcc, exec
	v_mov_b32_e32 v3, 0
	s_or_b64 s[0:1], s[0:1], s[6:7]
	s_or_b64 exec, exec, s[2:3]
	s_and_saveexec_b64 s[2:3], s[0:1]
	s_cbranch_execnz .LBB15_187
	s_branch .LBB15_188
.LBB15_204:
	s_mov_b64 s[0:1], -1
                                        ; implicit-def: $vgpr3
	s_branch .LBB15_209
.LBB15_205:
	s_mov_b64 s[0:1], -1
                                        ; implicit-def: $vgpr3
.LBB15_206:
	s_and_b64 vcc, exec, s[0:1]
	s_cbranch_vccz .LBB15_208
; %bb.207:
	global_load_ubyte v3, v[1:2], off
	s_mov_b32 s0, 0x7f800000
	s_waitcnt vmcnt(0)
	v_lshlrev_b32_e32 v3, 24, v3
	v_and_b32_e32 v4, 0x7f000000, v3
	v_ffbh_u32_e32 v5, v4
	v_min_u32_e32 v5, 32, v5
	v_sub_u32_e64 v5, v5, 4 clamp
	v_lshlrev_b32_e32 v7, v5, v4
	v_lshlrev_b32_e32 v5, 23, v5
	v_lshrrev_b32_e32 v7, 4, v7
	v_add_u32_e32 v6, 0x1000000, v4
	v_sub_u32_e32 v5, v7, v5
	v_ashrrev_i32_e32 v6, 8, v6
	v_add_u32_e32 v5, 0x3c000000, v5
	v_and_or_b32 v5, v6, s0, v5
	v_cmp_ne_u32_e32 vcc, 0, v4
	v_cndmask_b32_e32 v4, 0, v5, vcc
	s_brev_b32 s0, 1
	v_and_or_b32 v3, v3, s0, v4
.LBB15_208:
	s_mov_b64 s[0:1], 0
.LBB15_209:
	s_andn2_b64 vcc, exec, s[0:1]
	s_cbranch_vccnz .LBB15_211
; %bb.210:
	global_load_ubyte v3, v[1:2], off
	s_movk_i32 s0, 0x7f00
	s_brev_b32 s1, 16
	s_waitcnt vmcnt(0)
	v_lshlrev_b16_e32 v4, 8, v3
	v_lshlrev_b32_e32 v3, 25, v3
	v_lshrrev_b32_e32 v5, 4, v3
	v_and_or_b32 v6, v4, s0, 0.5
	v_or_b32_e32 v5, 0x70000000, v5
	v_add_f32_e32 v6, -0.5, v6
	v_mul_f32_e32 v5, 0x7800000, v5
	v_cmp_gt_u32_e32 vcc, s1, v3
	v_bfe_i32 v4, v4, 0, 16
	v_cndmask_b32_e32 v3, v5, v6, vcc
	s_brev_b32 s0, 1
	v_and_or_b32 v3, v4, s0, v3
.LBB15_211:
	s_mov_b64 s[2:3], 0
	s_mov_b64 s[0:1], -1
.LBB15_212:
	s_andn2_b64 vcc, exec, s[2:3]
	s_cbranch_vccnz .LBB15_225
; %bb.213:
	s_cmp_gt_i32 s10, 14
	s_cbranch_scc0 .LBB15_216
; %bb.214:
	s_cmp_eq_u32 s10, 15
	s_cbranch_scc0 .LBB15_219
; %bb.215:
	global_load_ushort v3, v[1:2], off
	s_mov_b64 s[0:1], -1
	s_mov_b64 s[8:9], 0
	s_waitcnt vmcnt(0)
	v_lshlrev_b32_e32 v3, 16, v3
	s_branch .LBB15_220
.LBB15_216:
	s_mov_b64 s[2:3], -1
                                        ; implicit-def: $vgpr3
	s_branch .LBB15_221
.LBB15_217:
	s_or_saveexec_b64 s[2:3], s[2:3]
	v_mov_b32_e32 v3, 0x7f800001
	s_xor_b64 exec, exec, s[2:3]
	s_cbranch_execz .LBB15_198
.LBB15_218:
	v_cmp_ne_u16_e32 vcc, 0, v4
	s_andn2_b64 s[0:1], s[0:1], exec
	s_and_b64 s[6:7], vcc, exec
	v_mov_b32_e32 v3, 0
	s_or_b64 s[0:1], s[0:1], s[6:7]
	s_or_b64 exec, exec, s[2:3]
	s_and_saveexec_b64 s[2:3], s[0:1]
	s_cbranch_execnz .LBB15_199
	s_branch .LBB15_200
.LBB15_219:
	s_mov_b64 s[8:9], -1
                                        ; implicit-def: $vgpr3
.LBB15_220:
	s_mov_b64 s[2:3], 0
.LBB15_221:
	s_and_b64 vcc, exec, s[2:3]
	s_cbranch_vccz .LBB15_225
; %bb.222:
	s_cmp_eq_u32 s10, 11
	s_cbranch_scc0 .LBB15_224
; %bb.223:
	global_load_ubyte v3, v[1:2], off
	s_mov_b64 s[0:1], -1
	s_mov_b64 s[8:9], 0
	s_waitcnt vmcnt(0)
	v_cmp_ne_u16_e32 vcc, 0, v3
	v_cndmask_b32_e64 v3, 0, 1.0, vcc
	s_branch .LBB15_225
.LBB15_224:
	s_mov_b64 s[8:9], -1
                                        ; implicit-def: $vgpr3
.LBB15_225:
	s_branch .LBB15_24
.LBB15_226:
	s_cmp_lt_i32 s10, 5
	s_cbranch_scc1 .LBB15_231
; %bb.227:
	s_cmp_lt_i32 s10, 8
	s_cbranch_scc1 .LBB15_232
; %bb.228:
	;; [unrolled: 3-line block ×3, first 2 shown]
	s_cmp_gt_i32 s10, 9
	s_cbranch_scc0 .LBB15_234
; %bb.230:
	global_load_dwordx2 v[3:4], v[1:2], off
	s_mov_b64 s[0:1], 0
	s_waitcnt vmcnt(0)
	v_cvt_f32_f64_e32 v3, v[3:4]
	s_branch .LBB15_235
.LBB15_231:
                                        ; implicit-def: $vgpr3
	s_branch .LBB15_253
.LBB15_232:
	s_mov_b64 s[0:1], -1
                                        ; implicit-def: $vgpr3
	s_branch .LBB15_241
.LBB15_233:
	s_mov_b64 s[0:1], -1
                                        ; implicit-def: $vgpr3
	s_branch .LBB15_238
.LBB15_234:
	s_mov_b64 s[0:1], -1
                                        ; implicit-def: $vgpr3
.LBB15_235:
	s_andn2_b64 vcc, exec, s[0:1]
	s_cbranch_vccnz .LBB15_237
; %bb.236:
	global_load_dword v3, v[1:2], off
.LBB15_237:
	s_mov_b64 s[0:1], 0
.LBB15_238:
	s_andn2_b64 vcc, exec, s[0:1]
	s_cbranch_vccnz .LBB15_240
; %bb.239:
	global_load_dword v3, v[1:2], off
	s_waitcnt vmcnt(0)
	v_cvt_f32_f16_e32 v3, v3
.LBB15_240:
	s_mov_b64 s[0:1], 0
.LBB15_241:
	s_andn2_b64 vcc, exec, s[0:1]
	s_cbranch_vccnz .LBB15_252
; %bb.242:
	s_cmp_lt_i32 s10, 6
	s_cbranch_scc1 .LBB15_245
; %bb.243:
	s_cmp_gt_i32 s10, 6
	s_cbranch_scc0 .LBB15_246
; %bb.244:
	global_load_dwordx2 v[3:4], v[1:2], off
	s_mov_b64 s[0:1], 0
	s_waitcnt vmcnt(0)
	v_cvt_f32_f64_e32 v3, v[3:4]
	s_branch .LBB15_247
.LBB15_245:
	s_mov_b64 s[0:1], -1
                                        ; implicit-def: $vgpr3
	s_branch .LBB15_250
.LBB15_246:
	s_mov_b64 s[0:1], -1
                                        ; implicit-def: $vgpr3
.LBB15_247:
	s_andn2_b64 vcc, exec, s[0:1]
	s_cbranch_vccnz .LBB15_249
; %bb.248:
	global_load_dword v3, v[1:2], off
.LBB15_249:
	s_mov_b64 s[0:1], 0
.LBB15_250:
	s_andn2_b64 vcc, exec, s[0:1]
	s_cbranch_vccnz .LBB15_252
; %bb.251:
	global_load_ushort v3, v[1:2], off
	s_waitcnt vmcnt(0)
	v_cvt_f32_f16_e32 v3, v3
.LBB15_252:
	s_cbranch_execnz .LBB15_272
.LBB15_253:
	s_cmp_lt_i32 s10, 2
	s_cbranch_scc1 .LBB15_257
; %bb.254:
	s_cmp_lt_i32 s10, 3
	s_cbranch_scc1 .LBB15_258
; %bb.255:
	s_cmp_gt_i32 s10, 3
	s_cbranch_scc0 .LBB15_259
; %bb.256:
	global_load_dwordx2 v[3:4], v[1:2], off
	s_mov_b64 s[0:1], 0
	s_waitcnt vmcnt(0)
	v_xor_b32_e32 v6, v3, v4
	v_ffbh_i32_e32 v5, v4
	v_ashrrev_i32_e32 v6, 31, v6
	v_add_u32_e32 v5, -1, v5
	v_add_u32_e32 v6, 32, v6
	v_min_u32_e32 v5, v5, v6
	v_lshlrev_b64 v[3:4], v5, v[3:4]
	v_min_u32_e32 v3, 1, v3
	v_or_b32_e32 v3, v4, v3
	v_cvt_f32_i32_e32 v3, v3
	v_sub_u32_e32 v4, 32, v5
	v_ldexp_f32 v3, v3, v4
	s_branch .LBB15_260
.LBB15_257:
	s_mov_b64 s[0:1], -1
                                        ; implicit-def: $vgpr3
	s_branch .LBB15_266
.LBB15_258:
	s_mov_b64 s[0:1], -1
                                        ; implicit-def: $vgpr3
	s_branch .LBB15_263
.LBB15_259:
	s_mov_b64 s[0:1], -1
                                        ; implicit-def: $vgpr3
.LBB15_260:
	s_andn2_b64 vcc, exec, s[0:1]
	s_cbranch_vccnz .LBB15_262
; %bb.261:
	global_load_dword v3, v[1:2], off
	s_waitcnt vmcnt(0)
	v_cvt_f32_i32_e32 v3, v3
.LBB15_262:
	s_mov_b64 s[0:1], 0
.LBB15_263:
	s_andn2_b64 vcc, exec, s[0:1]
	s_cbranch_vccnz .LBB15_265
; %bb.264:
	global_load_sshort v3, v[1:2], off
	s_waitcnt vmcnt(0)
	v_cvt_f32_i32_e32 v3, v3
.LBB15_265:
	s_mov_b64 s[0:1], 0
.LBB15_266:
	s_andn2_b64 vcc, exec, s[0:1]
	s_cbranch_vccnz .LBB15_272
; %bb.267:
	s_cmp_gt_i32 s10, 0
	s_cbranch_scc0 .LBB15_269
; %bb.268:
	global_load_sbyte v3, v[1:2], off
	s_mov_b64 s[0:1], 0
	s_waitcnt vmcnt(0)
	v_cvt_f32_i32_e32 v3, v3
	s_branch .LBB15_270
.LBB15_269:
	s_mov_b64 s[0:1], -1
                                        ; implicit-def: $vgpr3
.LBB15_270:
	s_andn2_b64 vcc, exec, s[0:1]
	s_cbranch_vccnz .LBB15_272
; %bb.271:
	global_load_ubyte v1, v[1:2], off
	s_waitcnt vmcnt(0)
	v_cvt_f32_ubyte0_e32 v3, v1
.LBB15_272:
	s_branch .LBB15_25
.LBB15_273:
	s_mov_b64 s[0:1], 0
.LBB15_274:
	s_mov_b64 s[2:3], 0
                                        ; implicit-def: $vgpr8
.LBB15_275:
	s_and_b64 s[54:55], s[0:1], exec
	s_and_b64 s[56:57], s[8:9], exec
	s_orn2_b64 s[2:3], s[2:3], exec
.LBB15_276:
	s_or_b64 exec, exec, s[58:59]
	s_mov_b64 s[6:7], 0
	s_mov_b64 s[0:1], 0
                                        ; implicit-def: $vgpr1_vgpr2
                                        ; implicit-def: $vgpr0
                                        ; implicit-def: $vgpr5
	s_and_saveexec_b64 s[58:59], s[2:3]
	s_cbranch_execz .LBB15_283
; %bb.277:
	v_cmp_gt_i32_e32 vcc, s70, v8
	s_mov_b64 s[0:1], -1
	s_mov_b64 s[60:61], s[56:57]
	s_mov_b64 s[62:63], s[54:55]
	s_and_saveexec_b64 s[64:65], vcc
	s_cbranch_execz .LBB15_562
; %bb.278:
	s_andn2_b64 vcc, exec, s[42:43]
	s_cbranch_vccnz .LBB15_286
; %bb.279:
	s_andn2_b64 vcc, exec, s[52:53]
	s_cbranch_vccnz .LBB15_287
; %bb.280:
	s_add_i32 s63, s75, 1
	s_cmp_eq_u32 s72, 2
	s_cbranch_scc1 .LBB15_288
; %bb.281:
	s_and_b32 s62, s63, 28
	v_mov_b32_e32 v2, 0
	s_mov_b32 s66, 0
	s_mov_b64 s[6:7], s[34:35]
	s_mov_b64 s[60:61], s[50:51]
	v_mov_b32_e32 v0, 0
	v_mov_b32_e32 v1, v8
.LBB15_282:                             ; =>This Inner Loop Header: Depth=1
	s_load_dwordx8 s[16:23], s[6:7], 0x4
	s_load_dwordx4 s[0:3], s[6:7], 0x24
	s_load_dwordx8 s[8:15], s[60:61], 0x0
	s_add_u32 s6, s6, 48
	s_addc_u32 s7, s7, 0
	s_waitcnt vmcnt(0) lgkmcnt(0)
	v_mul_hi_u32 v3, s17, v1
	s_add_i32 s66, s66, 4
	s_add_u32 s60, s60, 32
	s_addc_u32 s61, s61, 0
	v_add_u32_e32 v3, v1, v3
	v_lshrrev_b32_e32 v3, s18, v3
	v_mul_lo_u32 v4, v3, s16
	v_mul_hi_u32 v5, s20, v3
	s_cmp_eq_u32 s62, s66
	v_sub_u32_e32 v1, v1, v4
	v_add_u32_e32 v4, v3, v5
	v_mul_lo_u32 v5, v1, s8
	v_mul_lo_u32 v6, v1, s9
	v_lshrrev_b32_e32 v1, s21, v4
	v_mul_lo_u32 v4, v1, s19
	v_mul_hi_u32 v7, s23, v1
	v_sub_u32_e32 v3, v3, v4
	v_add_u32_e32 v4, v1, v7
	v_lshrrev_b32_e32 v4, s0, v4
	v_mul_hi_u32 v9, s2, v4
	v_mul_lo_u32 v10, v4, s22
	v_mul_lo_u32 v7, v3, s10
	;; [unrolled: 1-line block ×3, first 2 shown]
	v_sub_u32_e32 v10, v1, v10
	v_add_u32_e32 v1, v4, v9
	v_lshrrev_b32_e32 v1, s3, v1
	v_mul_lo_u32 v9, v1, s1
	v_mul_lo_u32 v11, v10, s12
	;; [unrolled: 1-line block ×3, first 2 shown]
	v_add3_u32 v0, v5, v0, v7
	v_sub_u32_e32 v4, v4, v9
	v_mul_lo_u32 v9, v4, s14
	v_mul_lo_u32 v4, v4, s15
	v_add3_u32 v2, v6, v2, v3
	v_add3_u32 v0, v11, v0, v9
	;; [unrolled: 1-line block ×3, first 2 shown]
	s_cbranch_scc0 .LBB15_282
	s_branch .LBB15_289
.LBB15_283:
	s_or_b64 exec, exec, s[58:59]
	s_mov_b64 s[8:9], 0
	s_and_saveexec_b64 s[2:3], s[56:57]
	s_cbranch_execnz .LBB15_948
.LBB15_284:
	s_or_b64 exec, exec, s[2:3]
	s_and_saveexec_b64 s[2:3], s[62:63]
	s_xor_b64 s[2:3], exec, s[2:3]
	s_cbranch_execz .LBB15_949
.LBB15_285:
	global_load_ubyte v3, v[1:2], off
	s_or_b64 s[0:1], s[0:1], exec
	s_waitcnt vmcnt(0)
	v_cmp_ne_u16_e32 vcc, 0, v3
	v_cndmask_b32_e64 v5, 0, 1.0, vcc
	s_or_b64 exec, exec, s[2:3]
	s_and_saveexec_b64 s[2:3], s[6:7]
	s_cbranch_execz .LBB15_995
	s_branch .LBB15_950
.LBB15_286:
                                        ; implicit-def: $vgpr0
                                        ; implicit-def: $vgpr2
	s_andn2_b64 vcc, exec, s[0:1]
	s_cbranch_vccz .LBB15_293
	s_branch .LBB15_295
.LBB15_287:
	v_mov_b32_e32 v0, 0
	v_mov_b32_e32 v2, 0
	s_branch .LBB15_292
.LBB15_288:
	s_mov_b32 s62, 0
	v_mov_b32_e32 v0, 0
	v_mov_b32_e32 v2, 0
	;; [unrolled: 1-line block ×3, first 2 shown]
.LBB15_289:
	s_and_b32 s6, s63, 3
	s_cmp_eq_u32 s6, 0
	s_cbranch_scc1 .LBB15_292
; %bb.290:
	s_lshl_b32 s0, s62, 3
	s_add_u32 s0, s34, s0
	s_addc_u32 s1, s35, 0
	s_add_u32 s0, s0, 0xc4
	s_addc_u32 s1, s1, 0
	s_mul_i32 s2, s62, 12
	s_add_u32 s2, s34, s2
	s_addc_u32 s3, s35, 0
.LBB15_291:                             ; =>This Inner Loop Header: Depth=1
	s_load_dwordx2 s[8:9], s[2:3], 0x4
	s_load_dword s7, s[2:3], 0xc
	s_load_dwordx2 s[10:11], s[0:1], 0x0
	s_add_u32 s2, s2, 12
	s_addc_u32 s3, s3, 0
	s_waitcnt vmcnt(0) lgkmcnt(0)
	v_mul_hi_u32 v3, s9, v1
	s_add_u32 s0, s0, 8
	s_addc_u32 s1, s1, 0
	s_add_i32 s6, s6, -1
	v_add_u32_e32 v3, v1, v3
	v_lshrrev_b32_e32 v4, s7, v3
	v_mul_lo_u32 v3, v4, s8
	s_cmp_lg_u32 s6, 0
	v_sub_u32_e32 v3, v1, v3
	v_mad_u64_u32 v[0:1], s[8:9], v3, s10, v[0:1]
	v_mad_u64_u32 v[2:3], s[8:9], v3, s11, v[2:3]
	v_mov_b32_e32 v1, v4
	s_cbranch_scc1 .LBB15_291
.LBB15_292:
	s_cbranch_execnz .LBB15_295
.LBB15_293:
	s_waitcnt lgkmcnt(0)
	v_mul_hi_u32 v0, s37, v8
	s_andn2_b64 vcc, exec, s[48:49]
	v_add_u32_e32 v0, v8, v0
	v_lshrrev_b32_e32 v1, s38, v0
	v_mul_lo_u32 v0, v1, s36
	v_sub_u32_e32 v2, v8, v0
	v_mul_lo_u32 v0, v2, s28
	v_mul_lo_u32 v2, v2, s29
	s_cbranch_vccnz .LBB15_295
; %bb.294:
	s_waitcnt vmcnt(0)
	v_mul_hi_u32 v3, s46, v1
	v_add_u32_e32 v3, v1, v3
	v_lshrrev_b32_e32 v3, s47, v3
	v_mul_lo_u32 v3, v3, s39
	v_sub_u32_e32 v3, v1, v3
	v_mad_u64_u32 v[0:1], s[0:1], v3, s30, v[0:1]
	v_mad_u64_u32 v[2:3], s[0:1], v3, s31, v[2:3]
.LBB15_295:
	s_waitcnt vmcnt(0) lgkmcnt(0)
	v_mov_b32_e32 v3, s27
	s_and_b32 s10, 0xffff, s74
	v_add_co_u32_e32 v1, vcc, s26, v2
	s_cmp_lt_i32 s10, 11
	v_addc_co_u32_e32 v2, vcc, 0, v3, vcc
	s_cbranch_scc1 .LBB15_302
; %bb.296:
	s_cmp_gt_i32 s10, 25
	s_cbranch_scc0 .LBB15_321
; %bb.297:
	s_cmp_gt_i32 s10, 28
	s_cbranch_scc0 .LBB15_323
	;; [unrolled: 3-line block ×4, first 2 shown]
; %bb.300:
	s_cmp_eq_u32 s10, 46
	s_mov_b64 s[2:3], 0
	s_cbranch_scc0 .LBB15_333
; %bb.301:
	global_load_dword v3, v[1:2], off
	s_mov_b64 s[0:1], -1
	s_mov_b64 s[8:9], 0
	s_waitcnt vmcnt(0)
	v_lshlrev_b32_e32 v3, 16, v3
	s_branch .LBB15_334
.LBB15_302:
	s_mov_b64 s[0:1], 0
                                        ; implicit-def: $vgpr3
	s_mov_b64 s[8:9], s[56:57]
	s_cbranch_execnz .LBB15_511
.LBB15_303:
	s_andn2_b64 vcc, exec, s[0:1]
	s_cbranch_vccnz .LBB15_559
.LBB15_304:
	s_mov_b32 s0, 0x7f800000
	s_waitcnt vmcnt(0)
	v_cmp_neq_f32_e64 s[0:1], |v3|, s0
	v_mov_b32_e32 v1, 0
	s_and_saveexec_b64 s[10:11], s[0:1]
	s_cbranch_execz .LBB15_314
; %bb.305:
	v_cmp_nlt_f32_e64 s[0:1], |v3|, 0.5
                                        ; implicit-def: $vgpr1
	s_and_saveexec_b64 s[2:3], s[0:1]
	s_xor_b64 s[12:13], exec, s[2:3]
	s_cbranch_execz .LBB15_311
; %bb.306:
	s_brev_b32 s0, 18
	v_and_b32_e32 v1, 0x7fffffff, v3
	v_cmp_nlt_f32_e64 s[0:1], |v3|, s0
                                        ; implicit-def: $vgpr2
                                        ; implicit-def: $vgpr4
	s_and_saveexec_b64 s[2:3], s[0:1]
	s_xor_b64 s[14:15], exec, s[2:3]
	s_cbranch_execz .LBB15_308
; %bb.307:
	v_and_b32_e32 v2, 0x7fffff, v1
	v_or_b32_e32 v2, 0x800000, v2
	s_mov_b32 s0, 0xfe5163ab
	v_mad_u64_u32 v[4:5], s[0:1], v2, s0, 0
	v_mov_b32_e32 v6, 0
	s_mov_b32 s0, 0x3c439041
	v_mad_u64_u32 v[9:10], s[0:1], v2, s0, v[5:6]
	s_mov_b32 s0, 0xdb629599
	v_not_b32_e32 v7, 63
	v_mov_b32_e32 v5, v10
	v_mad_u64_u32 v[10:11], s[0:1], v2, s0, v[5:6]
	s_mov_b32 s0, 0xf534ddc0
	v_not_b32_e32 v15, 31
	v_mov_b32_e32 v5, v11
	v_mad_u64_u32 v[11:12], s[0:1], v2, s0, v[5:6]
	v_lshrrev_b32_e32 v5, 23, v1
	v_add_u32_e32 v14, 0xffffff88, v5
	v_mov_b32_e32 v5, v12
	s_mov_b32 s0, 0xfc2757d1
	v_mad_u64_u32 v[12:13], s[0:1], v2, s0, v[5:6]
	v_cmp_lt_u32_e32 vcc, 63, v14
	v_cndmask_b32_e32 v5, 0, v7, vcc
	v_add_u32_e32 v7, v5, v14
	v_mov_b32_e32 v5, v13
	s_mov_b32 s0, 0x4e441529
	v_mad_u64_u32 v[13:14], s[0:1], v2, s0, v[5:6]
	v_cmp_lt_u32_e64 s[0:1], 31, v7
	v_cndmask_b32_e64 v5, 0, v15, s[0:1]
	v_add_u32_e32 v7, v5, v7
	v_mov_b32_e32 v5, v14
	s_mov_b32 s2, 0xa2f9836e
	v_mad_u64_u32 v[5:6], s[2:3], v2, s2, v[5:6]
	v_cmp_lt_u32_e64 s[2:3], 31, v7
	v_cndmask_b32_e64 v2, 0, v15, s[2:3]
	v_add_u32_e32 v2, v2, v7
	v_cndmask_b32_e32 v7, v13, v11, vcc
	v_cndmask_b32_e32 v5, v5, v12, vcc
	v_cndmask_b32_e32 v6, v6, v13, vcc
	v_cndmask_b32_e64 v14, v5, v7, s[0:1]
	v_cndmask_b32_e64 v5, v6, v5, s[0:1]
	v_cndmask_b32_e32 v6, v12, v10, vcc
	v_cndmask_b32_e64 v7, v7, v6, s[0:1]
	v_cndmask_b32_e64 v5, v5, v14, s[2:3]
	;; [unrolled: 1-line block ×3, first 2 shown]
	v_sub_u32_e32 v13, 32, v2
	v_alignbit_b32 v14, v5, v12, v13
	v_cmp_eq_u32_e64 s[6:7], 0, v2
	v_cndmask_b32_e64 v2, v14, v5, s[6:7]
	v_cndmask_b32_e32 v5, v11, v9, vcc
	v_cndmask_b32_e64 v6, v6, v5, s[0:1]
	v_cndmask_b32_e64 v7, v7, v6, s[2:3]
	v_alignbit_b32 v9, v12, v7, v13
	v_cndmask_b32_e32 v4, v10, v4, vcc
	v_cndmask_b32_e64 v9, v9, v12, s[6:7]
	v_bfe_u32 v14, v2, 29, 1
	v_cndmask_b32_e64 v4, v5, v4, s[0:1]
	v_alignbit_b32 v11, v2, v9, 30
	v_sub_u32_e32 v15, 0, v14
	v_cndmask_b32_e64 v4, v6, v4, s[2:3]
	v_xor_b32_e32 v11, v11, v15
	v_alignbit_b32 v5, v7, v4, v13
	v_cndmask_b32_e64 v5, v5, v7, s[6:7]
	v_ffbh_u32_e32 v7, v11
	v_alignbit_b32 v6, v9, v5, 30
	v_min_u32_e32 v7, 32, v7
	v_alignbit_b32 v4, v5, v4, 30
	v_xor_b32_e32 v6, v6, v15
	v_sub_u32_e32 v9, 31, v7
	v_xor_b32_e32 v4, v4, v15
	v_alignbit_b32 v10, v11, v6, v9
	v_alignbit_b32 v4, v6, v4, v9
	;; [unrolled: 1-line block ×3, first 2 shown]
	v_ffbh_u32_e32 v6, v5
	v_min_u32_e32 v6, 32, v6
	v_lshrrev_b32_e32 v12, 29, v2
	v_not_b32_e32 v9, v6
	v_alignbit_b32 v4, v5, v4, v9
	v_lshlrev_b32_e32 v5, 31, v12
	v_or_b32_e32 v9, 0x33000000, v5
	v_add_lshl_u32 v6, v6, v7, 23
	v_lshrrev_b32_e32 v4, 9, v4
	v_sub_u32_e32 v6, v9, v6
	v_or_b32_e32 v5, 0.5, v5
	v_lshlrev_b32_e32 v7, 23, v7
	v_or_b32_e32 v4, v6, v4
	v_lshrrev_b32_e32 v6, 9, v10
	v_sub_u32_e32 v5, v5, v7
	v_or_b32_e32 v5, v6, v5
	s_mov_b32 s0, 0x3fc90fda
	v_mul_f32_e32 v6, 0x3fc90fda, v5
	v_fma_f32 v7, v5, s0, -v6
	v_fmac_f32_e32 v7, 0x33a22168, v5
	v_fmac_f32_e32 v7, 0x3fc90fda, v4
	v_lshrrev_b32_e32 v2, 30, v2
	v_add_f32_e32 v4, v6, v7
	v_add_u32_e32 v2, v14, v2
.LBB15_308:
	s_andn2_saveexec_b64 s[0:1], s[14:15]
	s_cbranch_execz .LBB15_310
; %bb.309:
	s_mov_b32 s2, 0x3f22f983
	v_mul_f32_e64 v2, |v3|, s2
	v_rndne_f32_e32 v5, v2
	s_mov_b32 s2, 0xbfc90fda
	v_cvt_i32_f32_e32 v2, v5
	v_fma_f32 v4, v5, s2, |v3|
	v_fmac_f32_e32 v4, 0xb3a22168, v5
	v_fmac_f32_e32 v4, 0xa7c234c4, v5
.LBB15_310:
	s_or_b64 exec, exec, s[0:1]
	v_mul_f32_e32 v5, v4, v4
	v_mov_b32_e32 v6, 0x3c0881c4
	v_fmac_f32_e32 v6, 0xb94c1982, v5
	v_mov_b32_e32 v7, 0xbe2aaa9d
	v_fmac_f32_e32 v7, v5, v6
	v_mul_f32_e32 v6, v5, v7
	v_fmac_f32_e32 v4, v4, v6
	v_mov_b32_e32 v6, 0xbab64f3b
	v_fmac_f32_e32 v6, 0x37d75334, v5
	v_mov_b32_e32 v7, 0x3d2aabf7
	;; [unrolled: 2-line block ×3, first 2 shown]
	v_fmac_f32_e32 v6, v5, v7
	v_fma_f32 v5, v5, v6, 1.0
	v_and_b32_e32 v6, 1, v2
	v_lshlrev_b32_e32 v2, 30, v2
	v_cmp_eq_u32_e32 vcc, 0, v6
	v_and_b32_e32 v2, 0x80000000, v2
	v_xor_b32_e32 v1, v1, v3
	v_cndmask_b32_e32 v4, v5, v4, vcc
	v_xor_b32_e32 v1, v1, v2
	s_movk_i32 s0, 0x1f8
	v_xor_b32_e32 v1, v1, v4
	v_mov_b32_e32 v2, 0x7fc00000
	v_cmp_class_f32_e64 vcc, v3, s0
	v_cndmask_b32_e32 v1, v2, v1, vcc
	v_div_scale_f32 v2, s[0:1], v3, v3, v1
	v_div_scale_f32 v4, vcc, v1, v3, v1
	v_rcp_f32_e32 v5, v2
	v_fma_f32 v6, -v2, v5, 1.0
	v_fmac_f32_e32 v5, v6, v5
	v_mul_f32_e32 v6, v4, v5
	v_fma_f32 v7, -v2, v6, v4
	v_fmac_f32_e32 v6, v7, v5
	v_fma_f32 v2, -v2, v6, v4
	v_div_fmas_f32 v2, v2, v5, v6
	v_div_fixup_f32 v1, v2, v3, v1
                                        ; implicit-def: $vgpr3
.LBB15_311:
	s_andn2_saveexec_b64 s[0:1], s[12:13]
	s_cbranch_execz .LBB15_313
; %bb.312:
	v_mul_f32_e32 v1, v3, v3
	v_mov_b32_e32 v2, 0xb2d7322b
	v_fmac_f32_e32 v2, 0x2f309231, v1
	v_mov_b32_e32 v3, 0x3638ef1d
	v_fmac_f32_e32 v3, v1, v2
	;; [unrolled: 2-line block ×5, first 2 shown]
	v_fma_f32 v1, v1, v2, 1.0
.LBB15_313:
	s_or_b64 exec, exec, s[0:1]
.LBB15_314:
	s_or_b64 exec, exec, s[10:11]
	v_mov_b32_e32 v2, s25
	s_and_b32 s12, s73, 0xff
	v_add_co_u32_e32 v3, vcc, s24, v0
	s_cmp_lt_i32 s12, 11
	v_addc_co_u32_e32 v4, vcc, 0, v2, vcc
	s_cbranch_scc1 .LBB15_322
; %bb.315:
	s_and_b32 s13, 0xffff, s12
	s_cmp_gt_i32 s13, 25
	s_cbranch_scc0 .LBB15_324
; %bb.316:
	s_cmp_gt_i32 s13, 28
	s_cbranch_scc0 .LBB15_326
; %bb.317:
	;; [unrolled: 3-line block ×4, first 2 shown]
	s_mov_b64 s[6:7], 0
	s_mov_b64 s[0:1], -1
	s_cmp_eq_u32 s13, 46
	s_mov_b64 s[2:3], 0
	s_cbranch_scc0 .LBB15_338
; %bb.320:
	v_bfe_u32 v0, v1, 16, 1
	s_movk_i32 s0, 0x7fff
	v_add3_u32 v0, v1, v0, s0
	v_cmp_o_f32_e32 vcc, v1, v1
	v_mov_b32_e32 v2, 0x7fc0
	v_cndmask_b32_sdwa v0, v2, v0, vcc dst_sel:DWORD dst_unused:UNUSED_PAD src0_sel:DWORD src1_sel:WORD_1
	global_store_dword v[3:4], v0, off
	s_mov_b64 s[2:3], -1
	s_mov_b64 s[0:1], 0
	s_branch .LBB15_338
.LBB15_321:
	s_mov_b64 s[2:3], -1
	s_mov_b64 s[0:1], 0
	s_mov_b64 s[8:9], s[56:57]
                                        ; implicit-def: $vgpr3
	s_branch .LBB15_475
.LBB15_322:
	s_mov_b64 s[6:7], -1
	s_mov_b64 s[2:3], 0
	s_mov_b64 s[0:1], s[54:55]
	s_branch .LBB15_407
.LBB15_323:
	s_mov_b64 s[2:3], -1
	s_mov_b64 s[0:1], 0
	s_mov_b64 s[8:9], s[56:57]
                                        ; implicit-def: $vgpr3
	s_branch .LBB15_456
.LBB15_324:
	s_mov_b64 s[6:7], -1
	s_mov_b64 s[2:3], 0
	s_mov_b64 s[0:1], s[54:55]
	s_branch .LBB15_365
.LBB15_325:
	s_mov_b64 s[2:3], -1
	s_mov_b64 s[0:1], 0
	s_mov_b64 s[8:9], s[56:57]
                                        ; implicit-def: $vgpr3
	s_branch .LBB15_451
.LBB15_326:
	s_mov_b64 s[6:7], -1
	s_mov_b64 s[2:3], 0
	s_mov_b64 s[0:1], s[54:55]
	s_branch .LBB15_348
.LBB15_327:
	s_andn2_saveexec_b64 s[10:11], s[10:11]
	s_cbranch_execz .LBB15_78
.LBB15_328:
	s_mov_b32 s14, 0x46000000
	v_add_f32_e64 v0, |v1|, s14
	v_and_b32_e32 v0, 0xff, v0
	v_cmp_ne_u32_e32 vcc, 0, v0
	s_andn2_b64 s[6:7], s[6:7], exec
	s_and_b64 s[14:15], vcc, exec
	s_or_b64 s[6:7], s[6:7], s[14:15]
	s_or_b64 exec, exec, s[10:11]
	v_mov_b32_e32 v2, 0
	s_and_saveexec_b64 s[10:11], s[6:7]
	s_cbranch_execnz .LBB15_79
	s_branch .LBB15_80
.LBB15_329:
	s_mov_b64 s[2:3], -1
	s_mov_b64 s[0:1], 0
	s_mov_b64 s[8:9], s[56:57]
                                        ; implicit-def: $vgpr3
	s_branch .LBB15_334
.LBB15_330:
	s_mov_b64 s[6:7], -1
	s_mov_b64 s[2:3], 0
	s_mov_b64 s[0:1], s[54:55]
	s_branch .LBB15_344
.LBB15_331:
	s_andn2_saveexec_b64 s[10:11], s[10:11]
	s_cbranch_execz .LBB15_91
.LBB15_332:
	s_mov_b32 s14, 0x42800000
	v_add_f32_e64 v0, |v1|, s14
	v_and_b32_e32 v0, 0xff, v0
	v_cmp_ne_u32_e32 vcc, 0, v0
	s_andn2_b64 s[6:7], s[6:7], exec
	s_and_b64 s[14:15], vcc, exec
	s_or_b64 s[6:7], s[6:7], s[14:15]
	s_or_b64 exec, exec, s[10:11]
	v_mov_b32_e32 v2, 0
	s_and_saveexec_b64 s[10:11], s[6:7]
	s_cbranch_execnz .LBB15_92
	s_branch .LBB15_93
.LBB15_333:
	s_mov_b64 s[8:9], -1
                                        ; implicit-def: $vgpr3
	s_mov_b64 s[0:1], 0
.LBB15_334:
	s_and_b64 vcc, exec, s[2:3]
	s_cbranch_vccz .LBB15_450
; %bb.335:
	s_cmp_eq_u32 s10, 44
	s_cbranch_scc0 .LBB15_449
; %bb.336:
	global_load_ubyte v3, v[1:2], off
	s_movk_i32 s2, 0xff
	v_mov_b32_e32 v4, 0x7f800001
	v_mov_b32_e32 v5, 0x400000
	s_mov_b64 s[0:1], -1
	s_mov_b64 s[8:9], 0
	s_waitcnt vmcnt(0)
	v_lshlrev_b32_e32 v6, 23, v3
	v_cmp_ne_u32_e32 vcc, s2, v3
	v_cndmask_b32_e32 v4, v4, v6, vcc
	v_cmp_ne_u32_e32 vcc, 0, v3
	v_cndmask_b32_e32 v3, v5, v4, vcc
	s_branch .LBB15_450
.LBB15_337:
	s_mov_b64 s[6:7], -1
	s_mov_b64 s[2:3], 0
	s_mov_b64 s[0:1], s[54:55]
.LBB15_338:
	s_and_b64 vcc, exec, s[6:7]
	s_cbranch_vccz .LBB15_343
; %bb.339:
	s_cmp_eq_u32 s13, 44
	s_mov_b64 s[0:1], -1
	s_cbranch_scc0 .LBB15_343
; %bb.340:
	v_bfe_u32 v0, v1, 23, 8
	s_movk_i32 s0, 0xff
	v_cmp_ne_u32_e32 vcc, s0, v0
	v_mov_b32_e32 v2, 0xff
	s_and_saveexec_b64 s[2:3], vcc
; %bb.341:
	s_mov_b32 s0, 0x3fffff
	v_and_b32_e32 v5, 0x400000, v1
	v_and_or_b32 v0, v1, s0, v0
	v_cmp_ne_u32_e32 vcc, 0, v5
	v_cmp_ne_u32_e64 s[0:1], 0, v0
	s_and_b64 s[0:1], vcc, s[0:1]
	v_lshrrev_b32_e32 v2, 23, v1
	v_cndmask_b32_e64 v0, 0, 1, s[0:1]
	v_add_u32_e32 v2, v2, v0
; %bb.342:
	s_or_b64 exec, exec, s[2:3]
	s_mov_b64 s[2:3], -1
	s_mov_b64 s[0:1], 0
	global_store_byte v[3:4], v2, off
.LBB15_343:
	s_mov_b64 s[6:7], 0
.LBB15_344:
	s_and_b64 vcc, exec, s[6:7]
	s_cbranch_vccz .LBB15_347
; %bb.345:
	s_cmp_eq_u32 s13, 29
	s_mov_b64 s[0:1], -1
	s_cbranch_scc0 .LBB15_347
; %bb.346:
	v_trunc_f32_e32 v0, v1
	v_mul_f32_e32 v2, 0x2f800000, v0
	v_floor_f32_e32 v2, v2
	v_fmac_f32_e32 v0, 0xcf800000, v2
	v_cvt_u32_f32_e32 v6, v2
	v_cvt_u32_f32_e32 v5, v0
	s_mov_b64 s[2:3], -1
	s_mov_b64 s[0:1], 0
	s_mov_b64 s[6:7], 0
	global_store_dwordx2 v[3:4], v[5:6], off
	s_branch .LBB15_348
.LBB15_347:
	s_mov_b64 s[6:7], 0
.LBB15_348:
	s_and_b64 vcc, exec, s[6:7]
	s_cbranch_vccz .LBB15_364
; %bb.349:
	s_cmp_lt_i32 s13, 27
	s_mov_b64 s[2:3], -1
	s_cbranch_scc1 .LBB15_355
; %bb.350:
	v_cvt_u32_f32_e32 v0, v1
	s_cmp_gt_i32 s13, 27
	s_cbranch_scc0 .LBB15_352
; %bb.351:
	s_mov_b64 s[2:3], 0
	global_store_dword v[3:4], v0, off
.LBB15_352:
	s_andn2_b64 vcc, exec, s[2:3]
	s_cbranch_vccnz .LBB15_354
; %bb.353:
	global_store_short v[3:4], v0, off
.LBB15_354:
	s_mov_b64 s[2:3], 0
.LBB15_355:
	s_andn2_b64 vcc, exec, s[2:3]
	s_cbranch_vccnz .LBB15_363
; %bb.356:
	v_and_b32_e32 v0, 0x7fffffff, v1
	s_mov_b32 s2, 0x43800000
	v_cmp_gt_u32_e32 vcc, s2, v0
	v_mov_b32_e32 v2, 0x80
	s_and_saveexec_b64 s[2:3], vcc
	s_cbranch_execz .LBB15_362
; %bb.357:
	s_mov_b32 s6, 0x3bffffff
	v_cmp_lt_u32_e32 vcc, s6, v0
	s_mov_b64 s[6:7], 0
                                        ; implicit-def: $vgpr0
	s_and_saveexec_b64 s[10:11], vcc
	s_xor_b64 s[10:11], exec, s[10:11]
	s_cbranch_execz .LBB15_590
; %bb.358:
	v_bfe_u32 v0, v1, 20, 1
	s_mov_b32 s14, 0x487ffff
	v_add3_u32 v0, v1, v0, s14
	s_mov_b64 s[6:7], exec
	v_lshrrev_b32_e32 v0, 20, v0
	s_andn2_saveexec_b64 s[10:11], s[10:11]
	s_cbranch_execnz .LBB15_591
.LBB15_359:
	s_or_b64 exec, exec, s[10:11]
	v_mov_b32_e32 v2, 0
	s_and_saveexec_b64 s[10:11], s[6:7]
.LBB15_360:
	v_lshrrev_b32_e32 v2, 24, v1
	s_movk_i32 s6, 0x80
	v_and_or_b32 v2, v2, s6, v0
.LBB15_361:
	s_or_b64 exec, exec, s[10:11]
.LBB15_362:
	s_or_b64 exec, exec, s[2:3]
	global_store_byte v[3:4], v2, off
.LBB15_363:
	s_mov_b64 s[2:3], -1
.LBB15_364:
	s_mov_b64 s[6:7], 0
.LBB15_365:
	s_and_b64 vcc, exec, s[6:7]
	s_cbranch_vccz .LBB15_406
; %bb.366:
	s_cmp_gt_i32 s13, 22
	s_mov_b64 s[6:7], -1
	s_cbranch_scc0 .LBB15_398
; %bb.367:
	s_cmp_lt_i32 s13, 24
	s_mov_b64 s[2:3], -1
	s_cbranch_scc1 .LBB15_387
; %bb.368:
	s_cmp_gt_i32 s13, 24
	s_cbranch_scc0 .LBB15_376
; %bb.369:
	v_and_b32_e32 v0, 0x7fffffff, v1
	s_mov_b32 s2, 0x47800000
	v_cmp_gt_u32_e32 vcc, s2, v0
	v_mov_b32_e32 v2, 0x80
	s_and_saveexec_b64 s[2:3], vcc
	s_cbranch_execz .LBB15_375
; %bb.370:
	s_mov_b32 s6, 0x37ffffff
	v_cmp_lt_u32_e32 vcc, s6, v0
	s_mov_b64 s[6:7], 0
                                        ; implicit-def: $vgpr0
	s_and_saveexec_b64 s[10:11], vcc
	s_xor_b64 s[10:11], exec, s[10:11]
	s_cbranch_execz .LBB15_593
; %bb.371:
	v_bfe_u32 v0, v1, 21, 1
	s_mov_b32 s14, 0x88fffff
	v_add3_u32 v0, v1, v0, s14
	s_mov_b64 s[6:7], exec
	v_lshrrev_b32_e32 v0, 21, v0
	s_andn2_saveexec_b64 s[10:11], s[10:11]
	s_cbranch_execnz .LBB15_594
.LBB15_372:
	s_or_b64 exec, exec, s[10:11]
	v_mov_b32_e32 v2, 0
	s_and_saveexec_b64 s[10:11], s[6:7]
.LBB15_373:
	v_lshrrev_b32_e32 v2, 24, v1
	s_movk_i32 s6, 0x80
	v_and_or_b32 v2, v2, s6, v0
.LBB15_374:
	s_or_b64 exec, exec, s[10:11]
.LBB15_375:
	s_or_b64 exec, exec, s[2:3]
	s_mov_b64 s[2:3], 0
	global_store_byte v[3:4], v2, off
.LBB15_376:
	s_and_b64 vcc, exec, s[2:3]
	s_cbranch_vccz .LBB15_386
; %bb.377:
	v_and_b32_e32 v2, 0x7fffffff, v1
	s_mov_b32 s2, 0x43f00000
	v_cmp_gt_u32_e32 vcc, s2, v2
                                        ; implicit-def: $vgpr0
	s_and_saveexec_b64 s[2:3], vcc
	s_xor_b64 s[2:3], exec, s[2:3]
	s_cbranch_execz .LBB15_383
; %bb.378:
	s_mov_b32 s6, 0x3c7fffff
	v_cmp_lt_u32_e32 vcc, s6, v2
                                        ; implicit-def: $vgpr0
	s_and_saveexec_b64 s[6:7], vcc
	s_xor_b64 s[6:7], exec, s[6:7]
; %bb.379:
	v_bfe_u32 v0, v1, 20, 1
	s_mov_b32 s10, 0x407ffff
	v_add3_u32 v0, v1, v0, s10
	v_lshrrev_b32_e32 v2, 20, v0
	v_and_b32_e32 v0, 0xff00000, v0
	s_mov_b32 s10, 0x7f00000
	v_mov_b32_e32 v5, 0x7e
	v_cmp_ne_u32_e32 vcc, s10, v0
	v_cndmask_b32_e32 v0, v5, v2, vcc
; %bb.380:
	s_andn2_saveexec_b64 s[6:7], s[6:7]
; %bb.381:
	s_mov_b32 s10, 0x46800000
	v_add_f32_e64 v0, |v1|, s10
; %bb.382:
	s_or_b64 exec, exec, s[6:7]
                                        ; implicit-def: $vgpr2
.LBB15_383:
	s_andn2_saveexec_b64 s[2:3], s[2:3]
; %bb.384:
	s_mov_b32 s6, 0x7f800000
	v_mov_b32_e32 v0, 0x7e
	v_mov_b32_e32 v5, 0x7f
	v_cmp_lt_u32_e32 vcc, s6, v2
	v_cndmask_b32_e32 v0, v0, v5, vcc
; %bb.385:
	s_or_b64 exec, exec, s[2:3]
	v_lshrrev_b32_e32 v2, 24, v1
	s_movk_i32 s2, 0x80
	v_and_or_b32 v0, v2, s2, v0
	global_store_byte v[3:4], v0, off
.LBB15_386:
	s_mov_b64 s[2:3], 0
.LBB15_387:
	s_andn2_b64 vcc, exec, s[2:3]
	s_cbranch_vccnz .LBB15_397
; %bb.388:
	v_and_b32_e32 v2, 0x7fffffff, v1
	s_mov_b32 s2, 0x47800000
	v_cmp_gt_u32_e32 vcc, s2, v2
                                        ; implicit-def: $vgpr0
	s_and_saveexec_b64 s[2:3], vcc
	s_xor_b64 s[2:3], exec, s[2:3]
	s_cbranch_execz .LBB15_394
; %bb.389:
	s_mov_b32 s6, 0x387fffff
	v_cmp_lt_u32_e32 vcc, s6, v2
                                        ; implicit-def: $vgpr0
	s_and_saveexec_b64 s[6:7], vcc
	s_xor_b64 s[6:7], exec, s[6:7]
; %bb.390:
	v_bfe_u32 v0, v1, 21, 1
	s_mov_b32 s10, 0x80fffff
	v_add3_u32 v0, v1, v0, s10
	v_lshrrev_b32_e32 v0, 21, v0
; %bb.391:
	s_andn2_saveexec_b64 s[6:7], s[6:7]
; %bb.392:
	s_mov_b32 s10, 0x43000000
	v_add_f32_e64 v0, |v1|, s10
; %bb.393:
	s_or_b64 exec, exec, s[6:7]
                                        ; implicit-def: $vgpr2
.LBB15_394:
	s_andn2_saveexec_b64 s[2:3], s[2:3]
; %bb.395:
	s_mov_b32 s6, 0x7f800000
	v_mov_b32_e32 v0, 0x7c
	v_mov_b32_e32 v5, 0x7f
	v_cmp_lt_u32_e32 vcc, s6, v2
	v_cndmask_b32_e32 v0, v0, v5, vcc
; %bb.396:
	s_or_b64 exec, exec, s[2:3]
	v_lshrrev_b32_e32 v2, 24, v1
	s_movk_i32 s2, 0x80
	v_and_or_b32 v0, v2, s2, v0
	global_store_byte v[3:4], v0, off
.LBB15_397:
	s_mov_b64 s[6:7], 0
	s_mov_b64 s[2:3], -1
.LBB15_398:
	s_andn2_b64 vcc, exec, s[6:7]
	s_cbranch_vccnz .LBB15_406
; %bb.399:
	s_cmp_gt_i32 s13, 14
	s_mov_b64 s[6:7], -1
	s_cbranch_scc0 .LBB15_403
; %bb.400:
	s_cmp_eq_u32 s13, 15
	s_mov_b64 s[0:1], -1
	s_cbranch_scc0 .LBB15_402
; %bb.401:
	v_bfe_u32 v0, v1, 16, 1
	s_movk_i32 s0, 0x7fff
	v_add3_u32 v0, v1, v0, s0
	v_cmp_o_f32_e32 vcc, v1, v1
	v_mov_b32_e32 v2, 0x7fc0
	v_cndmask_b32_sdwa v0, v2, v0, vcc dst_sel:DWORD dst_unused:UNUSED_PAD src0_sel:DWORD src1_sel:WORD_1
	global_store_short v[3:4], v0, off
	s_mov_b64 s[2:3], -1
	s_mov_b64 s[0:1], 0
.LBB15_402:
	s_mov_b64 s[6:7], 0
.LBB15_403:
	s_and_b64 vcc, exec, s[6:7]
	s_cbranch_vccz .LBB15_406
; %bb.404:
	s_cmp_eq_u32 s13, 11
	s_mov_b64 s[0:1], -1
	s_cbranch_scc0 .LBB15_406
; %bb.405:
	v_cmp_neq_f32_e32 vcc, 0, v1
	v_cndmask_b32_e64 v0, 0, 1, vcc
	s_mov_b64 s[2:3], -1
	s_mov_b64 s[0:1], 0
	global_store_byte v[3:4], v0, off
.LBB15_406:
	s_mov_b64 s[6:7], 0
.LBB15_407:
	s_and_b64 vcc, exec, s[6:7]
	s_cbranch_vccz .LBB15_446
; %bb.408:
	s_and_b32 s6, 0xffff, s12
	s_cmp_lt_i32 s6, 5
	s_mov_b64 s[2:3], -1
	s_cbranch_scc1 .LBB15_429
; %bb.409:
	s_cmp_lt_i32 s6, 8
	s_cbranch_scc1 .LBB15_419
; %bb.410:
	s_cmp_lt_i32 s6, 9
	s_cbranch_scc1 .LBB15_416
; %bb.411:
	s_cmp_gt_i32 s6, 9
	s_cbranch_scc0 .LBB15_413
; %bb.412:
	v_cvt_f64_f32_e32 v[9:10], v1
	v_mov_b32_e32 v11, 0
	v_mov_b32_e32 v12, v11
	s_mov_b64 s[2:3], 0
	global_store_dwordx4 v[3:4], v[9:12], off
.LBB15_413:
	s_andn2_b64 vcc, exec, s[2:3]
	s_cbranch_vccnz .LBB15_415
; %bb.414:
	v_mov_b32_e32 v2, 0
	global_store_dwordx2 v[3:4], v[1:2], off
.LBB15_415:
	s_mov_b64 s[2:3], 0
.LBB15_416:
	s_andn2_b64 vcc, exec, s[2:3]
	s_cbranch_vccnz .LBB15_418
; %bb.417:
	v_cvt_f16_f32_e32 v0, v1
	global_store_dword v[3:4], v0, off
.LBB15_418:
	s_mov_b64 s[2:3], 0
.LBB15_419:
	s_andn2_b64 vcc, exec, s[2:3]
	s_cbranch_vccnz .LBB15_428
; %bb.420:
	s_cmp_lt_i32 s6, 6
	s_mov_b64 s[2:3], -1
	s_cbranch_scc1 .LBB15_426
; %bb.421:
	s_cmp_gt_i32 s6, 6
	s_cbranch_scc0 .LBB15_423
; %bb.422:
	v_cvt_f64_f32_e32 v[5:6], v1
	s_mov_b64 s[2:3], 0
	global_store_dwordx2 v[3:4], v[5:6], off
.LBB15_423:
	s_andn2_b64 vcc, exec, s[2:3]
	s_cbranch_vccnz .LBB15_425
; %bb.424:
	global_store_dword v[3:4], v1, off
.LBB15_425:
	s_mov_b64 s[2:3], 0
.LBB15_426:
	s_andn2_b64 vcc, exec, s[2:3]
	s_cbranch_vccnz .LBB15_428
; %bb.427:
	v_cvt_f16_f32_e32 v0, v1
	global_store_short v[3:4], v0, off
.LBB15_428:
	s_mov_b64 s[2:3], 0
.LBB15_429:
	s_andn2_b64 vcc, exec, s[2:3]
	s_cbranch_vccnz .LBB15_445
; %bb.430:
	s_cmp_lt_i32 s6, 2
	s_mov_b64 s[2:3], -1
	s_cbranch_scc1 .LBB15_440
; %bb.431:
	s_cmp_lt_i32 s6, 3
	s_cbranch_scc1 .LBB15_437
; %bb.432:
	s_cmp_gt_i32 s6, 3
	s_cbranch_scc0 .LBB15_434
; %bb.433:
	v_trunc_f32_e32 v0, v1
	s_mov_b32 s2, 0x2f800000
	v_mul_f32_e64 v2, |v0|, s2
	v_floor_f32_e32 v2, v2
	s_mov_b32 s2, 0xcf800000
	v_cvt_u32_f32_e32 v5, v2
	v_fma_f32 v2, v2, s2, |v0|
	v_cvt_u32_f32_e32 v2, v2
	v_ashrrev_i32_e32 v0, 31, v0
	v_xor_b32_e32 v6, v5, v0
	s_mov_b64 s[2:3], 0
	v_xor_b32_e32 v2, v2, v0
	v_sub_co_u32_e32 v5, vcc, v2, v0
	v_subb_co_u32_e32 v6, vcc, v6, v0, vcc
	global_store_dwordx2 v[3:4], v[5:6], off
.LBB15_434:
	s_andn2_b64 vcc, exec, s[2:3]
	s_cbranch_vccnz .LBB15_436
; %bb.435:
	v_cvt_i32_f32_e32 v0, v1
	global_store_dword v[3:4], v0, off
.LBB15_436:
	s_mov_b64 s[2:3], 0
.LBB15_437:
	s_andn2_b64 vcc, exec, s[2:3]
	s_cbranch_vccnz .LBB15_439
; %bb.438:
	v_cvt_i32_f32_e32 v0, v1
	global_store_short v[3:4], v0, off
.LBB15_439:
	s_mov_b64 s[2:3], 0
.LBB15_440:
	s_andn2_b64 vcc, exec, s[2:3]
	s_cbranch_vccnz .LBB15_445
; %bb.441:
	s_cmp_gt_i32 s6, 0
	s_mov_b64 s[2:3], -1
	s_cbranch_scc0 .LBB15_443
; %bb.442:
	v_cvt_i32_f32_e32 v0, v1
	s_mov_b64 s[2:3], 0
	global_store_byte v[3:4], v0, off
.LBB15_443:
	s_andn2_b64 vcc, exec, s[2:3]
	s_cbranch_vccnz .LBB15_445
; %bb.444:
	v_trunc_f32_e32 v0, v1
	s_mov_b32 s2, 0x2f800000
	v_mul_f32_e64 v1, |v0|, s2
	v_floor_f32_e32 v1, v1
	s_mov_b32 s2, 0xcf800000
	v_fma_f32 v1, v1, s2, |v0|
	v_cvt_u32_f32_e32 v1, v1
	v_ashrrev_i32_e32 v0, 31, v0
	v_xor_b32_e32 v1, v1, v0
	v_sub_u32_e32 v0, v1, v0
	global_store_byte v[3:4], v0, off
.LBB15_445:
	s_mov_b64 s[2:3], -1
.LBB15_446:
	s_andn2_b64 vcc, exec, s[2:3]
	s_cbranch_vccnz .LBB15_448
; %bb.447:
	v_add_u32_e32 v8, 0x80, v8
	s_mov_b64 s[2:3], -1
	s_branch .LBB15_561
.LBB15_448:
	s_mov_b64 s[2:3], 0
	s_branch .LBB15_560
.LBB15_449:
	s_mov_b64 s[8:9], -1
                                        ; implicit-def: $vgpr3
.LBB15_450:
	s_mov_b64 s[2:3], 0
.LBB15_451:
	s_and_b64 vcc, exec, s[2:3]
	s_cbranch_vccz .LBB15_455
; %bb.452:
	s_cmp_eq_u32 s10, 29
	s_cbranch_scc0 .LBB15_454
; %bb.453:
	global_load_dwordx2 v[3:4], v[1:2], off
	s_mov_b64 s[0:1], -1
	s_mov_b64 s[8:9], 0
	s_mov_b64 s[2:3], 0
	s_waitcnt vmcnt(0)
	v_ffbh_u32_e32 v5, v4
	v_min_u32_e32 v5, 32, v5
	v_lshlrev_b64 v[3:4], v5, v[3:4]
	v_min_u32_e32 v3, 1, v3
	v_or_b32_e32 v3, v4, v3
	v_cvt_f32_u32_e32 v3, v3
	v_sub_u32_e32 v4, 32, v5
	v_ldexp_f32 v3, v3, v4
	s_branch .LBB15_456
.LBB15_454:
	s_mov_b64 s[8:9], -1
                                        ; implicit-def: $vgpr3
.LBB15_455:
	s_mov_b64 s[2:3], 0
.LBB15_456:
	s_and_b64 vcc, exec, s[2:3]
	s_cbranch_vccz .LBB15_474
; %bb.457:
	s_cmp_lt_i32 s10, 27
	s_cbranch_scc1 .LBB15_460
; %bb.458:
	s_cmp_gt_i32 s10, 27
	s_cbranch_scc0 .LBB15_461
; %bb.459:
	global_load_dword v3, v[1:2], off
	s_mov_b64 s[0:1], 0
	s_waitcnt vmcnt(0)
	v_cvt_f32_u32_e32 v3, v3
	s_branch .LBB15_462
.LBB15_460:
	s_mov_b64 s[0:1], -1
                                        ; implicit-def: $vgpr3
	s_branch .LBB15_465
.LBB15_461:
	s_mov_b64 s[0:1], -1
                                        ; implicit-def: $vgpr3
.LBB15_462:
	s_andn2_b64 vcc, exec, s[0:1]
	s_cbranch_vccnz .LBB15_464
; %bb.463:
	global_load_ushort v3, v[1:2], off
	s_waitcnt vmcnt(0)
	v_cvt_f32_u32_e32 v3, v3
.LBB15_464:
	s_mov_b64 s[0:1], 0
.LBB15_465:
	s_andn2_b64 vcc, exec, s[0:1]
	s_cbranch_vccnz .LBB15_473
; %bb.466:
	global_load_ubyte v4, v[1:2], off
	s_movk_i32 s0, 0x7f
	s_waitcnt vmcnt(0)
	v_cmp_lt_i16_e32 vcc, s0, v4
	s_mov_b64 s[0:1], 0
	s_and_saveexec_b64 s[2:3], vcc
	s_xor_b64 s[2:3], exec, s[2:3]
	s_cbranch_execz .LBB15_487
; %bb.467:
	s_movk_i32 s0, 0x80
	v_cmp_eq_u16_e32 vcc, s0, v4
	s_mov_b64 s[0:1], -1
	s_and_saveexec_b64 s[6:7], vcc
; %bb.468:
	s_xor_b64 s[0:1], exec, -1
; %bb.469:
	s_or_b64 exec, exec, s[6:7]
	s_and_b64 s[0:1], s[0:1], exec
	s_or_saveexec_b64 s[2:3], s[2:3]
	v_mov_b32_e32 v3, 0x7f800001
	s_xor_b64 exec, exec, s[2:3]
	s_cbranch_execnz .LBB15_488
.LBB15_470:
	s_or_b64 exec, exec, s[2:3]
	s_and_saveexec_b64 s[2:3], s[0:1]
	s_cbranch_execz .LBB15_472
.LBB15_471:
	v_lshlrev_b32_e32 v3, 24, v4
	v_and_b32_e32 v4, 0xffff, v4
	v_and_b32_e32 v5, 7, v4
	v_ffbh_u32_e32 v7, v5
	v_min_u32_e32 v7, 32, v7
	v_subrev_u32_e32 v9, 28, v7
	v_bfe_u32 v6, v4, 3, 4
	v_lshlrev_b32_e32 v4, v9, v4
	v_sub_u32_e32 v7, 29, v7
	v_and_b32_e32 v4, 7, v4
	v_cmp_eq_u32_e32 vcc, 0, v6
	v_cndmask_b32_e32 v6, v6, v7, vcc
	v_cndmask_b32_e32 v4, v5, v4, vcc
	v_mov_b32_e32 v5, 0x3b800000
	v_lshlrev_b32_e32 v4, 20, v4
	v_and_b32_e32 v3, 0x80000000, v3
	v_lshl_add_u32 v5, v6, 23, v5
	v_or3_b32 v3, v3, v5, v4
.LBB15_472:
	s_or_b64 exec, exec, s[2:3]
.LBB15_473:
	s_mov_b64 s[0:1], -1
.LBB15_474:
	s_mov_b64 s[2:3], 0
.LBB15_475:
	s_and_b64 vcc, exec, s[2:3]
	s_cbranch_vccz .LBB15_510
; %bb.476:
	s_cmp_gt_i32 s10, 22
	s_cbranch_scc0 .LBB15_486
; %bb.477:
	s_cmp_lt_i32 s10, 24
	s_cbranch_scc1 .LBB15_489
; %bb.478:
	s_cmp_gt_i32 s10, 24
	s_cbranch_scc0 .LBB15_490
; %bb.479:
	global_load_ubyte v4, v[1:2], off
	s_movk_i32 s0, 0x7f
	s_waitcnt vmcnt(0)
	v_cmp_lt_i16_e32 vcc, s0, v4
	s_mov_b64 s[0:1], 0
	s_and_saveexec_b64 s[2:3], vcc
	s_xor_b64 s[2:3], exec, s[2:3]
	s_cbranch_execz .LBB15_502
; %bb.480:
	s_movk_i32 s0, 0x80
	v_cmp_eq_u16_e32 vcc, s0, v4
	s_mov_b64 s[0:1], -1
	s_and_saveexec_b64 s[6:7], vcc
; %bb.481:
	s_xor_b64 s[0:1], exec, -1
; %bb.482:
	s_or_b64 exec, exec, s[6:7]
	s_and_b64 s[0:1], s[0:1], exec
	s_or_saveexec_b64 s[2:3], s[2:3]
	v_mov_b32_e32 v3, 0x7f800001
	s_xor_b64 exec, exec, s[2:3]
	s_cbranch_execnz .LBB15_503
.LBB15_483:
	s_or_b64 exec, exec, s[2:3]
	s_and_saveexec_b64 s[2:3], s[0:1]
	s_cbranch_execz .LBB15_485
.LBB15_484:
	v_lshlrev_b32_e32 v3, 24, v4
	v_and_b32_e32 v4, 0xffff, v4
	v_and_b32_e32 v5, 3, v4
	v_ffbh_u32_e32 v7, v5
	v_min_u32_e32 v7, 32, v7
	v_subrev_u32_e32 v9, 29, v7
	v_bfe_u32 v6, v4, 2, 5
	v_lshlrev_b32_e32 v4, v9, v4
	v_sub_u32_e32 v7, 30, v7
	v_and_b32_e32 v4, 3, v4
	v_cmp_eq_u32_e32 vcc, 0, v6
	v_cndmask_b32_e32 v6, v6, v7, vcc
	v_cndmask_b32_e32 v4, v5, v4, vcc
	v_mov_b32_e32 v5, 0x37800000
	v_lshlrev_b32_e32 v4, 21, v4
	v_and_b32_e32 v3, 0x80000000, v3
	v_lshl_add_u32 v5, v6, 23, v5
	v_or3_b32 v3, v3, v5, v4
.LBB15_485:
	s_or_b64 exec, exec, s[2:3]
	s_mov_b64 s[0:1], 0
	s_branch .LBB15_491
.LBB15_486:
	s_mov_b64 s[2:3], -1
                                        ; implicit-def: $vgpr3
	s_branch .LBB15_497
.LBB15_487:
	s_or_saveexec_b64 s[2:3], s[2:3]
	v_mov_b32_e32 v3, 0x7f800001
	s_xor_b64 exec, exec, s[2:3]
	s_cbranch_execz .LBB15_470
.LBB15_488:
	v_cmp_ne_u16_e32 vcc, 0, v4
	s_andn2_b64 s[0:1], s[0:1], exec
	s_and_b64 s[6:7], vcc, exec
	v_mov_b32_e32 v3, 0
	s_or_b64 s[0:1], s[0:1], s[6:7]
	s_or_b64 exec, exec, s[2:3]
	s_and_saveexec_b64 s[2:3], s[0:1]
	s_cbranch_execnz .LBB15_471
	s_branch .LBB15_472
.LBB15_489:
	s_mov_b64 s[0:1], -1
                                        ; implicit-def: $vgpr3
	s_branch .LBB15_494
.LBB15_490:
	s_mov_b64 s[0:1], -1
                                        ; implicit-def: $vgpr3
.LBB15_491:
	s_and_b64 vcc, exec, s[0:1]
	s_cbranch_vccz .LBB15_493
; %bb.492:
	global_load_ubyte v3, v[1:2], off
	s_mov_b32 s0, 0x7f800000
	s_waitcnt vmcnt(0)
	v_lshlrev_b32_e32 v3, 24, v3
	v_and_b32_e32 v4, 0x7f000000, v3
	v_ffbh_u32_e32 v5, v4
	v_min_u32_e32 v5, 32, v5
	v_sub_u32_e64 v5, v5, 4 clamp
	v_lshlrev_b32_e32 v7, v5, v4
	v_lshlrev_b32_e32 v5, 23, v5
	v_lshrrev_b32_e32 v7, 4, v7
	v_add_u32_e32 v6, 0x1000000, v4
	v_sub_u32_e32 v5, v7, v5
	v_ashrrev_i32_e32 v6, 8, v6
	v_add_u32_e32 v5, 0x3c000000, v5
	v_and_or_b32 v5, v6, s0, v5
	v_cmp_ne_u32_e32 vcc, 0, v4
	v_cndmask_b32_e32 v4, 0, v5, vcc
	s_brev_b32 s0, 1
	v_and_or_b32 v3, v3, s0, v4
.LBB15_493:
	s_mov_b64 s[0:1], 0
.LBB15_494:
	s_andn2_b64 vcc, exec, s[0:1]
	s_cbranch_vccnz .LBB15_496
; %bb.495:
	global_load_ubyte v3, v[1:2], off
	s_movk_i32 s0, 0x7f00
	s_brev_b32 s1, 16
	s_waitcnt vmcnt(0)
	v_lshlrev_b16_e32 v4, 8, v3
	v_lshlrev_b32_e32 v3, 25, v3
	v_lshrrev_b32_e32 v5, 4, v3
	v_and_or_b32 v6, v4, s0, 0.5
	v_or_b32_e32 v5, 0x70000000, v5
	v_add_f32_e32 v6, -0.5, v6
	v_mul_f32_e32 v5, 0x7800000, v5
	v_cmp_gt_u32_e32 vcc, s1, v3
	v_bfe_i32 v4, v4, 0, 16
	v_cndmask_b32_e32 v3, v5, v6, vcc
	s_brev_b32 s0, 1
	v_and_or_b32 v3, v4, s0, v3
.LBB15_496:
	s_mov_b64 s[2:3], 0
	s_mov_b64 s[0:1], -1
.LBB15_497:
	s_andn2_b64 vcc, exec, s[2:3]
	s_cbranch_vccnz .LBB15_510
; %bb.498:
	s_cmp_gt_i32 s10, 14
	s_cbranch_scc0 .LBB15_501
; %bb.499:
	s_cmp_eq_u32 s10, 15
	s_cbranch_scc0 .LBB15_504
; %bb.500:
	global_load_ushort v3, v[1:2], off
	s_mov_b64 s[0:1], -1
	s_mov_b64 s[8:9], 0
	s_waitcnt vmcnt(0)
	v_lshlrev_b32_e32 v3, 16, v3
	s_branch .LBB15_505
.LBB15_501:
	s_mov_b64 s[2:3], -1
                                        ; implicit-def: $vgpr3
	s_branch .LBB15_506
.LBB15_502:
	s_or_saveexec_b64 s[2:3], s[2:3]
	v_mov_b32_e32 v3, 0x7f800001
	s_xor_b64 exec, exec, s[2:3]
	s_cbranch_execz .LBB15_483
.LBB15_503:
	v_cmp_ne_u16_e32 vcc, 0, v4
	s_andn2_b64 s[0:1], s[0:1], exec
	s_and_b64 s[6:7], vcc, exec
	v_mov_b32_e32 v3, 0
	s_or_b64 s[0:1], s[0:1], s[6:7]
	s_or_b64 exec, exec, s[2:3]
	s_and_saveexec_b64 s[2:3], s[0:1]
	s_cbranch_execnz .LBB15_484
	s_branch .LBB15_485
.LBB15_504:
	s_mov_b64 s[8:9], -1
                                        ; implicit-def: $vgpr3
.LBB15_505:
	s_mov_b64 s[2:3], 0
.LBB15_506:
	s_and_b64 vcc, exec, s[2:3]
	s_cbranch_vccz .LBB15_510
; %bb.507:
	s_cmp_eq_u32 s10, 11
	s_cbranch_scc0 .LBB15_509
; %bb.508:
	global_load_ubyte v3, v[1:2], off
	s_mov_b64 s[0:1], -1
	s_mov_b64 s[8:9], 0
	s_waitcnt vmcnt(0)
	v_cmp_ne_u16_e32 vcc, 0, v3
	v_cndmask_b32_e64 v3, 0, 1.0, vcc
	s_branch .LBB15_510
.LBB15_509:
	s_mov_b64 s[8:9], -1
                                        ; implicit-def: $vgpr3
.LBB15_510:
	s_branch .LBB15_303
.LBB15_511:
	s_cmp_lt_i32 s10, 5
	s_cbranch_scc1 .LBB15_516
; %bb.512:
	s_cmp_lt_i32 s10, 8
	s_cbranch_scc1 .LBB15_517
; %bb.513:
	;; [unrolled: 3-line block ×3, first 2 shown]
	s_cmp_gt_i32 s10, 9
	s_cbranch_scc0 .LBB15_519
; %bb.515:
	global_load_dwordx2 v[3:4], v[1:2], off
	s_mov_b64 s[0:1], 0
	s_waitcnt vmcnt(0)
	v_cvt_f32_f64_e32 v3, v[3:4]
	s_branch .LBB15_520
.LBB15_516:
	s_mov_b64 s[0:1], -1
                                        ; implicit-def: $vgpr3
	s_branch .LBB15_538
.LBB15_517:
	s_mov_b64 s[0:1], -1
                                        ; implicit-def: $vgpr3
	s_branch .LBB15_526
.LBB15_518:
	s_mov_b64 s[0:1], -1
                                        ; implicit-def: $vgpr3
	s_branch .LBB15_523
.LBB15_519:
	s_mov_b64 s[0:1], -1
                                        ; implicit-def: $vgpr3
.LBB15_520:
	s_andn2_b64 vcc, exec, s[0:1]
	s_cbranch_vccnz .LBB15_522
; %bb.521:
	global_load_dword v3, v[1:2], off
.LBB15_522:
	s_mov_b64 s[0:1], 0
.LBB15_523:
	s_andn2_b64 vcc, exec, s[0:1]
	s_cbranch_vccnz .LBB15_525
; %bb.524:
	global_load_dword v3, v[1:2], off
	s_waitcnt vmcnt(0)
	v_cvt_f32_f16_e32 v3, v3
.LBB15_525:
	s_mov_b64 s[0:1], 0
.LBB15_526:
	s_andn2_b64 vcc, exec, s[0:1]
	s_cbranch_vccnz .LBB15_537
; %bb.527:
	s_cmp_lt_i32 s10, 6
	s_cbranch_scc1 .LBB15_530
; %bb.528:
	s_cmp_gt_i32 s10, 6
	s_cbranch_scc0 .LBB15_531
; %bb.529:
	global_load_dwordx2 v[3:4], v[1:2], off
	s_mov_b64 s[0:1], 0
	s_waitcnt vmcnt(0)
	v_cvt_f32_f64_e32 v3, v[3:4]
	s_branch .LBB15_532
.LBB15_530:
	s_mov_b64 s[0:1], -1
                                        ; implicit-def: $vgpr3
	s_branch .LBB15_535
.LBB15_531:
	s_mov_b64 s[0:1], -1
                                        ; implicit-def: $vgpr3
.LBB15_532:
	s_andn2_b64 vcc, exec, s[0:1]
	s_cbranch_vccnz .LBB15_534
; %bb.533:
	global_load_dword v3, v[1:2], off
.LBB15_534:
	s_mov_b64 s[0:1], 0
.LBB15_535:
	s_andn2_b64 vcc, exec, s[0:1]
	s_cbranch_vccnz .LBB15_537
; %bb.536:
	global_load_ushort v3, v[1:2], off
	s_waitcnt vmcnt(0)
	v_cvt_f32_f16_e32 v3, v3
.LBB15_537:
	s_mov_b64 s[0:1], 0
.LBB15_538:
	s_andn2_b64 vcc, exec, s[0:1]
	s_cbranch_vccnz .LBB15_558
; %bb.539:
	s_cmp_lt_i32 s10, 2
	s_cbranch_scc1 .LBB15_543
; %bb.540:
	s_cmp_lt_i32 s10, 3
	s_cbranch_scc1 .LBB15_544
; %bb.541:
	s_cmp_gt_i32 s10, 3
	s_cbranch_scc0 .LBB15_545
; %bb.542:
	global_load_dwordx2 v[3:4], v[1:2], off
	s_mov_b64 s[0:1], 0
	s_waitcnt vmcnt(0)
	v_xor_b32_e32 v6, v3, v4
	v_ffbh_i32_e32 v5, v4
	v_ashrrev_i32_e32 v6, 31, v6
	v_add_u32_e32 v5, -1, v5
	v_add_u32_e32 v6, 32, v6
	v_min_u32_e32 v5, v5, v6
	v_lshlrev_b64 v[3:4], v5, v[3:4]
	v_min_u32_e32 v3, 1, v3
	v_or_b32_e32 v3, v4, v3
	v_cvt_f32_i32_e32 v3, v3
	v_sub_u32_e32 v4, 32, v5
	v_ldexp_f32 v3, v3, v4
	s_branch .LBB15_546
.LBB15_543:
	s_mov_b64 s[0:1], -1
                                        ; implicit-def: $vgpr3
	s_branch .LBB15_552
.LBB15_544:
	s_mov_b64 s[0:1], -1
                                        ; implicit-def: $vgpr3
	s_branch .LBB15_549
.LBB15_545:
	s_mov_b64 s[0:1], -1
                                        ; implicit-def: $vgpr3
.LBB15_546:
	s_andn2_b64 vcc, exec, s[0:1]
	s_cbranch_vccnz .LBB15_548
; %bb.547:
	global_load_dword v3, v[1:2], off
	s_waitcnt vmcnt(0)
	v_cvt_f32_i32_e32 v3, v3
.LBB15_548:
	s_mov_b64 s[0:1], 0
.LBB15_549:
	s_andn2_b64 vcc, exec, s[0:1]
	s_cbranch_vccnz .LBB15_551
; %bb.550:
	global_load_sshort v3, v[1:2], off
	s_waitcnt vmcnt(0)
	v_cvt_f32_i32_e32 v3, v3
.LBB15_551:
	s_mov_b64 s[0:1], 0
.LBB15_552:
	s_andn2_b64 vcc, exec, s[0:1]
	s_cbranch_vccnz .LBB15_558
; %bb.553:
	s_cmp_gt_i32 s10, 0
	s_cbranch_scc0 .LBB15_555
; %bb.554:
	global_load_sbyte v3, v[1:2], off
	s_mov_b64 s[0:1], 0
	s_waitcnt vmcnt(0)
	v_cvt_f32_i32_e32 v3, v3
	s_branch .LBB15_556
.LBB15_555:
	s_mov_b64 s[0:1], -1
                                        ; implicit-def: $vgpr3
.LBB15_556:
	s_andn2_b64 vcc, exec, s[0:1]
	s_cbranch_vccnz .LBB15_558
; %bb.557:
	global_load_ubyte v1, v[1:2], off
	s_waitcnt vmcnt(0)
	v_cvt_f32_ubyte0_e32 v3, v1
.LBB15_558:
	s_branch .LBB15_304
.LBB15_559:
	s_mov_b64 s[2:3], 0
	s_mov_b64 s[0:1], s[54:55]
.LBB15_560:
                                        ; implicit-def: $vgpr8
.LBB15_561:
	s_andn2_b64 s[6:7], s[54:55], exec
	s_and_b64 s[0:1], s[0:1], exec
	s_or_b64 s[62:63], s[6:7], s[0:1]
	s_andn2_b64 s[0:1], s[56:57], exec
	s_and_b64 s[6:7], s[8:9], exec
	s_or_b64 s[60:61], s[0:1], s[6:7]
	s_orn2_b64 s[0:1], s[2:3], exec
.LBB15_562:
	s_or_b64 exec, exec, s[64:65]
	s_mov_b64 s[2:3], 0
	s_mov_b64 s[8:9], 0
	;; [unrolled: 1-line block ×3, first 2 shown]
                                        ; implicit-def: $vgpr1_vgpr2
                                        ; implicit-def: $vgpr0
                                        ; implicit-def: $vgpr5
	s_and_saveexec_b64 s[64:65], s[0:1]
	s_cbranch_execz .LBB15_947
; %bb.563:
	v_cmp_gt_i32_e32 vcc, s70, v8
	s_mov_b64 s[2:3], -1
	s_mov_b64 s[6:7], s[60:61]
	s_mov_b64 s[68:69], s[62:63]
	s_and_saveexec_b64 s[66:67], vcc
	s_cbranch_execz .LBB15_847
; %bb.564:
	s_andn2_b64 vcc, exec, s[42:43]
	s_cbranch_vccnz .LBB15_569
; %bb.565:
	s_andn2_b64 vcc, exec, s[52:53]
	s_cbranch_vccnz .LBB15_570
; %bb.566:
	s_add_i32 s76, s75, 1
	s_cmp_eq_u32 s72, 2
	s_cbranch_scc1 .LBB15_571
; %bb.567:
	s_and_b32 s71, s76, 28
	v_mov_b32_e32 v2, 0
	s_mov_b32 s77, 0
	s_mov_b64 s[6:7], s[34:35]
	s_mov_b64 s[68:69], s[50:51]
	v_mov_b32_e32 v0, 0
	v_mov_b32_e32 v1, v8
.LBB15_568:                             ; =>This Inner Loop Header: Depth=1
	s_load_dwordx8 s[16:23], s[6:7], 0x4
	s_load_dwordx4 s[0:3], s[6:7], 0x24
	s_load_dwordx8 s[8:15], s[68:69], 0x0
	s_add_u32 s6, s6, 48
	s_addc_u32 s7, s7, 0
	s_waitcnt vmcnt(0) lgkmcnt(0)
	v_mul_hi_u32 v3, s17, v1
	s_add_i32 s77, s77, 4
	s_add_u32 s68, s68, 32
	s_addc_u32 s69, s69, 0
	v_add_u32_e32 v3, v1, v3
	v_lshrrev_b32_e32 v3, s18, v3
	v_mul_lo_u32 v4, v3, s16
	v_mul_hi_u32 v5, s20, v3
	s_cmp_eq_u32 s71, s77
	v_sub_u32_e32 v1, v1, v4
	v_add_u32_e32 v4, v3, v5
	v_mul_lo_u32 v5, v1, s8
	v_mul_lo_u32 v6, v1, s9
	v_lshrrev_b32_e32 v1, s21, v4
	v_mul_lo_u32 v4, v1, s19
	v_mul_hi_u32 v7, s23, v1
	v_sub_u32_e32 v3, v3, v4
	v_add_u32_e32 v4, v1, v7
	v_lshrrev_b32_e32 v4, s0, v4
	v_mul_hi_u32 v9, s2, v4
	v_mul_lo_u32 v10, v4, s22
	v_mul_lo_u32 v7, v3, s10
	;; [unrolled: 1-line block ×3, first 2 shown]
	v_sub_u32_e32 v10, v1, v10
	v_add_u32_e32 v1, v4, v9
	v_lshrrev_b32_e32 v1, s3, v1
	v_mul_lo_u32 v9, v1, s1
	v_mul_lo_u32 v11, v10, s12
	;; [unrolled: 1-line block ×3, first 2 shown]
	v_add3_u32 v0, v5, v0, v7
	v_sub_u32_e32 v4, v4, v9
	v_mul_lo_u32 v9, v4, s14
	v_mul_lo_u32 v4, v4, s15
	v_add3_u32 v2, v6, v2, v3
	v_add3_u32 v0, v11, v0, v9
	;; [unrolled: 1-line block ×3, first 2 shown]
	s_cbranch_scc0 .LBB15_568
	s_branch .LBB15_572
.LBB15_569:
	s_mov_b64 s[0:1], -1
                                        ; implicit-def: $vgpr0
                                        ; implicit-def: $vgpr2
	s_branch .LBB15_576
.LBB15_570:
	v_mov_b32_e32 v0, 0
	v_mov_b32_e32 v2, 0
	s_branch .LBB15_575
.LBB15_571:
	s_mov_b32 s71, 0
	v_mov_b32_e32 v0, 0
	v_mov_b32_e32 v2, 0
	;; [unrolled: 1-line block ×3, first 2 shown]
.LBB15_572:
	s_and_b32 s6, s76, 3
	s_cmp_eq_u32 s6, 0
	s_cbranch_scc1 .LBB15_575
; %bb.573:
	s_lshl_b32 s0, s71, 3
	s_add_u32 s0, s34, s0
	s_addc_u32 s1, s35, 0
	s_add_u32 s0, s0, 0xc4
	s_addc_u32 s1, s1, 0
	s_mul_i32 s2, s71, 12
	s_add_u32 s2, s34, s2
	s_addc_u32 s3, s35, 0
.LBB15_574:                             ; =>This Inner Loop Header: Depth=1
	s_load_dwordx2 s[8:9], s[2:3], 0x4
	s_load_dword s7, s[2:3], 0xc
	s_load_dwordx2 s[10:11], s[0:1], 0x0
	s_add_u32 s2, s2, 12
	s_addc_u32 s3, s3, 0
	s_waitcnt vmcnt(0) lgkmcnt(0)
	v_mul_hi_u32 v3, s9, v1
	s_add_u32 s0, s0, 8
	s_addc_u32 s1, s1, 0
	s_add_i32 s6, s6, -1
	v_add_u32_e32 v3, v1, v3
	v_lshrrev_b32_e32 v4, s7, v3
	v_mul_lo_u32 v3, v4, s8
	s_cmp_lg_u32 s6, 0
	v_sub_u32_e32 v3, v1, v3
	v_mad_u64_u32 v[0:1], s[8:9], v3, s10, v[0:1]
	v_mad_u64_u32 v[2:3], s[8:9], v3, s11, v[2:3]
	v_mov_b32_e32 v1, v4
	s_cbranch_scc1 .LBB15_574
.LBB15_575:
	s_mov_b64 s[0:1], 0
.LBB15_576:
	s_andn2_b64 vcc, exec, s[0:1]
	s_cbranch_vccnz .LBB15_579
; %bb.577:
	s_waitcnt lgkmcnt(0)
	v_mul_hi_u32 v0, s37, v8
	s_andn2_b64 vcc, exec, s[48:49]
	v_add_u32_e32 v0, v8, v0
	v_lshrrev_b32_e32 v1, s38, v0
	v_mul_lo_u32 v0, v1, s36
	v_sub_u32_e32 v2, v8, v0
	v_mul_lo_u32 v0, v2, s28
	v_mul_lo_u32 v2, v2, s29
	s_cbranch_vccnz .LBB15_579
; %bb.578:
	s_waitcnt vmcnt(0)
	v_mul_hi_u32 v3, s46, v1
	v_add_u32_e32 v3, v1, v3
	v_lshrrev_b32_e32 v3, s47, v3
	v_mul_lo_u32 v3, v3, s39
	v_sub_u32_e32 v3, v1, v3
	v_mad_u64_u32 v[0:1], s[0:1], v3, s30, v[0:1]
	v_mad_u64_u32 v[2:3], s[0:1], v3, s31, v[2:3]
.LBB15_579:
	s_waitcnt vmcnt(0) lgkmcnt(0)
	v_mov_b32_e32 v3, s27
	s_and_b32 s10, 0xffff, s74
	v_add_co_u32_e32 v1, vcc, s26, v2
	s_cmp_lt_i32 s10, 11
	v_addc_co_u32_e32 v2, vcc, 0, v3, vcc
	s_cbranch_scc1 .LBB15_586
; %bb.580:
	s_cmp_gt_i32 s10, 25
	s_cbranch_scc0 .LBB15_587
; %bb.581:
	s_cmp_gt_i32 s10, 28
	s_cbranch_scc0 .LBB15_588
	;; [unrolled: 3-line block ×4, first 2 shown]
; %bb.584:
	s_cmp_eq_u32 s10, 46
	s_mov_b64 s[2:3], 0
	s_cbranch_scc0 .LBB15_595
; %bb.585:
	global_load_dword v3, v[1:2], off
	s_mov_b64 s[0:1], -1
	s_mov_b64 s[8:9], 0
	s_waitcnt vmcnt(0)
	v_lshlrev_b32_e32 v3, 16, v3
	s_branch .LBB15_596
.LBB15_586:
	s_mov_b64 s[2:3], -1
	s_mov_b64 s[0:1], 0
                                        ; implicit-def: $vgpr3
	s_mov_b64 s[8:9], s[60:61]
	s_branch .LBB15_661
.LBB15_587:
	s_mov_b64 s[2:3], -1
	s_mov_b64 s[0:1], 0
	s_mov_b64 s[8:9], s[60:61]
                                        ; implicit-def: $vgpr3
	s_branch .LBB15_625
.LBB15_588:
	s_mov_b64 s[2:3], -1
	s_mov_b64 s[0:1], 0
	s_mov_b64 s[8:9], s[60:61]
                                        ; implicit-def: $vgpr3
	s_branch .LBB15_606
.LBB15_589:
	s_mov_b64 s[2:3], -1
	s_mov_b64 s[0:1], 0
	s_mov_b64 s[8:9], s[60:61]
                                        ; implicit-def: $vgpr3
	s_branch .LBB15_601
.LBB15_590:
	s_andn2_saveexec_b64 s[10:11], s[10:11]
	s_cbranch_execz .LBB15_359
.LBB15_591:
	s_mov_b32 s14, 0x46000000
	v_add_f32_e64 v0, |v1|, s14
	v_and_b32_e32 v0, 0xff, v0
	v_cmp_ne_u32_e32 vcc, 0, v0
	s_andn2_b64 s[6:7], s[6:7], exec
	s_and_b64 s[14:15], vcc, exec
	s_or_b64 s[6:7], s[6:7], s[14:15]
	s_or_b64 exec, exec, s[10:11]
	v_mov_b32_e32 v2, 0
	s_and_saveexec_b64 s[10:11], s[6:7]
	s_cbranch_execnz .LBB15_360
	s_branch .LBB15_361
.LBB15_592:
	s_mov_b64 s[2:3], -1
	s_mov_b64 s[0:1], 0
	s_mov_b64 s[8:9], s[60:61]
                                        ; implicit-def: $vgpr3
	s_branch .LBB15_596
.LBB15_593:
	s_andn2_saveexec_b64 s[10:11], s[10:11]
	s_cbranch_execz .LBB15_372
.LBB15_594:
	s_mov_b32 s14, 0x42800000
	v_add_f32_e64 v0, |v1|, s14
	v_and_b32_e32 v0, 0xff, v0
	v_cmp_ne_u32_e32 vcc, 0, v0
	s_andn2_b64 s[6:7], s[6:7], exec
	s_and_b64 s[14:15], vcc, exec
	s_or_b64 s[6:7], s[6:7], s[14:15]
	s_or_b64 exec, exec, s[10:11]
	v_mov_b32_e32 v2, 0
	s_and_saveexec_b64 s[10:11], s[6:7]
	s_cbranch_execnz .LBB15_373
	s_branch .LBB15_374
.LBB15_595:
	s_mov_b64 s[8:9], -1
                                        ; implicit-def: $vgpr3
	s_mov_b64 s[0:1], 0
.LBB15_596:
	s_and_b64 vcc, exec, s[2:3]
	s_cbranch_vccz .LBB15_600
; %bb.597:
	s_cmp_eq_u32 s10, 44
	s_cbranch_scc0 .LBB15_599
; %bb.598:
	global_load_ubyte v3, v[1:2], off
	s_movk_i32 s2, 0xff
	v_mov_b32_e32 v4, 0x7f800001
	v_mov_b32_e32 v5, 0x400000
	s_mov_b64 s[0:1], -1
	s_mov_b64 s[8:9], 0
	s_waitcnt vmcnt(0)
	v_lshlrev_b32_e32 v6, 23, v3
	v_cmp_ne_u32_e32 vcc, s2, v3
	v_cndmask_b32_e32 v4, v4, v6, vcc
	v_cmp_ne_u32_e32 vcc, 0, v3
	v_cndmask_b32_e32 v3, v5, v4, vcc
	s_branch .LBB15_600
.LBB15_599:
	s_mov_b64 s[8:9], -1
                                        ; implicit-def: $vgpr3
.LBB15_600:
	s_mov_b64 s[2:3], 0
.LBB15_601:
	s_and_b64 vcc, exec, s[2:3]
	s_cbranch_vccz .LBB15_605
; %bb.602:
	s_cmp_eq_u32 s10, 29
	s_cbranch_scc0 .LBB15_604
; %bb.603:
	global_load_dwordx2 v[3:4], v[1:2], off
	s_mov_b64 s[0:1], -1
	s_mov_b64 s[8:9], 0
	s_mov_b64 s[2:3], 0
	s_waitcnt vmcnt(0)
	v_ffbh_u32_e32 v5, v4
	v_min_u32_e32 v5, 32, v5
	v_lshlrev_b64 v[3:4], v5, v[3:4]
	v_min_u32_e32 v3, 1, v3
	v_or_b32_e32 v3, v4, v3
	v_cvt_f32_u32_e32 v3, v3
	v_sub_u32_e32 v4, 32, v5
	v_ldexp_f32 v3, v3, v4
	s_branch .LBB15_606
.LBB15_604:
	s_mov_b64 s[8:9], -1
                                        ; implicit-def: $vgpr3
.LBB15_605:
	s_mov_b64 s[2:3], 0
.LBB15_606:
	s_and_b64 vcc, exec, s[2:3]
	s_cbranch_vccz .LBB15_624
; %bb.607:
	s_cmp_lt_i32 s10, 27
	s_cbranch_scc1 .LBB15_610
; %bb.608:
	s_cmp_gt_i32 s10, 27
	s_cbranch_scc0 .LBB15_611
; %bb.609:
	global_load_dword v3, v[1:2], off
	s_mov_b64 s[0:1], 0
	s_waitcnt vmcnt(0)
	v_cvt_f32_u32_e32 v3, v3
	s_branch .LBB15_612
.LBB15_610:
	s_mov_b64 s[0:1], -1
                                        ; implicit-def: $vgpr3
	s_branch .LBB15_615
.LBB15_611:
	s_mov_b64 s[0:1], -1
                                        ; implicit-def: $vgpr3
.LBB15_612:
	s_andn2_b64 vcc, exec, s[0:1]
	s_cbranch_vccnz .LBB15_614
; %bb.613:
	global_load_ushort v3, v[1:2], off
	s_waitcnt vmcnt(0)
	v_cvt_f32_u32_e32 v3, v3
.LBB15_614:
	s_mov_b64 s[0:1], 0
.LBB15_615:
	s_andn2_b64 vcc, exec, s[0:1]
	s_cbranch_vccnz .LBB15_623
; %bb.616:
	global_load_ubyte v4, v[1:2], off
	s_movk_i32 s0, 0x7f
	s_waitcnt vmcnt(0)
	v_cmp_lt_i16_e32 vcc, s0, v4
	s_mov_b64 s[0:1], 0
	s_and_saveexec_b64 s[2:3], vcc
	s_xor_b64 s[2:3], exec, s[2:3]
	s_cbranch_execz .LBB15_637
; %bb.617:
	s_movk_i32 s0, 0x80
	v_cmp_eq_u16_e32 vcc, s0, v4
	s_mov_b64 s[0:1], -1
	s_and_saveexec_b64 s[6:7], vcc
; %bb.618:
	s_xor_b64 s[0:1], exec, -1
; %bb.619:
	s_or_b64 exec, exec, s[6:7]
	s_and_b64 s[0:1], s[0:1], exec
	s_or_saveexec_b64 s[2:3], s[2:3]
	v_mov_b32_e32 v3, 0x7f800001
	s_xor_b64 exec, exec, s[2:3]
	s_cbranch_execnz .LBB15_638
.LBB15_620:
	s_or_b64 exec, exec, s[2:3]
	s_and_saveexec_b64 s[2:3], s[0:1]
	s_cbranch_execz .LBB15_622
.LBB15_621:
	v_lshlrev_b32_e32 v3, 24, v4
	v_and_b32_e32 v4, 0xffff, v4
	v_and_b32_e32 v5, 7, v4
	v_ffbh_u32_e32 v7, v5
	v_min_u32_e32 v7, 32, v7
	v_subrev_u32_e32 v9, 28, v7
	v_bfe_u32 v6, v4, 3, 4
	v_lshlrev_b32_e32 v4, v9, v4
	v_sub_u32_e32 v7, 29, v7
	v_and_b32_e32 v4, 7, v4
	v_cmp_eq_u32_e32 vcc, 0, v6
	v_cndmask_b32_e32 v6, v6, v7, vcc
	v_cndmask_b32_e32 v4, v5, v4, vcc
	v_mov_b32_e32 v5, 0x3b800000
	v_lshlrev_b32_e32 v4, 20, v4
	v_and_b32_e32 v3, 0x80000000, v3
	v_lshl_add_u32 v5, v6, 23, v5
	v_or3_b32 v3, v3, v5, v4
.LBB15_622:
	s_or_b64 exec, exec, s[2:3]
.LBB15_623:
	s_mov_b64 s[0:1], -1
.LBB15_624:
	s_mov_b64 s[2:3], 0
.LBB15_625:
	s_and_b64 vcc, exec, s[2:3]
	s_cbranch_vccz .LBB15_660
; %bb.626:
	s_cmp_gt_i32 s10, 22
	s_cbranch_scc0 .LBB15_636
; %bb.627:
	s_cmp_lt_i32 s10, 24
	s_cbranch_scc1 .LBB15_639
; %bb.628:
	s_cmp_gt_i32 s10, 24
	s_cbranch_scc0 .LBB15_640
; %bb.629:
	global_load_ubyte v4, v[1:2], off
	s_movk_i32 s0, 0x7f
	s_waitcnt vmcnt(0)
	v_cmp_lt_i16_e32 vcc, s0, v4
	s_mov_b64 s[0:1], 0
	s_and_saveexec_b64 s[2:3], vcc
	s_xor_b64 s[2:3], exec, s[2:3]
	s_cbranch_execz .LBB15_652
; %bb.630:
	s_movk_i32 s0, 0x80
	v_cmp_eq_u16_e32 vcc, s0, v4
	s_mov_b64 s[0:1], -1
	s_and_saveexec_b64 s[6:7], vcc
; %bb.631:
	s_xor_b64 s[0:1], exec, -1
; %bb.632:
	s_or_b64 exec, exec, s[6:7]
	s_and_b64 s[0:1], s[0:1], exec
	s_or_saveexec_b64 s[2:3], s[2:3]
	v_mov_b32_e32 v3, 0x7f800001
	s_xor_b64 exec, exec, s[2:3]
	s_cbranch_execnz .LBB15_653
.LBB15_633:
	s_or_b64 exec, exec, s[2:3]
	s_and_saveexec_b64 s[2:3], s[0:1]
	s_cbranch_execz .LBB15_635
.LBB15_634:
	v_lshlrev_b32_e32 v3, 24, v4
	v_and_b32_e32 v4, 0xffff, v4
	v_and_b32_e32 v5, 3, v4
	v_ffbh_u32_e32 v7, v5
	v_min_u32_e32 v7, 32, v7
	v_subrev_u32_e32 v9, 29, v7
	v_bfe_u32 v6, v4, 2, 5
	v_lshlrev_b32_e32 v4, v9, v4
	v_sub_u32_e32 v7, 30, v7
	v_and_b32_e32 v4, 3, v4
	v_cmp_eq_u32_e32 vcc, 0, v6
	v_cndmask_b32_e32 v6, v6, v7, vcc
	v_cndmask_b32_e32 v4, v5, v4, vcc
	v_mov_b32_e32 v5, 0x37800000
	v_lshlrev_b32_e32 v4, 21, v4
	v_and_b32_e32 v3, 0x80000000, v3
	v_lshl_add_u32 v5, v6, 23, v5
	v_or3_b32 v3, v3, v5, v4
.LBB15_635:
	s_or_b64 exec, exec, s[2:3]
	s_mov_b64 s[0:1], 0
	s_branch .LBB15_641
.LBB15_636:
	s_mov_b64 s[2:3], -1
                                        ; implicit-def: $vgpr3
	s_branch .LBB15_647
.LBB15_637:
	s_or_saveexec_b64 s[2:3], s[2:3]
	v_mov_b32_e32 v3, 0x7f800001
	s_xor_b64 exec, exec, s[2:3]
	s_cbranch_execz .LBB15_620
.LBB15_638:
	v_cmp_ne_u16_e32 vcc, 0, v4
	s_andn2_b64 s[0:1], s[0:1], exec
	s_and_b64 s[6:7], vcc, exec
	v_mov_b32_e32 v3, 0
	s_or_b64 s[0:1], s[0:1], s[6:7]
	s_or_b64 exec, exec, s[2:3]
	s_and_saveexec_b64 s[2:3], s[0:1]
	s_cbranch_execnz .LBB15_621
	s_branch .LBB15_622
.LBB15_639:
	s_mov_b64 s[0:1], -1
                                        ; implicit-def: $vgpr3
	s_branch .LBB15_644
.LBB15_640:
	s_mov_b64 s[0:1], -1
                                        ; implicit-def: $vgpr3
.LBB15_641:
	s_and_b64 vcc, exec, s[0:1]
	s_cbranch_vccz .LBB15_643
; %bb.642:
	global_load_ubyte v3, v[1:2], off
	s_mov_b32 s0, 0x7f800000
	s_waitcnt vmcnt(0)
	v_lshlrev_b32_e32 v3, 24, v3
	v_and_b32_e32 v4, 0x7f000000, v3
	v_ffbh_u32_e32 v5, v4
	v_min_u32_e32 v5, 32, v5
	v_sub_u32_e64 v5, v5, 4 clamp
	v_lshlrev_b32_e32 v7, v5, v4
	v_lshlrev_b32_e32 v5, 23, v5
	v_lshrrev_b32_e32 v7, 4, v7
	v_add_u32_e32 v6, 0x1000000, v4
	v_sub_u32_e32 v5, v7, v5
	v_ashrrev_i32_e32 v6, 8, v6
	v_add_u32_e32 v5, 0x3c000000, v5
	v_and_or_b32 v5, v6, s0, v5
	v_cmp_ne_u32_e32 vcc, 0, v4
	v_cndmask_b32_e32 v4, 0, v5, vcc
	s_brev_b32 s0, 1
	v_and_or_b32 v3, v3, s0, v4
.LBB15_643:
	s_mov_b64 s[0:1], 0
.LBB15_644:
	s_andn2_b64 vcc, exec, s[0:1]
	s_cbranch_vccnz .LBB15_646
; %bb.645:
	global_load_ubyte v3, v[1:2], off
	s_movk_i32 s0, 0x7f00
	s_brev_b32 s1, 16
	s_waitcnt vmcnt(0)
	v_lshlrev_b16_e32 v4, 8, v3
	v_lshlrev_b32_e32 v3, 25, v3
	v_lshrrev_b32_e32 v5, 4, v3
	v_and_or_b32 v6, v4, s0, 0.5
	v_or_b32_e32 v5, 0x70000000, v5
	v_add_f32_e32 v6, -0.5, v6
	v_mul_f32_e32 v5, 0x7800000, v5
	v_cmp_gt_u32_e32 vcc, s1, v3
	v_bfe_i32 v4, v4, 0, 16
	v_cndmask_b32_e32 v3, v5, v6, vcc
	s_brev_b32 s0, 1
	v_and_or_b32 v3, v4, s0, v3
.LBB15_646:
	s_mov_b64 s[2:3], 0
	s_mov_b64 s[0:1], -1
.LBB15_647:
	s_andn2_b64 vcc, exec, s[2:3]
	s_cbranch_vccnz .LBB15_660
; %bb.648:
	s_cmp_gt_i32 s10, 14
	s_cbranch_scc0 .LBB15_651
; %bb.649:
	s_cmp_eq_u32 s10, 15
	s_cbranch_scc0 .LBB15_654
; %bb.650:
	global_load_ushort v3, v[1:2], off
	s_mov_b64 s[0:1], -1
	s_mov_b64 s[8:9], 0
	s_waitcnt vmcnt(0)
	v_lshlrev_b32_e32 v3, 16, v3
	s_branch .LBB15_655
.LBB15_651:
	s_mov_b64 s[2:3], -1
                                        ; implicit-def: $vgpr3
	s_branch .LBB15_656
.LBB15_652:
	s_or_saveexec_b64 s[2:3], s[2:3]
	v_mov_b32_e32 v3, 0x7f800001
	s_xor_b64 exec, exec, s[2:3]
	s_cbranch_execz .LBB15_633
.LBB15_653:
	v_cmp_ne_u16_e32 vcc, 0, v4
	s_andn2_b64 s[0:1], s[0:1], exec
	s_and_b64 s[6:7], vcc, exec
	v_mov_b32_e32 v3, 0
	s_or_b64 s[0:1], s[0:1], s[6:7]
	s_or_b64 exec, exec, s[2:3]
	s_and_saveexec_b64 s[2:3], s[0:1]
	s_cbranch_execnz .LBB15_634
	s_branch .LBB15_635
.LBB15_654:
	s_mov_b64 s[8:9], -1
                                        ; implicit-def: $vgpr3
.LBB15_655:
	s_mov_b64 s[2:3], 0
.LBB15_656:
	s_and_b64 vcc, exec, s[2:3]
	s_cbranch_vccz .LBB15_660
; %bb.657:
	s_cmp_eq_u32 s10, 11
	s_cbranch_scc0 .LBB15_659
; %bb.658:
	global_load_ubyte v3, v[1:2], off
	s_mov_b64 s[0:1], -1
	s_mov_b64 s[8:9], 0
	s_waitcnt vmcnt(0)
	v_cmp_ne_u16_e32 vcc, 0, v3
	v_cndmask_b32_e64 v3, 0, 1.0, vcc
	s_branch .LBB15_660
.LBB15_659:
	s_mov_b64 s[8:9], -1
                                        ; implicit-def: $vgpr3
.LBB15_660:
	s_mov_b64 s[2:3], 0
.LBB15_661:
	s_and_b64 vcc, exec, s[2:3]
	s_cbranch_vccz .LBB15_710
; %bb.662:
	s_cmp_lt_i32 s10, 5
	s_cbranch_scc1 .LBB15_667
; %bb.663:
	s_cmp_lt_i32 s10, 8
	s_cbranch_scc1 .LBB15_668
	;; [unrolled: 3-line block ×3, first 2 shown]
; %bb.665:
	s_cmp_gt_i32 s10, 9
	s_cbranch_scc0 .LBB15_670
; %bb.666:
	global_load_dwordx2 v[3:4], v[1:2], off
	s_mov_b64 s[0:1], 0
	s_waitcnt vmcnt(0)
	v_cvt_f32_f64_e32 v3, v[3:4]
	s_branch .LBB15_671
.LBB15_667:
	s_mov_b64 s[0:1], -1
                                        ; implicit-def: $vgpr3
	s_branch .LBB15_689
.LBB15_668:
	s_mov_b64 s[0:1], -1
                                        ; implicit-def: $vgpr3
	s_branch .LBB15_677
.LBB15_669:
	s_mov_b64 s[0:1], -1
                                        ; implicit-def: $vgpr3
	s_branch .LBB15_674
.LBB15_670:
	s_mov_b64 s[0:1], -1
                                        ; implicit-def: $vgpr3
.LBB15_671:
	s_andn2_b64 vcc, exec, s[0:1]
	s_cbranch_vccnz .LBB15_673
; %bb.672:
	global_load_dword v3, v[1:2], off
.LBB15_673:
	s_mov_b64 s[0:1], 0
.LBB15_674:
	s_andn2_b64 vcc, exec, s[0:1]
	s_cbranch_vccnz .LBB15_676
; %bb.675:
	global_load_dword v3, v[1:2], off
	s_waitcnt vmcnt(0)
	v_cvt_f32_f16_e32 v3, v3
.LBB15_676:
	s_mov_b64 s[0:1], 0
.LBB15_677:
	s_andn2_b64 vcc, exec, s[0:1]
	s_cbranch_vccnz .LBB15_688
; %bb.678:
	s_cmp_lt_i32 s10, 6
	s_cbranch_scc1 .LBB15_681
; %bb.679:
	s_cmp_gt_i32 s10, 6
	s_cbranch_scc0 .LBB15_682
; %bb.680:
	global_load_dwordx2 v[3:4], v[1:2], off
	s_mov_b64 s[0:1], 0
	s_waitcnt vmcnt(0)
	v_cvt_f32_f64_e32 v3, v[3:4]
	s_branch .LBB15_683
.LBB15_681:
	s_mov_b64 s[0:1], -1
                                        ; implicit-def: $vgpr3
	s_branch .LBB15_686
.LBB15_682:
	s_mov_b64 s[0:1], -1
                                        ; implicit-def: $vgpr3
.LBB15_683:
	s_andn2_b64 vcc, exec, s[0:1]
	s_cbranch_vccnz .LBB15_685
; %bb.684:
	global_load_dword v3, v[1:2], off
.LBB15_685:
	s_mov_b64 s[0:1], 0
.LBB15_686:
	s_andn2_b64 vcc, exec, s[0:1]
	s_cbranch_vccnz .LBB15_688
; %bb.687:
	global_load_ushort v3, v[1:2], off
	s_waitcnt vmcnt(0)
	v_cvt_f32_f16_e32 v3, v3
.LBB15_688:
	s_mov_b64 s[0:1], 0
.LBB15_689:
	s_andn2_b64 vcc, exec, s[0:1]
	s_cbranch_vccnz .LBB15_709
; %bb.690:
	s_cmp_lt_i32 s10, 2
	s_cbranch_scc1 .LBB15_694
; %bb.691:
	s_cmp_lt_i32 s10, 3
	s_cbranch_scc1 .LBB15_695
; %bb.692:
	s_cmp_gt_i32 s10, 3
	s_cbranch_scc0 .LBB15_696
; %bb.693:
	global_load_dwordx2 v[3:4], v[1:2], off
	s_mov_b64 s[0:1], 0
	s_waitcnt vmcnt(0)
	v_xor_b32_e32 v6, v3, v4
	v_ffbh_i32_e32 v5, v4
	v_ashrrev_i32_e32 v6, 31, v6
	v_add_u32_e32 v5, -1, v5
	v_add_u32_e32 v6, 32, v6
	v_min_u32_e32 v5, v5, v6
	v_lshlrev_b64 v[3:4], v5, v[3:4]
	v_min_u32_e32 v3, 1, v3
	v_or_b32_e32 v3, v4, v3
	v_cvt_f32_i32_e32 v3, v3
	v_sub_u32_e32 v4, 32, v5
	v_ldexp_f32 v3, v3, v4
	s_branch .LBB15_697
.LBB15_694:
	s_mov_b64 s[0:1], -1
                                        ; implicit-def: $vgpr3
	s_branch .LBB15_703
.LBB15_695:
	s_mov_b64 s[0:1], -1
                                        ; implicit-def: $vgpr3
	s_branch .LBB15_700
.LBB15_696:
	s_mov_b64 s[0:1], -1
                                        ; implicit-def: $vgpr3
.LBB15_697:
	s_andn2_b64 vcc, exec, s[0:1]
	s_cbranch_vccnz .LBB15_699
; %bb.698:
	global_load_dword v3, v[1:2], off
	s_waitcnt vmcnt(0)
	v_cvt_f32_i32_e32 v3, v3
.LBB15_699:
	s_mov_b64 s[0:1], 0
.LBB15_700:
	s_andn2_b64 vcc, exec, s[0:1]
	s_cbranch_vccnz .LBB15_702
; %bb.701:
	global_load_sshort v3, v[1:2], off
	s_waitcnt vmcnt(0)
	v_cvt_f32_i32_e32 v3, v3
.LBB15_702:
	s_mov_b64 s[0:1], 0
.LBB15_703:
	s_andn2_b64 vcc, exec, s[0:1]
	s_cbranch_vccnz .LBB15_709
; %bb.704:
	s_cmp_gt_i32 s10, 0
	s_cbranch_scc0 .LBB15_706
; %bb.705:
	global_load_sbyte v3, v[1:2], off
	s_mov_b64 s[0:1], 0
	s_waitcnt vmcnt(0)
	v_cvt_f32_i32_e32 v3, v3
	s_branch .LBB15_707
.LBB15_706:
	s_mov_b64 s[0:1], -1
                                        ; implicit-def: $vgpr3
.LBB15_707:
	s_andn2_b64 vcc, exec, s[0:1]
	s_cbranch_vccnz .LBB15_709
; %bb.708:
	global_load_ubyte v1, v[1:2], off
	s_waitcnt vmcnt(0)
	v_cvt_f32_ubyte0_e32 v3, v1
.LBB15_709:
	s_mov_b64 s[0:1], -1
.LBB15_710:
	s_andn2_b64 vcc, exec, s[0:1]
	s_cbranch_vccnz .LBB15_728
; %bb.711:
	s_mov_b32 s0, 0x7f800000
	s_waitcnt vmcnt(0)
	v_cmp_neq_f32_e64 s[0:1], |v3|, s0
	v_mov_b32_e32 v1, 0
	s_and_saveexec_b64 s[10:11], s[0:1]
	s_cbranch_execz .LBB15_721
; %bb.712:
	v_cmp_nlt_f32_e64 s[0:1], |v3|, 0.5
                                        ; implicit-def: $vgpr1
	s_and_saveexec_b64 s[2:3], s[0:1]
	s_xor_b64 s[12:13], exec, s[2:3]
	s_cbranch_execz .LBB15_718
; %bb.713:
	s_brev_b32 s0, 18
	v_and_b32_e32 v1, 0x7fffffff, v3
	v_cmp_nlt_f32_e64 s[0:1], |v3|, s0
                                        ; implicit-def: $vgpr2
                                        ; implicit-def: $vgpr4
	s_and_saveexec_b64 s[2:3], s[0:1]
	s_xor_b64 s[14:15], exec, s[2:3]
	s_cbranch_execz .LBB15_715
; %bb.714:
	v_and_b32_e32 v2, 0x7fffff, v1
	v_or_b32_e32 v2, 0x800000, v2
	s_mov_b32 s0, 0xfe5163ab
	v_mad_u64_u32 v[4:5], s[0:1], v2, s0, 0
	v_mov_b32_e32 v6, 0
	s_mov_b32 s0, 0x3c439041
	v_mad_u64_u32 v[9:10], s[0:1], v2, s0, v[5:6]
	s_mov_b32 s0, 0xdb629599
	v_not_b32_e32 v7, 63
	v_mov_b32_e32 v5, v10
	v_mad_u64_u32 v[10:11], s[0:1], v2, s0, v[5:6]
	s_mov_b32 s0, 0xf534ddc0
	v_not_b32_e32 v15, 31
	v_mov_b32_e32 v5, v11
	v_mad_u64_u32 v[11:12], s[0:1], v2, s0, v[5:6]
	v_lshrrev_b32_e32 v5, 23, v1
	v_add_u32_e32 v14, 0xffffff88, v5
	v_mov_b32_e32 v5, v12
	s_mov_b32 s0, 0xfc2757d1
	v_mad_u64_u32 v[12:13], s[0:1], v2, s0, v[5:6]
	v_cmp_lt_u32_e32 vcc, 63, v14
	v_cndmask_b32_e32 v5, 0, v7, vcc
	v_add_u32_e32 v7, v5, v14
	v_mov_b32_e32 v5, v13
	s_mov_b32 s0, 0x4e441529
	v_mad_u64_u32 v[13:14], s[0:1], v2, s0, v[5:6]
	v_cmp_lt_u32_e64 s[0:1], 31, v7
	v_cndmask_b32_e64 v5, 0, v15, s[0:1]
	v_add_u32_e32 v7, v5, v7
	v_mov_b32_e32 v5, v14
	s_mov_b32 s2, 0xa2f9836e
	v_mad_u64_u32 v[5:6], s[2:3], v2, s2, v[5:6]
	v_cmp_lt_u32_e64 s[2:3], 31, v7
	v_cndmask_b32_e64 v2, 0, v15, s[2:3]
	v_add_u32_e32 v2, v2, v7
	v_cndmask_b32_e32 v7, v13, v11, vcc
	v_cndmask_b32_e32 v5, v5, v12, vcc
	v_cndmask_b32_e32 v6, v6, v13, vcc
	v_cndmask_b32_e64 v14, v5, v7, s[0:1]
	v_cndmask_b32_e64 v5, v6, v5, s[0:1]
	v_cndmask_b32_e32 v6, v12, v10, vcc
	v_cndmask_b32_e64 v7, v7, v6, s[0:1]
	v_cndmask_b32_e64 v5, v5, v14, s[2:3]
	;; [unrolled: 1-line block ×3, first 2 shown]
	v_sub_u32_e32 v13, 32, v2
	v_alignbit_b32 v14, v5, v12, v13
	v_cmp_eq_u32_e64 s[6:7], 0, v2
	v_cndmask_b32_e64 v2, v14, v5, s[6:7]
	v_cndmask_b32_e32 v5, v11, v9, vcc
	v_cndmask_b32_e64 v6, v6, v5, s[0:1]
	v_cndmask_b32_e64 v7, v7, v6, s[2:3]
	v_alignbit_b32 v9, v12, v7, v13
	v_cndmask_b32_e32 v4, v10, v4, vcc
	v_cndmask_b32_e64 v9, v9, v12, s[6:7]
	v_bfe_u32 v14, v2, 29, 1
	v_cndmask_b32_e64 v4, v5, v4, s[0:1]
	v_alignbit_b32 v11, v2, v9, 30
	v_sub_u32_e32 v15, 0, v14
	v_cndmask_b32_e64 v4, v6, v4, s[2:3]
	v_xor_b32_e32 v11, v11, v15
	v_alignbit_b32 v5, v7, v4, v13
	v_cndmask_b32_e64 v5, v5, v7, s[6:7]
	v_ffbh_u32_e32 v7, v11
	v_alignbit_b32 v6, v9, v5, 30
	v_min_u32_e32 v7, 32, v7
	v_alignbit_b32 v4, v5, v4, 30
	v_xor_b32_e32 v6, v6, v15
	v_sub_u32_e32 v9, 31, v7
	v_xor_b32_e32 v4, v4, v15
	v_alignbit_b32 v10, v11, v6, v9
	v_alignbit_b32 v4, v6, v4, v9
	;; [unrolled: 1-line block ×3, first 2 shown]
	v_ffbh_u32_e32 v6, v5
	v_min_u32_e32 v6, 32, v6
	v_lshrrev_b32_e32 v12, 29, v2
	v_not_b32_e32 v9, v6
	v_alignbit_b32 v4, v5, v4, v9
	v_lshlrev_b32_e32 v5, 31, v12
	v_or_b32_e32 v9, 0x33000000, v5
	v_add_lshl_u32 v6, v6, v7, 23
	v_lshrrev_b32_e32 v4, 9, v4
	v_sub_u32_e32 v6, v9, v6
	v_or_b32_e32 v5, 0.5, v5
	v_lshlrev_b32_e32 v7, 23, v7
	v_or_b32_e32 v4, v6, v4
	v_lshrrev_b32_e32 v6, 9, v10
	v_sub_u32_e32 v5, v5, v7
	v_or_b32_e32 v5, v6, v5
	s_mov_b32 s0, 0x3fc90fda
	v_mul_f32_e32 v6, 0x3fc90fda, v5
	v_fma_f32 v7, v5, s0, -v6
	v_fmac_f32_e32 v7, 0x33a22168, v5
	v_fmac_f32_e32 v7, 0x3fc90fda, v4
	v_lshrrev_b32_e32 v2, 30, v2
	v_add_f32_e32 v4, v6, v7
	v_add_u32_e32 v2, v14, v2
.LBB15_715:
	s_andn2_saveexec_b64 s[0:1], s[14:15]
	s_cbranch_execz .LBB15_717
; %bb.716:
	s_mov_b32 s2, 0x3f22f983
	v_mul_f32_e64 v2, |v3|, s2
	v_rndne_f32_e32 v5, v2
	s_mov_b32 s2, 0xbfc90fda
	v_cvt_i32_f32_e32 v2, v5
	v_fma_f32 v4, v5, s2, |v3|
	v_fmac_f32_e32 v4, 0xb3a22168, v5
	v_fmac_f32_e32 v4, 0xa7c234c4, v5
.LBB15_717:
	s_or_b64 exec, exec, s[0:1]
	v_mul_f32_e32 v5, v4, v4
	v_mov_b32_e32 v6, 0x3c0881c4
	v_fmac_f32_e32 v6, 0xb94c1982, v5
	v_mov_b32_e32 v7, 0xbe2aaa9d
	v_fmac_f32_e32 v7, v5, v6
	v_mul_f32_e32 v6, v5, v7
	v_fmac_f32_e32 v4, v4, v6
	v_mov_b32_e32 v6, 0xbab64f3b
	v_fmac_f32_e32 v6, 0x37d75334, v5
	v_mov_b32_e32 v7, 0x3d2aabf7
	;; [unrolled: 2-line block ×3, first 2 shown]
	v_fmac_f32_e32 v6, v5, v7
	v_fma_f32 v5, v5, v6, 1.0
	v_and_b32_e32 v6, 1, v2
	v_lshlrev_b32_e32 v2, 30, v2
	v_cmp_eq_u32_e32 vcc, 0, v6
	v_and_b32_e32 v2, 0x80000000, v2
	v_xor_b32_e32 v1, v1, v3
	v_cndmask_b32_e32 v4, v5, v4, vcc
	v_xor_b32_e32 v1, v1, v2
	s_movk_i32 s0, 0x1f8
	v_xor_b32_e32 v1, v1, v4
	v_mov_b32_e32 v2, 0x7fc00000
	v_cmp_class_f32_e64 vcc, v3, s0
	v_cndmask_b32_e32 v1, v2, v1, vcc
	v_div_scale_f32 v2, s[0:1], v3, v3, v1
	v_div_scale_f32 v4, vcc, v1, v3, v1
	v_rcp_f32_e32 v5, v2
	v_fma_f32 v6, -v2, v5, 1.0
	v_fmac_f32_e32 v5, v6, v5
	v_mul_f32_e32 v6, v4, v5
	v_fma_f32 v7, -v2, v6, v4
	v_fmac_f32_e32 v6, v7, v5
	v_fma_f32 v2, -v2, v6, v4
	v_div_fmas_f32 v2, v2, v5, v6
	v_div_fixup_f32 v1, v2, v3, v1
                                        ; implicit-def: $vgpr3
.LBB15_718:
	s_andn2_saveexec_b64 s[0:1], s[12:13]
	s_cbranch_execz .LBB15_720
; %bb.719:
	v_mul_f32_e32 v1, v3, v3
	v_mov_b32_e32 v2, 0xb2d7322b
	v_fmac_f32_e32 v2, 0x2f309231, v1
	v_mov_b32_e32 v3, 0x3638ef1d
	v_fmac_f32_e32 v3, v1, v2
	;; [unrolled: 2-line block ×5, first 2 shown]
	v_fma_f32 v1, v1, v2, 1.0
.LBB15_720:
	s_or_b64 exec, exec, s[0:1]
.LBB15_721:
	s_or_b64 exec, exec, s[10:11]
	v_mov_b32_e32 v2, s25
	s_and_b32 s12, s73, 0xff
	v_add_co_u32_e32 v3, vcc, s24, v0
	s_cmp_lt_i32 s12, 11
	v_addc_co_u32_e32 v4, vcc, 0, v2, vcc
	s_cbranch_scc1 .LBB15_729
; %bb.722:
	s_and_b32 s13, 0xffff, s12
	s_cmp_gt_i32 s13, 25
	s_cbranch_scc0 .LBB15_730
; %bb.723:
	s_cmp_gt_i32 s13, 28
	s_cbranch_scc0 .LBB15_731
; %bb.724:
	s_cmp_gt_i32 s13, 43
	s_cbranch_scc0 .LBB15_732
; %bb.725:
	s_cmp_gt_i32 s13, 45
	s_cbranch_scc0 .LBB15_733
; %bb.726:
	s_mov_b64 s[6:7], 0
	s_mov_b64 s[0:1], -1
	s_cmp_eq_u32 s13, 46
	s_mov_b64 s[2:3], 0
	s_cbranch_scc0 .LBB15_734
; %bb.727:
	v_bfe_u32 v0, v1, 16, 1
	s_movk_i32 s0, 0x7fff
	v_add3_u32 v0, v1, v0, s0
	v_cmp_o_f32_e32 vcc, v1, v1
	v_mov_b32_e32 v2, 0x7fc0
	v_cndmask_b32_sdwa v0, v2, v0, vcc dst_sel:DWORD dst_unused:UNUSED_PAD src0_sel:DWORD src1_sel:WORD_1
	global_store_dword v[3:4], v0, off
	s_mov_b64 s[2:3], -1
	s_mov_b64 s[0:1], 0
	s_branch .LBB15_734
.LBB15_728:
	s_mov_b64 s[2:3], 0
	s_mov_b64 s[0:1], s[62:63]
	s_branch .LBB15_845
.LBB15_729:
	s_mov_b64 s[6:7], -1
	s_mov_b64 s[2:3], 0
	s_mov_b64 s[0:1], s[62:63]
	s_branch .LBB15_803
.LBB15_730:
	s_mov_b64 s[6:7], -1
	s_mov_b64 s[2:3], 0
	s_mov_b64 s[0:1], s[62:63]
	s_branch .LBB15_761
.LBB15_731:
	s_mov_b64 s[6:7], -1
	s_mov_b64 s[2:3], 0
	s_mov_b64 s[0:1], s[62:63]
	s_branch .LBB15_744
.LBB15_732:
	s_mov_b64 s[6:7], -1
	s_mov_b64 s[2:3], 0
	s_mov_b64 s[0:1], s[62:63]
	s_branch .LBB15_740
.LBB15_733:
	s_mov_b64 s[6:7], -1
	s_mov_b64 s[2:3], 0
	s_mov_b64 s[0:1], s[62:63]
.LBB15_734:
	s_and_b64 vcc, exec, s[6:7]
	s_cbranch_vccz .LBB15_739
; %bb.735:
	s_cmp_eq_u32 s13, 44
	s_mov_b64 s[0:1], -1
	s_cbranch_scc0 .LBB15_739
; %bb.736:
	v_bfe_u32 v0, v1, 23, 8
	s_movk_i32 s0, 0xff
	v_cmp_ne_u32_e32 vcc, s0, v0
	v_mov_b32_e32 v2, 0xff
	s_and_saveexec_b64 s[2:3], vcc
; %bb.737:
	s_mov_b32 s0, 0x3fffff
	v_and_b32_e32 v5, 0x400000, v1
	v_and_or_b32 v0, v1, s0, v0
	v_cmp_ne_u32_e32 vcc, 0, v5
	v_cmp_ne_u32_e64 s[0:1], 0, v0
	s_and_b64 s[0:1], vcc, s[0:1]
	v_lshrrev_b32_e32 v2, 23, v1
	v_cndmask_b32_e64 v0, 0, 1, s[0:1]
	v_add_u32_e32 v2, v2, v0
; %bb.738:
	s_or_b64 exec, exec, s[2:3]
	s_mov_b64 s[2:3], -1
	s_mov_b64 s[0:1], 0
	global_store_byte v[3:4], v2, off
.LBB15_739:
	s_mov_b64 s[6:7], 0
.LBB15_740:
	s_and_b64 vcc, exec, s[6:7]
	s_cbranch_vccz .LBB15_743
; %bb.741:
	s_cmp_eq_u32 s13, 29
	s_mov_b64 s[0:1], -1
	s_cbranch_scc0 .LBB15_743
; %bb.742:
	v_trunc_f32_e32 v0, v1
	v_mul_f32_e32 v2, 0x2f800000, v0
	v_floor_f32_e32 v2, v2
	v_fmac_f32_e32 v0, 0xcf800000, v2
	v_cvt_u32_f32_e32 v6, v2
	v_cvt_u32_f32_e32 v5, v0
	s_mov_b64 s[2:3], -1
	s_mov_b64 s[0:1], 0
	s_mov_b64 s[6:7], 0
	global_store_dwordx2 v[3:4], v[5:6], off
	s_branch .LBB15_744
.LBB15_743:
	s_mov_b64 s[6:7], 0
.LBB15_744:
	s_and_b64 vcc, exec, s[6:7]
	s_cbranch_vccz .LBB15_760
; %bb.745:
	s_cmp_lt_i32 s13, 27
	s_mov_b64 s[2:3], -1
	s_cbranch_scc1 .LBB15_751
; %bb.746:
	v_cvt_u32_f32_e32 v0, v1
	s_cmp_gt_i32 s13, 27
	s_cbranch_scc0 .LBB15_748
; %bb.747:
	s_mov_b64 s[2:3], 0
	global_store_dword v[3:4], v0, off
.LBB15_748:
	s_andn2_b64 vcc, exec, s[2:3]
	s_cbranch_vccnz .LBB15_750
; %bb.749:
	global_store_short v[3:4], v0, off
.LBB15_750:
	s_mov_b64 s[2:3], 0
.LBB15_751:
	s_andn2_b64 vcc, exec, s[2:3]
	s_cbranch_vccnz .LBB15_759
; %bb.752:
	v_and_b32_e32 v0, 0x7fffffff, v1
	s_mov_b32 s2, 0x43800000
	v_cmp_gt_u32_e32 vcc, s2, v0
	v_mov_b32_e32 v2, 0x80
	s_and_saveexec_b64 s[2:3], vcc
	s_cbranch_execz .LBB15_758
; %bb.753:
	s_mov_b32 s6, 0x3bffffff
	v_cmp_lt_u32_e32 vcc, s6, v0
	s_mov_b64 s[6:7], 0
                                        ; implicit-def: $vgpr0
	s_and_saveexec_b64 s[10:11], vcc
	s_xor_b64 s[10:11], exec, s[10:11]
	s_cbranch_execz .LBB15_875
; %bb.754:
	v_bfe_u32 v0, v1, 20, 1
	s_mov_b32 s14, 0x487ffff
	v_add3_u32 v0, v1, v0, s14
	s_mov_b64 s[6:7], exec
	v_lshrrev_b32_e32 v0, 20, v0
	s_andn2_saveexec_b64 s[10:11], s[10:11]
	s_cbranch_execnz .LBB15_876
.LBB15_755:
	s_or_b64 exec, exec, s[10:11]
	v_mov_b32_e32 v2, 0
	s_and_saveexec_b64 s[10:11], s[6:7]
.LBB15_756:
	v_lshrrev_b32_e32 v2, 24, v1
	s_movk_i32 s6, 0x80
	v_and_or_b32 v2, v2, s6, v0
.LBB15_757:
	s_or_b64 exec, exec, s[10:11]
.LBB15_758:
	s_or_b64 exec, exec, s[2:3]
	global_store_byte v[3:4], v2, off
.LBB15_759:
	s_mov_b64 s[2:3], -1
.LBB15_760:
	s_mov_b64 s[6:7], 0
.LBB15_761:
	s_and_b64 vcc, exec, s[6:7]
	s_cbranch_vccz .LBB15_802
; %bb.762:
	s_cmp_gt_i32 s13, 22
	s_mov_b64 s[6:7], -1
	s_cbranch_scc0 .LBB15_794
; %bb.763:
	s_cmp_lt_i32 s13, 24
	s_mov_b64 s[2:3], -1
	s_cbranch_scc1 .LBB15_783
; %bb.764:
	s_cmp_gt_i32 s13, 24
	s_cbranch_scc0 .LBB15_772
; %bb.765:
	v_and_b32_e32 v0, 0x7fffffff, v1
	s_mov_b32 s2, 0x47800000
	v_cmp_gt_u32_e32 vcc, s2, v0
	v_mov_b32_e32 v2, 0x80
	s_and_saveexec_b64 s[2:3], vcc
	s_cbranch_execz .LBB15_771
; %bb.766:
	s_mov_b32 s6, 0x37ffffff
	v_cmp_lt_u32_e32 vcc, s6, v0
	s_mov_b64 s[6:7], 0
                                        ; implicit-def: $vgpr0
	s_and_saveexec_b64 s[10:11], vcc
	s_xor_b64 s[10:11], exec, s[10:11]
	s_cbranch_execz .LBB15_878
; %bb.767:
	v_bfe_u32 v0, v1, 21, 1
	s_mov_b32 s14, 0x88fffff
	v_add3_u32 v0, v1, v0, s14
	s_mov_b64 s[6:7], exec
	v_lshrrev_b32_e32 v0, 21, v0
	s_andn2_saveexec_b64 s[10:11], s[10:11]
	s_cbranch_execnz .LBB15_879
.LBB15_768:
	s_or_b64 exec, exec, s[10:11]
	v_mov_b32_e32 v2, 0
	s_and_saveexec_b64 s[10:11], s[6:7]
.LBB15_769:
	v_lshrrev_b32_e32 v2, 24, v1
	s_movk_i32 s6, 0x80
	v_and_or_b32 v2, v2, s6, v0
.LBB15_770:
	s_or_b64 exec, exec, s[10:11]
.LBB15_771:
	s_or_b64 exec, exec, s[2:3]
	s_mov_b64 s[2:3], 0
	global_store_byte v[3:4], v2, off
.LBB15_772:
	s_and_b64 vcc, exec, s[2:3]
	s_cbranch_vccz .LBB15_782
; %bb.773:
	v_and_b32_e32 v2, 0x7fffffff, v1
	s_mov_b32 s2, 0x43f00000
	v_cmp_gt_u32_e32 vcc, s2, v2
                                        ; implicit-def: $vgpr0
	s_and_saveexec_b64 s[2:3], vcc
	s_xor_b64 s[2:3], exec, s[2:3]
	s_cbranch_execz .LBB15_779
; %bb.774:
	s_mov_b32 s6, 0x3c7fffff
	v_cmp_lt_u32_e32 vcc, s6, v2
                                        ; implicit-def: $vgpr0
	s_and_saveexec_b64 s[6:7], vcc
	s_xor_b64 s[6:7], exec, s[6:7]
; %bb.775:
	v_bfe_u32 v0, v1, 20, 1
	s_mov_b32 s10, 0x407ffff
	v_add3_u32 v0, v1, v0, s10
	v_lshrrev_b32_e32 v2, 20, v0
	v_and_b32_e32 v0, 0xff00000, v0
	s_mov_b32 s10, 0x7f00000
	v_mov_b32_e32 v5, 0x7e
	v_cmp_ne_u32_e32 vcc, s10, v0
	v_cndmask_b32_e32 v0, v5, v2, vcc
; %bb.776:
	s_andn2_saveexec_b64 s[6:7], s[6:7]
; %bb.777:
	s_mov_b32 s10, 0x46800000
	v_add_f32_e64 v0, |v1|, s10
; %bb.778:
	s_or_b64 exec, exec, s[6:7]
                                        ; implicit-def: $vgpr2
.LBB15_779:
	s_andn2_saveexec_b64 s[2:3], s[2:3]
; %bb.780:
	s_mov_b32 s6, 0x7f800000
	v_mov_b32_e32 v0, 0x7e
	v_mov_b32_e32 v5, 0x7f
	v_cmp_lt_u32_e32 vcc, s6, v2
	v_cndmask_b32_e32 v0, v0, v5, vcc
; %bb.781:
	s_or_b64 exec, exec, s[2:3]
	v_lshrrev_b32_e32 v2, 24, v1
	s_movk_i32 s2, 0x80
	v_and_or_b32 v0, v2, s2, v0
	global_store_byte v[3:4], v0, off
.LBB15_782:
	s_mov_b64 s[2:3], 0
.LBB15_783:
	s_andn2_b64 vcc, exec, s[2:3]
	s_cbranch_vccnz .LBB15_793
; %bb.784:
	v_and_b32_e32 v2, 0x7fffffff, v1
	s_mov_b32 s2, 0x47800000
	v_cmp_gt_u32_e32 vcc, s2, v2
                                        ; implicit-def: $vgpr0
	s_and_saveexec_b64 s[2:3], vcc
	s_xor_b64 s[2:3], exec, s[2:3]
	s_cbranch_execz .LBB15_790
; %bb.785:
	s_mov_b32 s6, 0x387fffff
	v_cmp_lt_u32_e32 vcc, s6, v2
                                        ; implicit-def: $vgpr0
	s_and_saveexec_b64 s[6:7], vcc
	s_xor_b64 s[6:7], exec, s[6:7]
; %bb.786:
	v_bfe_u32 v0, v1, 21, 1
	s_mov_b32 s10, 0x80fffff
	v_add3_u32 v0, v1, v0, s10
	v_lshrrev_b32_e32 v0, 21, v0
; %bb.787:
	s_andn2_saveexec_b64 s[6:7], s[6:7]
; %bb.788:
	s_mov_b32 s10, 0x43000000
	v_add_f32_e64 v0, |v1|, s10
; %bb.789:
	s_or_b64 exec, exec, s[6:7]
                                        ; implicit-def: $vgpr2
.LBB15_790:
	s_andn2_saveexec_b64 s[2:3], s[2:3]
; %bb.791:
	s_mov_b32 s6, 0x7f800000
	v_mov_b32_e32 v0, 0x7c
	v_mov_b32_e32 v5, 0x7f
	v_cmp_lt_u32_e32 vcc, s6, v2
	v_cndmask_b32_e32 v0, v0, v5, vcc
; %bb.792:
	s_or_b64 exec, exec, s[2:3]
	v_lshrrev_b32_e32 v2, 24, v1
	s_movk_i32 s2, 0x80
	v_and_or_b32 v0, v2, s2, v0
	global_store_byte v[3:4], v0, off
.LBB15_793:
	s_mov_b64 s[6:7], 0
	s_mov_b64 s[2:3], -1
.LBB15_794:
	s_andn2_b64 vcc, exec, s[6:7]
	s_cbranch_vccnz .LBB15_802
; %bb.795:
	s_cmp_gt_i32 s13, 14
	s_mov_b64 s[6:7], -1
	s_cbranch_scc0 .LBB15_799
; %bb.796:
	s_cmp_eq_u32 s13, 15
	s_mov_b64 s[0:1], -1
	s_cbranch_scc0 .LBB15_798
; %bb.797:
	v_bfe_u32 v0, v1, 16, 1
	s_movk_i32 s0, 0x7fff
	v_add3_u32 v0, v1, v0, s0
	v_cmp_o_f32_e32 vcc, v1, v1
	v_mov_b32_e32 v2, 0x7fc0
	v_cndmask_b32_sdwa v0, v2, v0, vcc dst_sel:DWORD dst_unused:UNUSED_PAD src0_sel:DWORD src1_sel:WORD_1
	global_store_short v[3:4], v0, off
	s_mov_b64 s[2:3], -1
	s_mov_b64 s[0:1], 0
.LBB15_798:
	s_mov_b64 s[6:7], 0
.LBB15_799:
	s_and_b64 vcc, exec, s[6:7]
	s_cbranch_vccz .LBB15_802
; %bb.800:
	s_cmp_eq_u32 s13, 11
	s_mov_b64 s[0:1], -1
	s_cbranch_scc0 .LBB15_802
; %bb.801:
	v_cmp_neq_f32_e32 vcc, 0, v1
	v_cndmask_b32_e64 v0, 0, 1, vcc
	s_mov_b64 s[2:3], -1
	s_mov_b64 s[0:1], 0
	global_store_byte v[3:4], v0, off
.LBB15_802:
	s_mov_b64 s[6:7], 0
.LBB15_803:
	s_and_b64 vcc, exec, s[6:7]
	s_cbranch_vccz .LBB15_842
; %bb.804:
	s_and_b32 s6, 0xffff, s12
	s_cmp_lt_i32 s6, 5
	s_mov_b64 s[2:3], -1
	s_cbranch_scc1 .LBB15_825
; %bb.805:
	s_cmp_lt_i32 s6, 8
	s_cbranch_scc1 .LBB15_815
; %bb.806:
	s_cmp_lt_i32 s6, 9
	s_cbranch_scc1 .LBB15_812
; %bb.807:
	s_cmp_gt_i32 s6, 9
	s_cbranch_scc0 .LBB15_809
; %bb.808:
	v_cvt_f64_f32_e32 v[9:10], v1
	v_mov_b32_e32 v11, 0
	v_mov_b32_e32 v12, v11
	s_mov_b64 s[2:3], 0
	global_store_dwordx4 v[3:4], v[9:12], off
.LBB15_809:
	s_andn2_b64 vcc, exec, s[2:3]
	s_cbranch_vccnz .LBB15_811
; %bb.810:
	v_mov_b32_e32 v2, 0
	global_store_dwordx2 v[3:4], v[1:2], off
.LBB15_811:
	s_mov_b64 s[2:3], 0
.LBB15_812:
	s_andn2_b64 vcc, exec, s[2:3]
	s_cbranch_vccnz .LBB15_814
; %bb.813:
	v_cvt_f16_f32_e32 v0, v1
	global_store_dword v[3:4], v0, off
.LBB15_814:
	s_mov_b64 s[2:3], 0
.LBB15_815:
	s_andn2_b64 vcc, exec, s[2:3]
	s_cbranch_vccnz .LBB15_824
; %bb.816:
	s_cmp_lt_i32 s6, 6
	s_mov_b64 s[2:3], -1
	s_cbranch_scc1 .LBB15_822
; %bb.817:
	s_cmp_gt_i32 s6, 6
	s_cbranch_scc0 .LBB15_819
; %bb.818:
	v_cvt_f64_f32_e32 v[5:6], v1
	s_mov_b64 s[2:3], 0
	global_store_dwordx2 v[3:4], v[5:6], off
.LBB15_819:
	s_andn2_b64 vcc, exec, s[2:3]
	s_cbranch_vccnz .LBB15_821
; %bb.820:
	global_store_dword v[3:4], v1, off
.LBB15_821:
	s_mov_b64 s[2:3], 0
.LBB15_822:
	s_andn2_b64 vcc, exec, s[2:3]
	s_cbranch_vccnz .LBB15_824
; %bb.823:
	v_cvt_f16_f32_e32 v0, v1
	global_store_short v[3:4], v0, off
.LBB15_824:
	s_mov_b64 s[2:3], 0
.LBB15_825:
	s_andn2_b64 vcc, exec, s[2:3]
	s_cbranch_vccnz .LBB15_841
; %bb.826:
	s_cmp_lt_i32 s6, 2
	s_mov_b64 s[2:3], -1
	s_cbranch_scc1 .LBB15_836
; %bb.827:
	s_cmp_lt_i32 s6, 3
	s_cbranch_scc1 .LBB15_833
; %bb.828:
	s_cmp_gt_i32 s6, 3
	s_cbranch_scc0 .LBB15_830
; %bb.829:
	v_trunc_f32_e32 v0, v1
	s_mov_b32 s2, 0x2f800000
	v_mul_f32_e64 v2, |v0|, s2
	v_floor_f32_e32 v2, v2
	s_mov_b32 s2, 0xcf800000
	v_cvt_u32_f32_e32 v5, v2
	v_fma_f32 v2, v2, s2, |v0|
	v_cvt_u32_f32_e32 v2, v2
	v_ashrrev_i32_e32 v0, 31, v0
	v_xor_b32_e32 v6, v5, v0
	s_mov_b64 s[2:3], 0
	v_xor_b32_e32 v2, v2, v0
	v_sub_co_u32_e32 v5, vcc, v2, v0
	v_subb_co_u32_e32 v6, vcc, v6, v0, vcc
	global_store_dwordx2 v[3:4], v[5:6], off
.LBB15_830:
	s_andn2_b64 vcc, exec, s[2:3]
	s_cbranch_vccnz .LBB15_832
; %bb.831:
	v_cvt_i32_f32_e32 v0, v1
	global_store_dword v[3:4], v0, off
.LBB15_832:
	s_mov_b64 s[2:3], 0
.LBB15_833:
	s_andn2_b64 vcc, exec, s[2:3]
	s_cbranch_vccnz .LBB15_835
; %bb.834:
	v_cvt_i32_f32_e32 v0, v1
	global_store_short v[3:4], v0, off
.LBB15_835:
	s_mov_b64 s[2:3], 0
.LBB15_836:
	s_andn2_b64 vcc, exec, s[2:3]
	s_cbranch_vccnz .LBB15_841
; %bb.837:
	s_cmp_gt_i32 s6, 0
	s_mov_b64 s[2:3], -1
	s_cbranch_scc0 .LBB15_839
; %bb.838:
	v_cvt_i32_f32_e32 v0, v1
	s_mov_b64 s[2:3], 0
	global_store_byte v[3:4], v0, off
.LBB15_839:
	s_andn2_b64 vcc, exec, s[2:3]
	s_cbranch_vccnz .LBB15_841
; %bb.840:
	v_trunc_f32_e32 v0, v1
	s_mov_b32 s2, 0x2f800000
	v_mul_f32_e64 v1, |v0|, s2
	v_floor_f32_e32 v1, v1
	s_mov_b32 s2, 0xcf800000
	v_fma_f32 v1, v1, s2, |v0|
	v_cvt_u32_f32_e32 v1, v1
	v_ashrrev_i32_e32 v0, 31, v0
	v_xor_b32_e32 v1, v1, v0
	v_sub_u32_e32 v0, v1, v0
	global_store_byte v[3:4], v0, off
.LBB15_841:
	s_mov_b64 s[2:3], -1
.LBB15_842:
	s_andn2_b64 vcc, exec, s[2:3]
	s_cbranch_vccnz .LBB15_844
; %bb.843:
	v_add_u32_e32 v8, 0x80, v8
	s_mov_b64 s[2:3], -1
	s_branch .LBB15_846
.LBB15_844:
	s_mov_b64 s[2:3], 0
.LBB15_845:
                                        ; implicit-def: $vgpr8
.LBB15_846:
	s_andn2_b64 s[6:7], s[62:63], exec
	s_and_b64 s[0:1], s[0:1], exec
	s_or_b64 s[68:69], s[6:7], s[0:1]
	s_andn2_b64 s[0:1], s[60:61], exec
	s_and_b64 s[6:7], s[8:9], exec
	s_or_b64 s[6:7], s[0:1], s[6:7]
	s_orn2_b64 s[2:3], s[2:3], exec
.LBB15_847:
	s_or_b64 exec, exec, s[66:67]
	s_mov_b64 s[0:1], 0
	s_mov_b64 s[8:9], 0
	;; [unrolled: 1-line block ×3, first 2 shown]
                                        ; implicit-def: $vgpr1_vgpr2
                                        ; implicit-def: $vgpr0
                                        ; implicit-def: $vgpr5
	s_and_saveexec_b64 s[66:67], s[2:3]
	s_cbranch_execz .LBB15_946
; %bb.848:
	v_cmp_gt_i32_e32 vcc, s70, v8
	s_mov_b64 s[2:3], 0
	s_mov_b64 s[12:13], s[6:7]
                                        ; implicit-def: $vgpr1_vgpr2
                                        ; implicit-def: $vgpr0
                                        ; implicit-def: $vgpr5
	s_and_saveexec_b64 s[70:71], vcc
	s_cbranch_execz .LBB15_945
; %bb.849:
	s_andn2_b64 vcc, exec, s[42:43]
	s_cbranch_vccnz .LBB15_854
; %bb.850:
	s_andn2_b64 vcc, exec, s[52:53]
	s_cbranch_vccnz .LBB15_855
; %bb.851:
	s_add_i32 s76, s75, 1
	s_cmp_eq_u32 s72, 2
	s_cbranch_scc1 .LBB15_856
; %bb.852:
	s_and_b32 s75, s76, 28
	v_mov_b32_e32 v2, 0
	s_mov_b32 s77, 0
	s_mov_b64 s[52:53], s[34:35]
	v_mov_b32_e32 v0, 0
	v_mov_b32_e32 v1, v8
.LBB15_853:                             ; =>This Inner Loop Header: Depth=1
	s_load_dwordx8 s[16:23], s[52:53], 0x4
	s_load_dwordx4 s[0:3], s[52:53], 0x24
	s_load_dwordx8 s[8:15], s[50:51], 0x0
	s_add_u32 s52, s52, 48
	s_addc_u32 s53, s53, 0
	s_waitcnt vmcnt(0) lgkmcnt(0)
	v_mul_hi_u32 v3, s17, v1
	s_add_i32 s77, s77, 4
	s_add_u32 s50, s50, 32
	s_addc_u32 s51, s51, 0
	v_add_u32_e32 v3, v1, v3
	v_lshrrev_b32_e32 v3, s18, v3
	v_mul_lo_u32 v4, v3, s16
	v_mul_hi_u32 v5, s20, v3
	s_cmp_eq_u32 s75, s77
	v_sub_u32_e32 v1, v1, v4
	v_add_u32_e32 v4, v3, v5
	v_mul_lo_u32 v5, v1, s8
	v_mul_lo_u32 v6, v1, s9
	v_lshrrev_b32_e32 v1, s21, v4
	v_mul_lo_u32 v4, v1, s19
	v_mul_hi_u32 v7, s23, v1
	v_sub_u32_e32 v3, v3, v4
	v_add_u32_e32 v4, v1, v7
	v_lshrrev_b32_e32 v4, s0, v4
	v_mul_hi_u32 v9, s2, v4
	v_mul_lo_u32 v10, v4, s22
	v_mul_lo_u32 v7, v3, s10
	;; [unrolled: 1-line block ×3, first 2 shown]
	v_sub_u32_e32 v10, v1, v10
	v_add_u32_e32 v1, v4, v9
	v_lshrrev_b32_e32 v1, s3, v1
	v_mul_lo_u32 v9, v1, s1
	v_mul_lo_u32 v11, v10, s12
	;; [unrolled: 1-line block ×3, first 2 shown]
	v_add3_u32 v0, v5, v0, v7
	v_sub_u32_e32 v4, v4, v9
	v_mul_lo_u32 v9, v4, s14
	v_mul_lo_u32 v4, v4, s15
	v_add3_u32 v2, v6, v2, v3
	v_add3_u32 v0, v11, v0, v9
	v_add3_u32 v2, v10, v2, v4
	s_cbranch_scc0 .LBB15_853
	s_branch .LBB15_857
.LBB15_854:
	s_mov_b64 s[0:1], -1
                                        ; implicit-def: $vgpr0
                                        ; implicit-def: $vgpr2
	s_branch .LBB15_861
.LBB15_855:
	v_mov_b32_e32 v0, 0
	v_mov_b32_e32 v2, 0
	s_branch .LBB15_860
.LBB15_856:
	s_mov_b32 s75, 0
	v_mov_b32_e32 v0, 0
	v_mov_b32_e32 v2, 0
	;; [unrolled: 1-line block ×3, first 2 shown]
.LBB15_857:
	s_and_b32 s8, s76, 3
	s_cmp_eq_u32 s8, 0
	s_cbranch_scc1 .LBB15_860
; %bb.858:
	s_lshl_b32 s0, s75, 3
	s_add_u32 s0, s34, s0
	s_addc_u32 s1, s35, 0
	s_add_u32 s0, s0, 0xc4
	s_addc_u32 s1, s1, 0
	s_mul_i32 s2, s75, 12
	s_add_u32 s2, s34, s2
	s_addc_u32 s3, s35, 0
.LBB15_859:                             ; =>This Inner Loop Header: Depth=1
	s_load_dwordx2 s[10:11], s[2:3], 0x4
	s_load_dword s9, s[2:3], 0xc
	s_load_dwordx2 s[12:13], s[0:1], 0x0
	s_add_u32 s2, s2, 12
	s_addc_u32 s3, s3, 0
	s_waitcnt vmcnt(0) lgkmcnt(0)
	v_mul_hi_u32 v3, s11, v1
	s_add_u32 s0, s0, 8
	s_addc_u32 s1, s1, 0
	s_add_i32 s8, s8, -1
	v_add_u32_e32 v3, v1, v3
	v_lshrrev_b32_e32 v4, s9, v3
	v_mul_lo_u32 v3, v4, s10
	s_cmp_lg_u32 s8, 0
	v_sub_u32_e32 v3, v1, v3
	v_mad_u64_u32 v[0:1], s[10:11], v3, s12, v[0:1]
	v_mad_u64_u32 v[2:3], s[10:11], v3, s13, v[2:3]
	v_mov_b32_e32 v1, v4
	s_cbranch_scc1 .LBB15_859
.LBB15_860:
	s_mov_b64 s[0:1], 0
.LBB15_861:
	s_andn2_b64 vcc, exec, s[0:1]
	s_cbranch_vccnz .LBB15_864
; %bb.862:
	s_waitcnt lgkmcnt(0)
	v_mul_hi_u32 v0, s37, v8
	s_andn2_b64 vcc, exec, s[48:49]
	v_add_u32_e32 v0, v8, v0
	v_lshrrev_b32_e32 v1, s38, v0
	v_mul_lo_u32 v0, v1, s36
	v_sub_u32_e32 v2, v8, v0
	v_mul_lo_u32 v0, v2, s28
	v_mul_lo_u32 v2, v2, s29
	s_cbranch_vccnz .LBB15_864
; %bb.863:
	s_waitcnt vmcnt(0)
	v_mul_hi_u32 v3, s46, v1
	v_add_u32_e32 v3, v1, v3
	v_lshrrev_b32_e32 v3, s47, v3
	v_mul_lo_u32 v3, v3, s39
	v_sub_u32_e32 v3, v1, v3
	v_mad_u64_u32 v[0:1], s[0:1], v3, s30, v[0:1]
	v_mad_u64_u32 v[2:3], s[0:1], v3, s31, v[2:3]
.LBB15_864:
	s_waitcnt vmcnt(0) lgkmcnt(0)
	v_mov_b32_e32 v3, s27
	s_and_b32 s14, 0xffff, s74
	v_add_co_u32_e32 v1, vcc, s26, v2
	s_cmp_lt_i32 s14, 11
	v_addc_co_u32_e32 v2, vcc, 0, v3, vcc
	s_cbranch_scc1 .LBB15_871
; %bb.865:
	s_cmp_gt_i32 s14, 25
	s_mov_b64 s[2:3], 0
	s_cbranch_scc0 .LBB15_872
; %bb.866:
	s_cmp_gt_i32 s14, 28
	s_cbranch_scc0 .LBB15_873
; %bb.867:
	s_cmp_gt_i32 s14, 43
	;; [unrolled: 3-line block ×3, first 2 shown]
	s_cbranch_scc0 .LBB15_877
; %bb.869:
	s_cmp_eq_u32 s14, 46
	s_mov_b64 s[10:11], 0
	s_cbranch_scc0 .LBB15_880
; %bb.870:
	global_load_dword v3, v[1:2], off
	s_mov_b64 s[0:1], 0
	s_mov_b64 s[8:9], -1
	s_waitcnt vmcnt(0)
	v_lshlrev_b32_e32 v5, 16, v3
	s_branch .LBB15_881
.LBB15_871:
	s_mov_b64 s[12:13], -1
	s_mov_b64 s[8:9], 0
	s_mov_b64 s[2:3], 0
	;; [unrolled: 1-line block ×3, first 2 shown]
                                        ; implicit-def: $vgpr5
	s_branch .LBB15_944
.LBB15_872:
	s_mov_b64 s[10:11], -1
	s_mov_b64 s[8:9], 0
	s_mov_b64 s[0:1], s[6:7]
                                        ; implicit-def: $vgpr5
	s_branch .LBB15_910
.LBB15_873:
	s_mov_b64 s[10:11], -1
	s_mov_b64 s[8:9], 0
	s_mov_b64 s[0:1], s[6:7]
                                        ; implicit-def: $vgpr5
	s_branch .LBB15_891
.LBB15_874:
	s_mov_b64 s[10:11], -1
	s_mov_b64 s[8:9], 0
	s_mov_b64 s[0:1], s[6:7]
                                        ; implicit-def: $vgpr5
	s_branch .LBB15_886
.LBB15_875:
	s_andn2_saveexec_b64 s[10:11], s[10:11]
	s_cbranch_execz .LBB15_755
.LBB15_876:
	s_mov_b32 s14, 0x46000000
	v_add_f32_e64 v0, |v1|, s14
	v_and_b32_e32 v0, 0xff, v0
	v_cmp_ne_u32_e32 vcc, 0, v0
	s_andn2_b64 s[6:7], s[6:7], exec
	s_and_b64 s[14:15], vcc, exec
	s_or_b64 s[6:7], s[6:7], s[14:15]
	s_or_b64 exec, exec, s[10:11]
	v_mov_b32_e32 v2, 0
	s_and_saveexec_b64 s[10:11], s[6:7]
	s_cbranch_execnz .LBB15_756
	s_branch .LBB15_757
.LBB15_877:
	s_mov_b64 s[10:11], -1
	s_mov_b64 s[8:9], 0
	s_mov_b64 s[0:1], s[6:7]
                                        ; implicit-def: $vgpr5
	s_branch .LBB15_881
.LBB15_878:
	s_andn2_saveexec_b64 s[10:11], s[10:11]
	s_cbranch_execz .LBB15_768
.LBB15_879:
	s_mov_b32 s14, 0x42800000
	v_add_f32_e64 v0, |v1|, s14
	v_and_b32_e32 v0, 0xff, v0
	v_cmp_ne_u32_e32 vcc, 0, v0
	s_andn2_b64 s[6:7], s[6:7], exec
	s_and_b64 s[14:15], vcc, exec
	s_or_b64 s[6:7], s[6:7], s[14:15]
	s_or_b64 exec, exec, s[10:11]
	v_mov_b32_e32 v2, 0
	s_and_saveexec_b64 s[10:11], s[6:7]
	s_cbranch_execnz .LBB15_769
	s_branch .LBB15_770
.LBB15_880:
	s_mov_b64 s[0:1], -1
                                        ; implicit-def: $vgpr5
	s_mov_b64 s[8:9], 0
.LBB15_881:
	s_and_b64 vcc, exec, s[10:11]
	s_cbranch_vccz .LBB15_885
; %bb.882:
	s_cmp_eq_u32 s14, 44
	s_cbranch_scc0 .LBB15_884
; %bb.883:
	global_load_ubyte v3, v[1:2], off
	s_movk_i32 s8, 0xff
	v_mov_b32_e32 v4, 0x7f800001
	v_mov_b32_e32 v5, 0x400000
	s_mov_b64 s[0:1], 0
	s_waitcnt vmcnt(0)
	v_lshlrev_b32_e32 v6, 23, v3
	v_cmp_ne_u32_e32 vcc, s8, v3
	v_cndmask_b32_e32 v4, v4, v6, vcc
	v_cmp_ne_u32_e32 vcc, 0, v3
	v_cndmask_b32_e32 v5, v5, v4, vcc
	s_mov_b64 s[8:9], -1
	s_branch .LBB15_885
.LBB15_884:
	s_mov_b64 s[0:1], -1
                                        ; implicit-def: $vgpr5
.LBB15_885:
	s_mov_b64 s[10:11], 0
.LBB15_886:
	s_and_b64 vcc, exec, s[10:11]
	s_cbranch_vccz .LBB15_890
; %bb.887:
	s_cmp_eq_u32 s14, 29
	s_cbranch_scc0 .LBB15_889
; %bb.888:
	global_load_dwordx2 v[3:4], v[1:2], off
	s_mov_b64 s[0:1], 0
	s_mov_b64 s[8:9], -1
	s_mov_b64 s[10:11], 0
	s_waitcnt vmcnt(0)
	v_ffbh_u32_e32 v5, v4
	v_min_u32_e32 v5, 32, v5
	v_lshlrev_b64 v[3:4], v5, v[3:4]
	v_min_u32_e32 v3, 1, v3
	v_or_b32_e32 v3, v4, v3
	v_cvt_f32_u32_e32 v3, v3
	v_sub_u32_e32 v4, 32, v5
	v_ldexp_f32 v5, v3, v4
	s_branch .LBB15_891
.LBB15_889:
	s_mov_b64 s[0:1], -1
                                        ; implicit-def: $vgpr5
.LBB15_890:
	s_mov_b64 s[10:11], 0
.LBB15_891:
	s_and_b64 vcc, exec, s[10:11]
	s_cbranch_vccz .LBB15_909
; %bb.892:
	s_cmp_lt_i32 s14, 27
	s_cbranch_scc1 .LBB15_895
; %bb.893:
	s_cmp_gt_i32 s14, 27
	s_cbranch_scc0 .LBB15_896
; %bb.894:
	global_load_dword v3, v[1:2], off
	s_mov_b64 s[8:9], 0
	s_waitcnt vmcnt(0)
	v_cvt_f32_u32_e32 v5, v3
	s_branch .LBB15_897
.LBB15_895:
	s_mov_b64 s[8:9], -1
                                        ; implicit-def: $vgpr5
	s_branch .LBB15_900
.LBB15_896:
	s_mov_b64 s[8:9], -1
                                        ; implicit-def: $vgpr5
.LBB15_897:
	s_andn2_b64 vcc, exec, s[8:9]
	s_cbranch_vccnz .LBB15_899
; %bb.898:
	global_load_ushort v3, v[1:2], off
	s_waitcnt vmcnt(0)
	v_cvt_f32_u32_e32 v5, v3
.LBB15_899:
	s_mov_b64 s[8:9], 0
.LBB15_900:
	s_andn2_b64 vcc, exec, s[8:9]
	s_cbranch_vccnz .LBB15_908
; %bb.901:
	global_load_ubyte v3, v[1:2], off
	s_movk_i32 s8, 0x7f
	s_waitcnt vmcnt(0)
	v_cmp_lt_i16_e32 vcc, s8, v3
	s_mov_b64 s[8:9], 0
	s_and_saveexec_b64 s[10:11], vcc
	s_xor_b64 s[10:11], exec, s[10:11]
	s_cbranch_execz .LBB15_922
; %bb.902:
	s_movk_i32 s8, 0x80
	v_cmp_eq_u16_e32 vcc, s8, v3
	s_mov_b64 s[8:9], -1
	s_and_saveexec_b64 s[12:13], vcc
; %bb.903:
	s_xor_b64 s[8:9], exec, -1
; %bb.904:
	s_or_b64 exec, exec, s[12:13]
	s_and_b64 s[8:9], s[8:9], exec
	s_or_saveexec_b64 s[10:11], s[10:11]
	v_mov_b32_e32 v5, 0x7f800001
	s_xor_b64 exec, exec, s[10:11]
	s_cbranch_execnz .LBB15_923
.LBB15_905:
	s_or_b64 exec, exec, s[10:11]
	s_and_saveexec_b64 s[10:11], s[8:9]
	s_cbranch_execz .LBB15_907
.LBB15_906:
	v_lshlrev_b32_e32 v4, 24, v3
	v_and_b32_e32 v3, 0xffff, v3
	v_and_b32_e32 v5, 7, v3
	v_ffbh_u32_e32 v7, v5
	v_min_u32_e32 v7, 32, v7
	v_subrev_u32_e32 v8, 28, v7
	v_bfe_u32 v6, v3, 3, 4
	v_lshlrev_b32_e32 v3, v8, v3
	v_sub_u32_e32 v7, 29, v7
	v_and_b32_e32 v3, 7, v3
	v_cmp_eq_u32_e32 vcc, 0, v6
	v_cndmask_b32_e32 v6, v6, v7, vcc
	v_cndmask_b32_e32 v3, v5, v3, vcc
	v_mov_b32_e32 v5, 0x3b800000
	v_lshlrev_b32_e32 v3, 20, v3
	v_and_b32_e32 v4, 0x80000000, v4
	v_lshl_add_u32 v5, v6, 23, v5
	v_or3_b32 v5, v4, v5, v3
.LBB15_907:
	s_or_b64 exec, exec, s[10:11]
.LBB15_908:
	s_mov_b64 s[8:9], -1
.LBB15_909:
	s_mov_b64 s[10:11], 0
.LBB15_910:
	s_and_b64 vcc, exec, s[10:11]
	s_cbranch_vccz .LBB15_943
; %bb.911:
	s_cmp_gt_i32 s14, 22
	s_cbranch_scc0 .LBB15_921
; %bb.912:
	s_cmp_lt_i32 s14, 24
	s_cbranch_scc1 .LBB15_924
; %bb.913:
	s_cmp_gt_i32 s14, 24
	s_cbranch_scc0 .LBB15_925
; %bb.914:
	global_load_ubyte v3, v[1:2], off
	s_movk_i32 s2, 0x7f
	s_waitcnt vmcnt(0)
	v_cmp_lt_i16_e32 vcc, s2, v3
	s_mov_b64 s[2:3], 0
	s_and_saveexec_b64 s[8:9], vcc
	s_xor_b64 s[8:9], exec, s[8:9]
	s_cbranch_execz .LBB15_937
; %bb.915:
	s_movk_i32 s2, 0x80
	v_cmp_eq_u16_e32 vcc, s2, v3
	s_mov_b64 s[2:3], -1
	s_and_saveexec_b64 s[10:11], vcc
; %bb.916:
	s_xor_b64 s[2:3], exec, -1
; %bb.917:
	s_or_b64 exec, exec, s[10:11]
	s_and_b64 s[2:3], s[2:3], exec
	s_or_saveexec_b64 s[8:9], s[8:9]
	v_mov_b32_e32 v5, 0x7f800001
	s_xor_b64 exec, exec, s[8:9]
	s_cbranch_execnz .LBB15_938
.LBB15_918:
	s_or_b64 exec, exec, s[8:9]
	s_and_saveexec_b64 s[8:9], s[2:3]
	s_cbranch_execz .LBB15_920
.LBB15_919:
	v_lshlrev_b32_e32 v4, 24, v3
	v_and_b32_e32 v3, 0xffff, v3
	v_and_b32_e32 v5, 3, v3
	v_ffbh_u32_e32 v7, v5
	v_min_u32_e32 v7, 32, v7
	v_subrev_u32_e32 v8, 29, v7
	v_bfe_u32 v6, v3, 2, 5
	v_lshlrev_b32_e32 v3, v8, v3
	v_sub_u32_e32 v7, 30, v7
	v_and_b32_e32 v3, 3, v3
	v_cmp_eq_u32_e32 vcc, 0, v6
	v_cndmask_b32_e32 v6, v6, v7, vcc
	v_cndmask_b32_e32 v3, v5, v3, vcc
	v_mov_b32_e32 v5, 0x37800000
	v_lshlrev_b32_e32 v3, 21, v3
	v_and_b32_e32 v4, 0x80000000, v4
	v_lshl_add_u32 v5, v6, 23, v5
	v_or3_b32 v5, v4, v5, v3
.LBB15_920:
	s_or_b64 exec, exec, s[8:9]
	s_mov_b64 s[2:3], 0
	s_branch .LBB15_926
.LBB15_921:
	s_mov_b64 s[2:3], -1
                                        ; implicit-def: $vgpr5
	s_branch .LBB15_932
.LBB15_922:
	s_or_saveexec_b64 s[10:11], s[10:11]
	v_mov_b32_e32 v5, 0x7f800001
	s_xor_b64 exec, exec, s[10:11]
	s_cbranch_execz .LBB15_905
.LBB15_923:
	v_cmp_ne_u16_e32 vcc, 0, v3
	s_andn2_b64 s[8:9], s[8:9], exec
	s_and_b64 s[12:13], vcc, exec
	v_mov_b32_e32 v5, 0
	s_or_b64 s[8:9], s[8:9], s[12:13]
	s_or_b64 exec, exec, s[10:11]
	s_and_saveexec_b64 s[10:11], s[8:9]
	s_cbranch_execnz .LBB15_906
	s_branch .LBB15_907
.LBB15_924:
	s_mov_b64 s[2:3], -1
                                        ; implicit-def: $vgpr5
	s_branch .LBB15_929
.LBB15_925:
	s_mov_b64 s[2:3], -1
                                        ; implicit-def: $vgpr5
.LBB15_926:
	s_and_b64 vcc, exec, s[2:3]
	s_cbranch_vccz .LBB15_928
; %bb.927:
	global_load_ubyte v3, v[1:2], off
	s_mov_b32 s2, 0x7f800000
	s_waitcnt vmcnt(0)
	v_lshlrev_b32_e32 v3, 24, v3
	v_and_b32_e32 v4, 0x7f000000, v3
	v_ffbh_u32_e32 v5, v4
	v_min_u32_e32 v5, 32, v5
	v_sub_u32_e64 v5, v5, 4 clamp
	v_lshlrev_b32_e32 v7, v5, v4
	v_lshlrev_b32_e32 v5, 23, v5
	v_lshrrev_b32_e32 v7, 4, v7
	v_add_u32_e32 v6, 0x1000000, v4
	v_sub_u32_e32 v5, v7, v5
	v_ashrrev_i32_e32 v6, 8, v6
	v_add_u32_e32 v5, 0x3c000000, v5
	v_and_or_b32 v5, v6, s2, v5
	v_cmp_ne_u32_e32 vcc, 0, v4
	v_cndmask_b32_e32 v4, 0, v5, vcc
	s_brev_b32 s2, 1
	v_and_or_b32 v5, v3, s2, v4
.LBB15_928:
	s_mov_b64 s[2:3], 0
.LBB15_929:
	s_andn2_b64 vcc, exec, s[2:3]
	s_cbranch_vccnz .LBB15_931
; %bb.930:
	global_load_ubyte v3, v[1:2], off
	s_movk_i32 s2, 0x7f00
	s_brev_b32 s3, 16
	s_waitcnt vmcnt(0)
	v_lshlrev_b16_e32 v4, 8, v3
	v_lshlrev_b32_e32 v3, 25, v3
	v_lshrrev_b32_e32 v5, 4, v3
	v_and_or_b32 v6, v4, s2, 0.5
	v_or_b32_e32 v5, 0x70000000, v5
	v_add_f32_e32 v6, -0.5, v6
	v_mul_f32_e32 v5, 0x7800000, v5
	v_cmp_gt_u32_e32 vcc, s3, v3
	v_bfe_i32 v4, v4, 0, 16
	v_cndmask_b32_e32 v3, v5, v6, vcc
	s_brev_b32 s2, 1
	v_and_or_b32 v5, v4, s2, v3
.LBB15_931:
	s_mov_b64 s[2:3], 0
	s_mov_b64 s[8:9], -1
.LBB15_932:
	s_andn2_b64 vcc, exec, s[2:3]
	s_mov_b64 s[2:3], 0
	s_cbranch_vccnz .LBB15_943
; %bb.933:
	s_cmp_gt_i32 s14, 14
	s_cbranch_scc0 .LBB15_936
; %bb.934:
	s_cmp_eq_u32 s14, 15
	s_cbranch_scc0 .LBB15_939
; %bb.935:
	global_load_ushort v3, v[1:2], off
	s_mov_b64 s[0:1], 0
	s_mov_b64 s[8:9], -1
	s_waitcnt vmcnt(0)
	v_lshlrev_b32_e32 v5, 16, v3
	s_branch .LBB15_940
.LBB15_936:
	s_mov_b64 s[10:11], -1
                                        ; implicit-def: $vgpr5
	s_branch .LBB15_941
.LBB15_937:
	s_or_saveexec_b64 s[8:9], s[8:9]
	v_mov_b32_e32 v5, 0x7f800001
	s_xor_b64 exec, exec, s[8:9]
	s_cbranch_execz .LBB15_918
.LBB15_938:
	v_cmp_ne_u16_e32 vcc, 0, v3
	s_andn2_b64 s[2:3], s[2:3], exec
	s_and_b64 s[10:11], vcc, exec
	v_mov_b32_e32 v5, 0
	s_or_b64 s[2:3], s[2:3], s[10:11]
	s_or_b64 exec, exec, s[8:9]
	s_and_saveexec_b64 s[8:9], s[2:3]
	s_cbranch_execnz .LBB15_919
	s_branch .LBB15_920
.LBB15_939:
	s_mov_b64 s[0:1], -1
                                        ; implicit-def: $vgpr5
.LBB15_940:
	s_mov_b64 s[10:11], 0
.LBB15_941:
	s_and_b64 vcc, exec, s[10:11]
	s_cbranch_vccz .LBB15_943
; %bb.942:
	s_cmp_lg_u32 s14, 11
	s_cselect_b64 s[10:11], -1, 0
	s_andn2_b64 s[0:1], s[0:1], exec
	s_and_b64 s[10:11], s[10:11], exec
	s_mov_b64 s[2:3], -1
	s_or_b64 s[0:1], s[0:1], s[10:11]
.LBB15_943:
	s_mov_b64 s[12:13], 0
.LBB15_944:
	s_and_b64 s[10:11], s[8:9], exec
	s_and_b64 s[8:9], s[12:13], exec
	s_andn2_b64 s[12:13], s[6:7], exec
	s_and_b64 s[0:1], s[0:1], exec
	s_and_b64 s[2:3], s[2:3], exec
	s_or_b64 s[12:13], s[12:13], s[0:1]
.LBB15_945:
	s_or_b64 exec, exec, s[70:71]
	s_and_b64 s[0:1], s[2:3], exec
	s_andn2_b64 s[2:3], s[6:7], exec
	s_and_b64 s[6:7], s[12:13], exec
	s_and_b64 s[10:11], s[10:11], exec
	;; [unrolled: 1-line block ×3, first 2 shown]
	s_or_b64 s[6:7], s[2:3], s[6:7]
.LBB15_946:
	s_or_b64 exec, exec, s[66:67]
	s_andn2_b64 s[2:3], s[62:63], exec
	s_and_b64 s[12:13], s[68:69], exec
	s_or_b64 s[62:63], s[2:3], s[12:13]
	s_and_b64 s[2:3], s[0:1], exec
	s_andn2_b64 s[0:1], s[60:61], exec
	s_and_b64 s[6:7], s[6:7], exec
	s_and_b64 s[10:11], s[10:11], exec
	;; [unrolled: 1-line block ×3, first 2 shown]
	s_or_b64 s[60:61], s[0:1], s[6:7]
.LBB15_947:
	s_or_b64 exec, exec, s[64:65]
	s_andn2_b64 s[0:1], s[54:55], exec
	s_and_b64 s[6:7], s[62:63], exec
	s_or_b64 s[54:55], s[0:1], s[6:7]
	s_and_b64 s[6:7], s[8:9], exec
	s_and_b64 s[62:63], s[2:3], exec
	s_andn2_b64 s[2:3], s[56:57], exec
	s_and_b64 s[8:9], s[60:61], exec
	s_and_b64 s[0:1], s[10:11], exec
	s_or_b64 s[56:57], s[2:3], s[8:9]
	s_or_b64 exec, exec, s[58:59]
	s_mov_b64 s[8:9], 0
	s_and_saveexec_b64 s[2:3], s[56:57]
	s_cbranch_execz .LBB15_284
.LBB15_948:
	s_mov_b64 s[8:9], exec
	s_andn2_b64 s[62:63], s[62:63], exec
	s_trap 2
	s_or_b64 exec, exec, s[2:3]
	s_and_saveexec_b64 s[2:3], s[62:63]
	s_xor_b64 s[2:3], exec, s[2:3]
	s_cbranch_execnz .LBB15_285
.LBB15_949:
	s_or_b64 exec, exec, s[2:3]
	s_and_saveexec_b64 s[2:3], s[6:7]
	s_cbranch_execz .LBB15_995
.LBB15_950:
	s_sext_i32_i16 s6, s74
	s_cmp_lt_i32 s6, 5
	s_cbranch_scc1 .LBB15_955
; %bb.951:
	s_cmp_lt_i32 s6, 8
	s_cbranch_scc1 .LBB15_956
; %bb.952:
	;; [unrolled: 3-line block ×3, first 2 shown]
	s_cmp_gt_i32 s6, 9
	s_cbranch_scc0 .LBB15_958
; %bb.954:
	global_load_dwordx2 v[3:4], v[1:2], off
	s_mov_b64 s[6:7], 0
	s_waitcnt vmcnt(0)
	v_cvt_f32_f64_e32 v5, v[3:4]
	s_branch .LBB15_959
.LBB15_955:
                                        ; implicit-def: $vgpr5
	s_branch .LBB15_976
.LBB15_956:
                                        ; implicit-def: $vgpr5
	s_branch .LBB15_965
.LBB15_957:
	s_mov_b64 s[6:7], -1
                                        ; implicit-def: $vgpr5
	s_branch .LBB15_962
.LBB15_958:
	s_mov_b64 s[6:7], -1
                                        ; implicit-def: $vgpr5
.LBB15_959:
	s_andn2_b64 vcc, exec, s[6:7]
	s_cbranch_vccnz .LBB15_961
; %bb.960:
	global_load_dword v5, v[1:2], off
.LBB15_961:
	s_mov_b64 s[6:7], 0
.LBB15_962:
	s_andn2_b64 vcc, exec, s[6:7]
	s_cbranch_vccnz .LBB15_964
; %bb.963:
	global_load_dword v3, v[1:2], off
	s_waitcnt vmcnt(0)
	v_cvt_f32_f16_e32 v5, v3
.LBB15_964:
	s_cbranch_execnz .LBB15_975
.LBB15_965:
	s_sext_i32_i16 s6, s74
	s_cmp_lt_i32 s6, 6
	s_cbranch_scc1 .LBB15_968
; %bb.966:
	s_cmp_gt_i32 s6, 6
	s_cbranch_scc0 .LBB15_969
; %bb.967:
	global_load_dwordx2 v[3:4], v[1:2], off
	s_mov_b64 s[6:7], 0
	s_waitcnt vmcnt(0)
	v_cvt_f32_f64_e32 v5, v[3:4]
	s_branch .LBB15_970
.LBB15_968:
	s_mov_b64 s[6:7], -1
                                        ; implicit-def: $vgpr5
	s_branch .LBB15_973
.LBB15_969:
	s_mov_b64 s[6:7], -1
                                        ; implicit-def: $vgpr5
.LBB15_970:
	s_andn2_b64 vcc, exec, s[6:7]
	s_cbranch_vccnz .LBB15_972
; %bb.971:
	global_load_dword v5, v[1:2], off
.LBB15_972:
	s_mov_b64 s[6:7], 0
.LBB15_973:
	s_andn2_b64 vcc, exec, s[6:7]
	s_cbranch_vccnz .LBB15_975
; %bb.974:
	global_load_ushort v3, v[1:2], off
	s_waitcnt vmcnt(0)
	v_cvt_f32_f16_e32 v5, v3
.LBB15_975:
	s_cbranch_execnz .LBB15_994
.LBB15_976:
	s_sext_i32_i16 s6, s74
	s_cmp_lt_i32 s6, 2
	s_cbranch_scc1 .LBB15_980
; %bb.977:
	s_cmp_lt_i32 s6, 3
	s_cbranch_scc1 .LBB15_981
; %bb.978:
	s_cmp_gt_i32 s6, 3
	s_cbranch_scc0 .LBB15_982
; %bb.979:
	global_load_dwordx2 v[3:4], v[1:2], off
	s_mov_b64 s[6:7], 0
	s_waitcnt vmcnt(0)
	v_xor_b32_e32 v6, v3, v4
	v_ffbh_i32_e32 v5, v4
	v_ashrrev_i32_e32 v6, 31, v6
	v_add_u32_e32 v5, -1, v5
	v_add_u32_e32 v6, 32, v6
	v_min_u32_e32 v5, v5, v6
	v_lshlrev_b64 v[3:4], v5, v[3:4]
	v_min_u32_e32 v3, 1, v3
	v_or_b32_e32 v3, v4, v3
	v_cvt_f32_i32_e32 v3, v3
	v_sub_u32_e32 v4, 32, v5
	v_ldexp_f32 v5, v3, v4
	s_branch .LBB15_983
.LBB15_980:
                                        ; implicit-def: $vgpr5
	s_branch .LBB15_989
.LBB15_981:
	s_mov_b64 s[6:7], -1
                                        ; implicit-def: $vgpr5
	s_branch .LBB15_986
.LBB15_982:
	s_mov_b64 s[6:7], -1
                                        ; implicit-def: $vgpr5
.LBB15_983:
	s_andn2_b64 vcc, exec, s[6:7]
	s_cbranch_vccnz .LBB15_985
; %bb.984:
	global_load_dword v3, v[1:2], off
	s_waitcnt vmcnt(0)
	v_cvt_f32_i32_e32 v5, v3
.LBB15_985:
	s_mov_b64 s[6:7], 0
.LBB15_986:
	s_andn2_b64 vcc, exec, s[6:7]
	s_cbranch_vccnz .LBB15_988
; %bb.987:
	global_load_sshort v3, v[1:2], off
	s_waitcnt vmcnt(0)
	v_cvt_f32_i32_e32 v5, v3
.LBB15_988:
	s_cbranch_execnz .LBB15_994
.LBB15_989:
	s_sext_i32_i16 s6, s74
	s_cmp_gt_i32 s6, 0
	s_cbranch_scc0 .LBB15_991
; %bb.990:
	global_load_sbyte v3, v[1:2], off
	s_mov_b64 s[6:7], 0
	s_waitcnt vmcnt(0)
	v_cvt_f32_i32_e32 v5, v3
	s_branch .LBB15_992
.LBB15_991:
	s_mov_b64 s[6:7], -1
                                        ; implicit-def: $vgpr5
.LBB15_992:
	s_andn2_b64 vcc, exec, s[6:7]
	s_cbranch_vccnz .LBB15_994
; %bb.993:
	global_load_ubyte v1, v[1:2], off
	s_waitcnt vmcnt(0)
	v_cvt_f32_ubyte0_e32 v5, v1
.LBB15_994:
	s_or_b64 s[0:1], s[0:1], exec
.LBB15_995:
	s_or_b64 exec, exec, s[2:3]
	s_mov_b64 s[6:7], 0
	s_mov_b64 s[2:3], 0
                                        ; implicit-def: $sgpr16
                                        ; implicit-def: $vgpr3_vgpr4
                                        ; implicit-def: $vgpr1
	s_and_saveexec_b64 s[10:11], s[0:1]
	s_cbranch_execz .LBB15_1023
; %bb.996:
	s_mov_b32 s0, 0x7f800000
	s_waitcnt vmcnt(0)
	v_cmp_neq_f32_e64 s[0:1], |v5|, s0
	v_mov_b32_e32 v1, 0
	s_and_saveexec_b64 s[12:13], s[0:1]
	s_cbranch_execz .LBB15_1006
; %bb.997:
	v_cmp_nlt_f32_e64 s[0:1], |v5|, 0.5
                                        ; implicit-def: $vgpr1
	s_and_saveexec_b64 s[2:3], s[0:1]
	s_xor_b64 s[14:15], exec, s[2:3]
	s_cbranch_execz .LBB15_1003
; %bb.998:
	s_brev_b32 s0, 18
	v_and_b32_e32 v1, 0x7fffffff, v5
	v_cmp_nlt_f32_e64 s[0:1], |v5|, s0
                                        ; implicit-def: $vgpr2
                                        ; implicit-def: $vgpr3
	s_and_saveexec_b64 s[2:3], s[0:1]
	s_xor_b64 s[16:17], exec, s[2:3]
	s_cbranch_execz .LBB15_1000
; %bb.999:
	v_and_b32_e32 v2, 0x7fffff, v1
	v_or_b32_e32 v12, 0x800000, v2
	s_mov_b32 s0, 0xfe5163ab
	v_mad_u64_u32 v[2:3], s[0:1], v12, s0, 0
	v_mov_b32_e32 v4, 0
	s_mov_b32 s0, 0x3c439041
	v_mad_u64_u32 v[6:7], s[0:1], v12, s0, v[3:4]
	s_mov_b32 s0, 0xdb629599
	v_not_b32_e32 v11, 63
	v_mov_b32_e32 v3, v7
	v_mad_u64_u32 v[7:8], s[0:1], v12, s0, v[3:4]
	s_mov_b32 s0, 0xf534ddc0
	v_not_b32_e32 v14, 31
	v_mov_b32_e32 v3, v8
	v_mad_u64_u32 v[8:9], s[0:1], v12, s0, v[3:4]
	v_lshrrev_b32_e32 v3, 23, v1
	v_add_u32_e32 v13, 0xffffff88, v3
	v_mov_b32_e32 v3, v9
	s_mov_b32 s0, 0xfc2757d1
	v_mad_u64_u32 v[9:10], s[0:1], v12, s0, v[3:4]
	v_cmp_lt_u32_e32 vcc, 63, v13
	v_cndmask_b32_e32 v3, 0, v11, vcc
	v_add_u32_e32 v13, v3, v13
	v_mov_b32_e32 v3, v10
	s_mov_b32 s0, 0x4e441529
	v_mad_u64_u32 v[10:11], s[0:1], v12, s0, v[3:4]
	v_cmp_lt_u32_e64 s[0:1], 31, v13
	v_cndmask_b32_e64 v3, 0, v14, s[0:1]
	v_add_u32_e32 v13, v3, v13
	v_mov_b32_e32 v3, v11
	s_mov_b32 s2, 0xa2f9836e
	v_mad_u64_u32 v[3:4], s[2:3], v12, s2, v[3:4]
	v_cmp_lt_u32_e64 s[2:3], 31, v13
	v_cndmask_b32_e64 v11, 0, v14, s[2:3]
	v_cndmask_b32_e32 v12, v10, v8, vcc
	v_cndmask_b32_e32 v3, v3, v9, vcc
	;; [unrolled: 1-line block ×3, first 2 shown]
	v_add_u32_e32 v11, v11, v13
	v_cndmask_b32_e64 v13, v3, v12, s[0:1]
	v_cndmask_b32_e64 v3, v4, v3, s[0:1]
	v_cndmask_b32_e32 v4, v9, v7, vcc
	v_cndmask_b32_e64 v9, v12, v4, s[0:1]
	v_cndmask_b32_e64 v3, v3, v13, s[2:3]
	;; [unrolled: 1-line block ×3, first 2 shown]
	v_sub_u32_e32 v12, 32, v11
	v_alignbit_b32 v13, v3, v10, v12
	v_cmp_eq_u32_e64 s[6:7], 0, v11
	v_cndmask_b32_e64 v11, v13, v3, s[6:7]
	v_cndmask_b32_e32 v3, v8, v6, vcc
	v_cndmask_b32_e64 v4, v4, v3, s[0:1]
	v_cndmask_b32_e64 v6, v9, v4, s[2:3]
	v_alignbit_b32 v8, v10, v6, v12
	v_cndmask_b32_e32 v2, v7, v2, vcc
	v_cndmask_b32_e64 v8, v8, v10, s[6:7]
	v_bfe_u32 v13, v11, 29, 1
	v_cndmask_b32_e64 v2, v3, v2, s[0:1]
	v_alignbit_b32 v9, v11, v8, 30
	v_sub_u32_e32 v14, 0, v13
	v_cndmask_b32_e64 v2, v4, v2, s[2:3]
	v_xor_b32_e32 v9, v9, v14
	v_alignbit_b32 v3, v6, v2, v12
	v_cndmask_b32_e64 v3, v3, v6, s[6:7]
	v_ffbh_u32_e32 v6, v9
	v_alignbit_b32 v4, v8, v3, 30
	v_min_u32_e32 v6, 32, v6
	v_alignbit_b32 v2, v3, v2, 30
	v_xor_b32_e32 v4, v4, v14
	v_sub_u32_e32 v7, 31, v6
	v_xor_b32_e32 v2, v2, v14
	v_alignbit_b32 v8, v9, v4, v7
	v_alignbit_b32 v2, v4, v2, v7
	;; [unrolled: 1-line block ×3, first 2 shown]
	v_ffbh_u32_e32 v4, v3
	v_min_u32_e32 v4, 32, v4
	v_lshrrev_b32_e32 v10, 29, v11
	v_not_b32_e32 v7, v4
	v_alignbit_b32 v2, v3, v2, v7
	v_lshlrev_b32_e32 v3, 31, v10
	v_or_b32_e32 v7, 0x33000000, v3
	v_add_lshl_u32 v4, v4, v6, 23
	v_lshrrev_b32_e32 v2, 9, v2
	v_sub_u32_e32 v4, v7, v4
	v_or_b32_e32 v3, 0.5, v3
	v_lshlrev_b32_e32 v6, 23, v6
	v_or_b32_e32 v2, v4, v2
	v_lshrrev_b32_e32 v4, 9, v8
	v_sub_u32_e32 v3, v3, v6
	v_or_b32_e32 v3, v4, v3
	s_mov_b32 s0, 0x3fc90fda
	v_mul_f32_e32 v4, 0x3fc90fda, v3
	v_fma_f32 v6, v3, s0, -v4
	v_fmac_f32_e32 v6, 0x33a22168, v3
	v_fmac_f32_e32 v6, 0x3fc90fda, v2
	v_lshrrev_b32_e32 v2, 30, v11
	v_add_f32_e32 v3, v4, v6
	v_add_u32_e32 v2, v13, v2
.LBB15_1000:
	s_andn2_saveexec_b64 s[0:1], s[16:17]
	s_cbranch_execz .LBB15_1002
; %bb.1001:
	s_mov_b32 s2, 0x3f22f983
	v_mul_f32_e64 v2, |v5|, s2
	v_rndne_f32_e32 v4, v2
	s_mov_b32 s2, 0xbfc90fda
	v_cvt_i32_f32_e32 v2, v4
	v_fma_f32 v3, v4, s2, |v5|
	v_fmac_f32_e32 v3, 0xb3a22168, v4
	v_fmac_f32_e32 v3, 0xa7c234c4, v4
.LBB15_1002:
	s_or_b64 exec, exec, s[0:1]
	v_mul_f32_e32 v4, v3, v3
	v_mov_b32_e32 v6, 0x3c0881c4
	v_fmac_f32_e32 v6, 0xb94c1982, v4
	v_mov_b32_e32 v7, 0xbe2aaa9d
	v_fmac_f32_e32 v7, v4, v6
	v_mul_f32_e32 v6, v4, v7
	v_fmac_f32_e32 v3, v3, v6
	v_mov_b32_e32 v6, 0xbab64f3b
	v_fmac_f32_e32 v6, 0x37d75334, v4
	v_mov_b32_e32 v7, 0x3d2aabf7
	;; [unrolled: 2-line block ×3, first 2 shown]
	v_fmac_f32_e32 v6, v4, v7
	v_fma_f32 v4, v4, v6, 1.0
	v_and_b32_e32 v6, 1, v2
	v_lshlrev_b32_e32 v2, 30, v2
	v_cmp_eq_u32_e32 vcc, 0, v6
	v_and_b32_e32 v2, 0x80000000, v2
	v_xor_b32_e32 v1, v1, v5
	v_cndmask_b32_e32 v3, v4, v3, vcc
	v_xor_b32_e32 v1, v1, v2
	s_movk_i32 s0, 0x1f8
	v_xor_b32_e32 v1, v1, v3
	v_mov_b32_e32 v2, 0x7fc00000
	v_cmp_class_f32_e64 vcc, v5, s0
	v_cndmask_b32_e32 v1, v2, v1, vcc
	v_div_scale_f32 v2, s[0:1], v5, v5, v1
	v_div_scale_f32 v3, vcc, v1, v5, v1
	v_rcp_f32_e32 v4, v2
	v_fma_f32 v6, -v2, v4, 1.0
	v_fmac_f32_e32 v4, v6, v4
	v_mul_f32_e32 v6, v3, v4
	v_fma_f32 v7, -v2, v6, v3
	v_fmac_f32_e32 v6, v7, v4
	v_fma_f32 v2, -v2, v6, v3
	v_div_fmas_f32 v2, v2, v4, v6
	v_div_fixup_f32 v1, v2, v5, v1
                                        ; implicit-def: $vgpr5
.LBB15_1003:
	s_andn2_saveexec_b64 s[0:1], s[14:15]
	s_cbranch_execz .LBB15_1005
; %bb.1004:
	v_mul_f32_e32 v1, v5, v5
	v_mov_b32_e32 v2, 0xb2d7322b
	v_fmac_f32_e32 v2, 0x2f309231, v1
	v_mov_b32_e32 v3, 0x3638ef1d
	v_fmac_f32_e32 v3, v1, v2
	;; [unrolled: 2-line block ×5, first 2 shown]
	v_fma_f32 v1, v1, v2, 1.0
.LBB15_1005:
	s_or_b64 exec, exec, s[0:1]
.LBB15_1006:
	s_or_b64 exec, exec, s[12:13]
	s_waitcnt lgkmcnt(0)
	v_mov_b32_e32 v2, s25
	s_and_b32 s16, s73, 0xff
	v_add_co_u32_e32 v3, vcc, s24, v0
	s_cmp_lt_i32 s16, 11
	v_addc_co_u32_e32 v4, vcc, 0, v2, vcc
	s_cbranch_scc1 .LBB15_1026
; %bb.1007:
	s_and_b32 s17, 0xffff, s16
	s_mov_b64 s[6:7], -1
	s_cmp_gt_i32 s17, 25
	s_mov_b64 s[0:1], s[54:55]
	s_cbranch_scc0 .LBB15_1044
; %bb.1008:
	s_mov_b64 s[2:3], -1
	s_cmp_gt_i32 s17, 28
	s_mov_b64 s[0:1], s[54:55]
	s_cbranch_scc0 .LBB15_1028
; %bb.1009:
	s_cmp_gt_i32 s17, 43
	s_mov_b64 s[0:1], s[54:55]
	s_cbranch_scc0 .LBB15_1020
; %bb.1010:
	;; [unrolled: 4-line block ×3, first 2 shown]
	s_cmp_eq_u32 s17, 46
	s_mov_b64 s[0:1], -1
	s_cbranch_scc0 .LBB15_1013
; %bb.1012:
	v_bfe_u32 v0, v1, 16, 1
	s_movk_i32 s0, 0x7fff
	v_add3_u32 v0, v1, v0, s0
	v_cmp_o_f32_e32 vcc, v1, v1
	v_mov_b32_e32 v2, 0x7fc0
	v_cndmask_b32_sdwa v0, v2, v0, vcc dst_sel:DWORD dst_unused:UNUSED_PAD src0_sel:DWORD src1_sel:WORD_1
	global_store_dword v[3:4], v0, off
	s_mov_b64 s[0:1], 0
.LBB15_1013:
	s_mov_b64 s[2:3], 0
.LBB15_1014:
	s_and_b64 vcc, exec, s[2:3]
	s_cbranch_vccz .LBB15_1019
; %bb.1015:
	s_cmp_eq_u32 s17, 44
	s_mov_b64 s[0:1], -1
	s_cbranch_scc0 .LBB15_1019
; %bb.1016:
	v_bfe_u32 v0, v1, 23, 8
	s_movk_i32 s0, 0xff
	v_cmp_ne_u32_e32 vcc, s0, v0
	v_mov_b32_e32 v2, 0xff
	s_and_saveexec_b64 s[2:3], vcc
; %bb.1017:
	s_mov_b32 s0, 0x3fffff
	v_and_b32_e32 v5, 0x400000, v1
	v_and_or_b32 v0, v1, s0, v0
	v_cmp_ne_u32_e32 vcc, 0, v5
	v_cmp_ne_u32_e64 s[0:1], 0, v0
	s_and_b64 s[0:1], vcc, s[0:1]
	v_lshrrev_b32_e32 v2, 23, v1
	v_cndmask_b32_e64 v0, 0, 1, s[0:1]
	v_add_u32_e32 v2, v2, v0
; %bb.1018:
	s_or_b64 exec, exec, s[2:3]
	s_mov_b64 s[0:1], 0
	global_store_byte v[3:4], v2, off
.LBB15_1019:
	s_mov_b64 s[2:3], 0
.LBB15_1020:
	s_and_b64 vcc, exec, s[2:3]
	s_cbranch_vccz .LBB15_1027
; %bb.1021:
	s_cmp_eq_u32 s17, 29
	s_mov_b64 s[0:1], -1
	s_cbranch_scc0 .LBB15_1027
; %bb.1022:
	v_trunc_f32_e32 v0, v1
	v_mul_f32_e32 v2, 0x2f800000, v0
	v_floor_f32_e32 v2, v2
	v_fmac_f32_e32 v0, 0xcf800000, v2
	v_cvt_u32_f32_e32 v6, v2
	v_cvt_u32_f32_e32 v5, v0
	s_mov_b64 s[0:1], 0
	s_mov_b64 s[2:3], 0
	global_store_dwordx2 v[3:4], v[5:6], off
	s_branch .LBB15_1028
.LBB15_1023:
	s_or_b64 exec, exec, s[10:11]
	s_and_saveexec_b64 s[0:1], s[54:55]
	s_cbranch_execnz .LBB15_1086
.LBB15_1024:
	s_or_b64 exec, exec, s[0:1]
	s_and_saveexec_b64 s[0:1], s[6:7]
	s_xor_b64 s[0:1], exec, s[0:1]
	s_cbranch_execz .LBB15_1087
.LBB15_1025:
	v_cmp_neq_f32_e32 vcc, 0, v1
	v_cndmask_b32_e64 v0, 0, 1, vcc
	s_waitcnt vmcnt(0)
	global_store_byte v[3:4], v0, off
	s_or_b64 exec, exec, s[0:1]
	s_and_saveexec_b64 s[0:1], s[2:3]
	s_xor_b64 s[0:1], exec, s[0:1]
	s_cbranch_execz .LBB15_1125
	s_branch .LBB15_1088
.LBB15_1026:
	s_mov_b64 s[6:7], 0
	s_mov_b64 s[2:3], -1
	s_mov_b64 s[0:1], s[54:55]
	s_branch .LBB15_1085
.LBB15_1027:
	s_mov_b64 s[2:3], 0
.LBB15_1028:
	s_and_b64 vcc, exec, s[2:3]
	s_cbranch_vccz .LBB15_1043
; %bb.1029:
	s_cmp_lt_i32 s17, 27
	s_mov_b64 s[2:3], -1
	s_cbranch_scc1 .LBB15_1035
; %bb.1030:
	s_cmp_gt_i32 s17, 27
	s_cbranch_scc0 .LBB15_1032
; %bb.1031:
	v_cvt_u32_f32_e32 v0, v1
	s_mov_b64 s[2:3], 0
	global_store_dword v[3:4], v0, off
.LBB15_1032:
	s_andn2_b64 vcc, exec, s[2:3]
	s_cbranch_vccnz .LBB15_1034
; %bb.1033:
	v_cvt_u32_f32_e32 v0, v1
	global_store_short v[3:4], v0, off
.LBB15_1034:
	s_mov_b64 s[2:3], 0
.LBB15_1035:
	s_andn2_b64 vcc, exec, s[2:3]
	s_cbranch_vccnz .LBB15_1043
; %bb.1036:
	v_and_b32_e32 v0, 0x7fffffff, v1
	s_mov_b32 s2, 0x43800000
	v_cmp_gt_u32_e32 vcc, s2, v0
	v_mov_b32_e32 v2, 0x80
	s_and_saveexec_b64 s[2:3], vcc
	s_cbranch_execz .LBB15_1042
; %bb.1037:
	s_mov_b32 s6, 0x3bffffff
	v_cmp_lt_u32_e32 vcc, s6, v0
	s_mov_b64 s[6:7], 0
                                        ; implicit-def: $vgpr0
	s_and_saveexec_b64 s[12:13], vcc
	s_xor_b64 s[12:13], exec, s[12:13]
	s_cbranch_execz .LBB15_1196
; %bb.1038:
	v_bfe_u32 v0, v1, 20, 1
	s_mov_b32 s14, 0x487ffff
	v_add3_u32 v0, v1, v0, s14
	s_mov_b64 s[6:7], exec
	v_lshrrev_b32_e32 v0, 20, v0
	s_andn2_saveexec_b64 s[12:13], s[12:13]
	s_cbranch_execnz .LBB15_1197
.LBB15_1039:
	s_or_b64 exec, exec, s[12:13]
	v_mov_b32_e32 v2, 0
	s_and_saveexec_b64 s[12:13], s[6:7]
.LBB15_1040:
	v_lshrrev_b32_e32 v2, 24, v1
	s_movk_i32 s6, 0x80
	v_and_or_b32 v2, v2, s6, v0
.LBB15_1041:
	s_or_b64 exec, exec, s[12:13]
.LBB15_1042:
	s_or_b64 exec, exec, s[2:3]
	global_store_byte v[3:4], v2, off
.LBB15_1043:
	s_mov_b64 s[6:7], 0
.LBB15_1044:
	s_mov_b64 s[2:3], 0
	s_and_b64 vcc, exec, s[6:7]
	s_cbranch_vccz .LBB15_1084
; %bb.1045:
	s_cmp_gt_i32 s17, 22
	s_mov_b64 s[6:7], -1
	s_cbranch_scc0 .LBB15_1077
; %bb.1046:
	s_cmp_lt_i32 s17, 24
	s_cbranch_scc1 .LBB15_1066
; %bb.1047:
	s_cmp_gt_i32 s17, 24
	s_cbranch_scc0 .LBB15_1055
; %bb.1048:
	v_and_b32_e32 v0, 0x7fffffff, v1
	s_mov_b32 s6, 0x47800000
	v_cmp_gt_u32_e32 vcc, s6, v0
	v_mov_b32_e32 v2, 0x80
	s_and_saveexec_b64 s[6:7], vcc
	s_cbranch_execz .LBB15_1054
; %bb.1049:
	s_mov_b32 s12, 0x37ffffff
	v_cmp_lt_u32_e32 vcc, s12, v0
	s_mov_b64 s[12:13], 0
                                        ; implicit-def: $vgpr0
	s_and_saveexec_b64 s[14:15], vcc
	s_xor_b64 s[14:15], exec, s[14:15]
	s_cbranch_execz .LBB15_1331
; %bb.1050:
	v_bfe_u32 v0, v1, 21, 1
	s_mov_b32 s18, 0x88fffff
	v_add3_u32 v0, v1, v0, s18
	s_mov_b64 s[12:13], exec
	v_lshrrev_b32_e32 v0, 21, v0
	s_andn2_saveexec_b64 s[14:15], s[14:15]
	s_cbranch_execnz .LBB15_1332
.LBB15_1051:
	s_or_b64 exec, exec, s[14:15]
	v_mov_b32_e32 v2, 0
	s_and_saveexec_b64 s[14:15], s[12:13]
.LBB15_1052:
	v_lshrrev_b32_e32 v2, 24, v1
	s_movk_i32 s12, 0x80
	v_and_or_b32 v2, v2, s12, v0
.LBB15_1053:
	s_or_b64 exec, exec, s[14:15]
.LBB15_1054:
	s_or_b64 exec, exec, s[6:7]
	s_mov_b64 s[6:7], 0
	global_store_byte v[3:4], v2, off
.LBB15_1055:
	s_and_b64 vcc, exec, s[6:7]
	s_cbranch_vccz .LBB15_1065
; %bb.1056:
	v_and_b32_e32 v2, 0x7fffffff, v1
	s_mov_b32 s6, 0x43f00000
	v_cmp_gt_u32_e32 vcc, s6, v2
                                        ; implicit-def: $vgpr0
	s_and_saveexec_b64 s[6:7], vcc
	s_xor_b64 s[6:7], exec, s[6:7]
	s_cbranch_execz .LBB15_1062
; %bb.1057:
	s_mov_b32 s12, 0x3c7fffff
	v_cmp_lt_u32_e32 vcc, s12, v2
                                        ; implicit-def: $vgpr0
	s_and_saveexec_b64 s[12:13], vcc
	s_xor_b64 s[12:13], exec, s[12:13]
; %bb.1058:
	v_bfe_u32 v0, v1, 20, 1
	s_mov_b32 s14, 0x407ffff
	v_add3_u32 v0, v1, v0, s14
	v_lshrrev_b32_e32 v2, 20, v0
	v_and_b32_e32 v0, 0xff00000, v0
	s_mov_b32 s14, 0x7f00000
	v_mov_b32_e32 v5, 0x7e
	v_cmp_ne_u32_e32 vcc, s14, v0
	v_cndmask_b32_e32 v0, v5, v2, vcc
; %bb.1059:
	s_andn2_saveexec_b64 s[12:13], s[12:13]
; %bb.1060:
	s_mov_b32 s14, 0x46800000
	v_add_f32_e64 v0, |v1|, s14
; %bb.1061:
	s_or_b64 exec, exec, s[12:13]
                                        ; implicit-def: $vgpr2
.LBB15_1062:
	s_andn2_saveexec_b64 s[6:7], s[6:7]
; %bb.1063:
	s_mov_b32 s12, 0x7f800000
	v_mov_b32_e32 v0, 0x7e
	v_mov_b32_e32 v5, 0x7f
	v_cmp_lt_u32_e32 vcc, s12, v2
	v_cndmask_b32_e32 v0, v0, v5, vcc
; %bb.1064:
	s_or_b64 exec, exec, s[6:7]
	v_lshrrev_b32_e32 v2, 24, v1
	s_movk_i32 s6, 0x80
	v_and_or_b32 v0, v2, s6, v0
	global_store_byte v[3:4], v0, off
.LBB15_1065:
	s_mov_b64 s[6:7], 0
.LBB15_1066:
	s_andn2_b64 vcc, exec, s[6:7]
	s_cbranch_vccnz .LBB15_1076
; %bb.1067:
	v_and_b32_e32 v2, 0x7fffffff, v1
	s_mov_b32 s6, 0x47800000
	v_cmp_gt_u32_e32 vcc, s6, v2
                                        ; implicit-def: $vgpr0
	s_and_saveexec_b64 s[6:7], vcc
	s_xor_b64 s[6:7], exec, s[6:7]
	s_cbranch_execz .LBB15_1073
; %bb.1068:
	s_mov_b32 s12, 0x387fffff
	v_cmp_lt_u32_e32 vcc, s12, v2
                                        ; implicit-def: $vgpr0
	s_and_saveexec_b64 s[12:13], vcc
	s_xor_b64 s[12:13], exec, s[12:13]
; %bb.1069:
	v_bfe_u32 v0, v1, 21, 1
	s_mov_b32 s14, 0x80fffff
	v_add3_u32 v0, v1, v0, s14
	v_lshrrev_b32_e32 v0, 21, v0
; %bb.1070:
	s_andn2_saveexec_b64 s[12:13], s[12:13]
; %bb.1071:
	s_mov_b32 s14, 0x43000000
	v_add_f32_e64 v0, |v1|, s14
; %bb.1072:
	s_or_b64 exec, exec, s[12:13]
                                        ; implicit-def: $vgpr2
.LBB15_1073:
	s_andn2_saveexec_b64 s[6:7], s[6:7]
; %bb.1074:
	s_mov_b32 s12, 0x7f800000
	v_mov_b32_e32 v0, 0x7c
	v_mov_b32_e32 v5, 0x7f
	v_cmp_lt_u32_e32 vcc, s12, v2
	v_cndmask_b32_e32 v0, v0, v5, vcc
; %bb.1075:
	s_or_b64 exec, exec, s[6:7]
	v_lshrrev_b32_e32 v2, 24, v1
	s_movk_i32 s6, 0x80
	v_and_or_b32 v0, v2, s6, v0
	global_store_byte v[3:4], v0, off
.LBB15_1076:
	s_mov_b64 s[6:7], 0
.LBB15_1077:
	s_andn2_b64 vcc, exec, s[6:7]
	s_mov_b64 s[6:7], 0
	s_cbranch_vccnz .LBB15_1085
; %bb.1078:
	s_cmp_gt_i32 s17, 14
	s_mov_b64 s[12:13], -1
	s_cbranch_scc0 .LBB15_1082
; %bb.1079:
	s_cmp_eq_u32 s17, 15
	s_mov_b64 s[0:1], -1
	s_cbranch_scc0 .LBB15_1081
; %bb.1080:
	v_bfe_u32 v0, v1, 16, 1
	s_movk_i32 s0, 0x7fff
	v_add3_u32 v0, v1, v0, s0
	v_cmp_o_f32_e32 vcc, v1, v1
	v_mov_b32_e32 v2, 0x7fc0
	v_cndmask_b32_sdwa v0, v2, v0, vcc dst_sel:DWORD dst_unused:UNUSED_PAD src0_sel:DWORD src1_sel:WORD_1
	global_store_short v[3:4], v0, off
	s_mov_b64 s[0:1], 0
.LBB15_1081:
	s_mov_b64 s[12:13], 0
.LBB15_1082:
	s_and_b64 vcc, exec, s[12:13]
	s_cbranch_vccz .LBB15_1085
; %bb.1083:
	s_cmp_lg_u32 s17, 11
	s_cselect_b64 s[12:13], -1, 0
	s_andn2_b64 s[0:1], s[0:1], exec
	s_and_b64 s[12:13], s[12:13], exec
	s_mov_b64 s[6:7], -1
	s_or_b64 s[0:1], s[0:1], s[12:13]
	s_branch .LBB15_1085
.LBB15_1084:
	s_mov_b64 s[6:7], 0
.LBB15_1085:
	s_andn2_b64 s[12:13], s[54:55], exec
	s_and_b64 s[0:1], s[0:1], exec
	s_and_b64 s[2:3], s[2:3], exec
	;; [unrolled: 1-line block ×3, first 2 shown]
	s_or_b64 s[54:55], s[12:13], s[0:1]
	s_or_b64 exec, exec, s[10:11]
	s_and_saveexec_b64 s[0:1], s[54:55]
	s_cbranch_execz .LBB15_1024
.LBB15_1086:
	s_or_b64 s[8:9], s[8:9], exec
	s_andn2_b64 s[6:7], s[6:7], exec
	s_trap 2
	s_or_b64 exec, exec, s[0:1]
	s_and_saveexec_b64 s[0:1], s[6:7]
	s_xor_b64 s[0:1], exec, s[0:1]
	s_cbranch_execnz .LBB15_1025
.LBB15_1087:
	s_or_b64 exec, exec, s[0:1]
	s_and_saveexec_b64 s[0:1], s[2:3]
	s_xor_b64 s[0:1], exec, s[0:1]
	s_cbranch_execz .LBB15_1125
.LBB15_1088:
	s_sext_i32_i16 s6, s16
	s_cmp_lt_i32 s6, 5
	s_mov_b64 s[2:3], -1
	s_cbranch_scc1 .LBB15_1109
; %bb.1089:
	s_cmp_lt_i32 s6, 8
	s_cbranch_scc1 .LBB15_1099
; %bb.1090:
	s_cmp_lt_i32 s6, 9
	s_cbranch_scc1 .LBB15_1096
; %bb.1091:
	s_cmp_gt_i32 s6, 9
	s_cbranch_scc0 .LBB15_1093
; %bb.1092:
	s_waitcnt vmcnt(0)
	v_cvt_f64_f32_e32 v[5:6], v1
	v_mov_b32_e32 v7, 0
	v_mov_b32_e32 v8, v7
	s_mov_b64 s[2:3], 0
	global_store_dwordx4 v[3:4], v[5:8], off
.LBB15_1093:
	s_andn2_b64 vcc, exec, s[2:3]
	s_cbranch_vccnz .LBB15_1095
; %bb.1094:
	v_mov_b32_e32 v2, 0
	s_waitcnt vmcnt(0)
	global_store_dwordx2 v[3:4], v[1:2], off
.LBB15_1095:
	s_mov_b64 s[2:3], 0
.LBB15_1096:
	s_andn2_b64 vcc, exec, s[2:3]
	s_cbranch_vccnz .LBB15_1098
; %bb.1097:
	v_cvt_f16_f32_e32 v0, v1
	s_waitcnt vmcnt(0)
	global_store_dword v[3:4], v0, off
.LBB15_1098:
	s_mov_b64 s[2:3], 0
.LBB15_1099:
	s_andn2_b64 vcc, exec, s[2:3]
	s_cbranch_vccnz .LBB15_1108
; %bb.1100:
	s_sext_i32_i16 s6, s16
	s_cmp_lt_i32 s6, 6
	s_mov_b64 s[2:3], -1
	s_cbranch_scc1 .LBB15_1106
; %bb.1101:
	s_cmp_gt_i32 s6, 6
	s_cbranch_scc0 .LBB15_1103
; %bb.1102:
	s_waitcnt vmcnt(0)
	v_cvt_f64_f32_e32 v[5:6], v1
	s_mov_b64 s[2:3], 0
	global_store_dwordx2 v[3:4], v[5:6], off
.LBB15_1103:
	s_andn2_b64 vcc, exec, s[2:3]
	s_cbranch_vccnz .LBB15_1105
; %bb.1104:
	s_waitcnt vmcnt(0)
	global_store_dword v[3:4], v1, off
.LBB15_1105:
	s_mov_b64 s[2:3], 0
.LBB15_1106:
	s_andn2_b64 vcc, exec, s[2:3]
	s_cbranch_vccnz .LBB15_1108
; %bb.1107:
	v_cvt_f16_f32_e32 v0, v1
	s_waitcnt vmcnt(0)
	global_store_short v[3:4], v0, off
.LBB15_1108:
	s_mov_b64 s[2:3], 0
.LBB15_1109:
	s_andn2_b64 vcc, exec, s[2:3]
	s_cbranch_vccnz .LBB15_1125
; %bb.1110:
	s_sext_i32_i16 s6, s16
	s_cmp_lt_i32 s6, 2
	s_mov_b64 s[2:3], -1
	s_cbranch_scc1 .LBB15_1120
; %bb.1111:
	s_cmp_lt_i32 s6, 3
	s_cbranch_scc1 .LBB15_1117
; %bb.1112:
	s_cmp_gt_i32 s6, 3
	s_cbranch_scc0 .LBB15_1114
; %bb.1113:
	v_trunc_f32_e32 v0, v1
	s_mov_b32 s2, 0x2f800000
	v_mul_f32_e64 v2, |v0|, s2
	v_floor_f32_e32 v2, v2
	s_mov_b32 s2, 0xcf800000
	s_waitcnt vmcnt(0)
	v_cvt_u32_f32_e32 v5, v2
	v_fma_f32 v2, v2, s2, |v0|
	v_cvt_u32_f32_e32 v2, v2
	v_ashrrev_i32_e32 v0, 31, v0
	v_xor_b32_e32 v6, v5, v0
	s_mov_b64 s[2:3], 0
	v_xor_b32_e32 v2, v2, v0
	v_sub_co_u32_e32 v5, vcc, v2, v0
	v_subb_co_u32_e32 v6, vcc, v6, v0, vcc
	global_store_dwordx2 v[3:4], v[5:6], off
.LBB15_1114:
	s_andn2_b64 vcc, exec, s[2:3]
	s_cbranch_vccnz .LBB15_1116
; %bb.1115:
	v_cvt_i32_f32_e32 v0, v1
	s_waitcnt vmcnt(0)
	global_store_dword v[3:4], v0, off
.LBB15_1116:
	s_mov_b64 s[2:3], 0
.LBB15_1117:
	s_andn2_b64 vcc, exec, s[2:3]
	s_cbranch_vccnz .LBB15_1119
; %bb.1118:
	v_cvt_i32_f32_e32 v0, v1
	s_waitcnt vmcnt(0)
	global_store_short v[3:4], v0, off
.LBB15_1119:
	s_mov_b64 s[2:3], 0
.LBB15_1120:
	s_andn2_b64 vcc, exec, s[2:3]
	s_cbranch_vccnz .LBB15_1125
; %bb.1121:
	s_sext_i32_i16 s2, s16
	s_cmp_gt_i32 s2, 0
	s_mov_b64 s[2:3], -1
	s_cbranch_scc0 .LBB15_1123
; %bb.1122:
	v_cvt_i32_f32_e32 v0, v1
	s_mov_b64 s[2:3], 0
	s_waitcnt vmcnt(0)
	global_store_byte v[3:4], v0, off
.LBB15_1123:
	s_andn2_b64 vcc, exec, s[2:3]
	s_cbranch_vccnz .LBB15_1125
; %bb.1124:
	v_trunc_f32_e32 v0, v1
	s_mov_b32 s2, 0x2f800000
	v_mul_f32_e64 v1, |v0|, s2
	v_floor_f32_e32 v1, v1
	s_mov_b32 s2, 0xcf800000
	v_fma_f32 v1, v1, s2, |v0|
	v_cvt_u32_f32_e32 v1, v1
	v_ashrrev_i32_e32 v0, 31, v0
	v_xor_b32_e32 v1, v1, v0
	v_sub_u32_e32 v0, v1, v0
	s_waitcnt vmcnt(0)
	global_store_byte v[3:4], v0, off
.LBB15_1125:
	s_or_b64 exec, exec, s[0:1]
	s_and_b64 s[6:7], s[8:9], exec
                                        ; implicit-def: $vgpr15
                                        ; implicit-def: $vgpr8
.LBB15_1126:
	s_waitcnt lgkmcnt(0)
	s_or_saveexec_b64 s[28:29], s[44:45]
	s_mov_b64 s[0:1], 0
                                        ; implicit-def: $vgpr0_vgpr1
                                        ; implicit-def: $sgpr16
                                        ; implicit-def: $vgpr7
	s_xor_b64 exec, exec, s[28:29]
	s_cbranch_execz .LBB15_1816
; %bb.1127:
	v_cndmask_b32_e64 v0, 0, 1, s[42:43]
	v_cmp_ne_u32_e64 s[0:1], 1, v0
	s_andn2_b64 vcc, exec, s[42:43]
	s_cbranch_vccnz .LBB15_1133
; %bb.1128:
	s_cmp_lg_u32 s33, 0
	s_mov_b32 s36, 0
	s_cbranch_scc0 .LBB15_1134
; %bb.1129:
	s_min_u32 s37, s72, 15
	s_add_i32 s37, s37, 1
	s_cmp_eq_u32 s72, 2
	s_cbranch_scc1 .LBB15_1135
; %bb.1130:
	s_and_b32 s36, s37, 28
	s_add_u32 s2, s34, 0xc4
	s_addc_u32 s3, s35, 0
	v_mov_b32_e32 v13, 0
	s_mov_b32 s38, 0
	s_mov_b64 s[30:31], s[34:35]
	v_mov_b32_e32 v6, 0
	v_mov_b32_e32 v0, v8
.LBB15_1131:                            ; =>This Inner Loop Header: Depth=1
	s_load_dwordx8 s[16:23], s[30:31], 0x4
	s_load_dwordx4 s[24:27], s[30:31], 0x24
	s_load_dwordx8 s[8:15], s[2:3], 0x0
	s_add_u32 s30, s30, 48
	s_addc_u32 s31, s31, 0
	s_waitcnt lgkmcnt(0)
	v_mul_hi_u32 v1, s17, v0
	s_add_i32 s38, s38, 4
	s_add_u32 s2, s2, 32
	s_addc_u32 s3, s3, 0
	v_add_u32_e32 v1, v0, v1
	v_lshrrev_b32_e32 v1, s18, v1
	v_mul_lo_u32 v2, v1, s16
	s_waitcnt vmcnt(0)
	v_mul_hi_u32 v3, s20, v1
	s_cmp_lg_u32 s36, s38
	v_sub_u32_e32 v0, v0, v2
	v_add_u32_e32 v2, v1, v3
	v_mul_lo_u32 v3, v0, s8
	v_mul_lo_u32 v4, v0, s9
	v_lshrrev_b32_e32 v0, s21, v2
	v_mul_lo_u32 v2, v0, s19
	v_mul_hi_u32 v5, s23, v0
	v_sub_u32_e32 v1, v1, v2
	v_add_u32_e32 v2, v0, v5
	v_lshrrev_b32_e32 v2, s24, v2
	v_mul_hi_u32 v7, s26, v2
	v_mul_lo_u32 v9, v2, s22
	v_mul_lo_u32 v5, v1, s10
	;; [unrolled: 1-line block ×3, first 2 shown]
	v_sub_u32_e32 v9, v0, v9
	v_add_u32_e32 v0, v2, v7
	v_lshrrev_b32_e32 v0, s27, v0
	v_mul_lo_u32 v7, v0, s25
	v_mul_lo_u32 v10, v9, s12
	;; [unrolled: 1-line block ×3, first 2 shown]
	v_add3_u32 v3, v3, v6, v5
	v_sub_u32_e32 v2, v2, v7
	v_mul_lo_u32 v7, v2, s14
	v_mul_lo_u32 v2, v2, s15
	v_add3_u32 v1, v4, v13, v1
	v_add3_u32 v6, v10, v3, v7
	;; [unrolled: 1-line block ×3, first 2 shown]
	s_cbranch_scc1 .LBB15_1131
; %bb.1132:
	s_and_b32 s10, s37, 3
	s_cmp_eq_u32 s10, 0
	s_cbranch_scc0 .LBB15_1136
	s_branch .LBB15_1138
.LBB15_1133:
                                        ; implicit-def: $vgpr6
                                        ; implicit-def: $vgpr13
	s_branch .LBB15_1139
.LBB15_1134:
	v_mov_b32_e32 v6, 0
	v_mov_b32_e32 v13, 0
	s_branch .LBB15_1138
.LBB15_1135:
	v_mov_b32_e32 v6, 0
	v_mov_b32_e32 v13, 0
	;; [unrolled: 1-line block ×3, first 2 shown]
	s_and_b32 s10, s37, 3
	s_cmp_eq_u32 s10, 0
	s_cbranch_scc1 .LBB15_1138
.LBB15_1136:
	s_lshl_b32 s2, s36, 3
	s_add_u32 s2, s34, s2
	s_addc_u32 s3, s35, 0
	s_add_u32 s2, s2, 0xc4
	s_addc_u32 s3, s3, 0
	s_mul_i32 s8, s36, 12
	s_add_u32 s8, s34, s8
	s_addc_u32 s9, s35, 0
.LBB15_1137:                            ; =>This Inner Loop Header: Depth=1
	s_load_dwordx2 s[12:13], s[8:9], 0x4
	s_load_dword s11, s[8:9], 0xc
	s_load_dwordx2 s[14:15], s[2:3], 0x0
	s_add_u32 s8, s8, 12
	s_addc_u32 s9, s9, 0
	s_waitcnt lgkmcnt(0)
	v_mul_hi_u32 v1, s13, v0
	s_add_u32 s2, s2, 8
	s_addc_u32 s3, s3, 0
	s_add_i32 s10, s10, -1
	v_add_u32_e32 v1, v0, v1
	v_lshrrev_b32_e32 v1, s11, v1
	v_mul_lo_u32 v2, v1, s12
	s_cmp_lg_u32 s10, 0
	v_sub_u32_e32 v0, v0, v2
	v_mad_u64_u32 v[6:7], s[12:13], v0, s14, v[6:7]
	v_mad_u64_u32 v[13:14], s[12:13], v0, s15, v[13:14]
	v_mov_b32_e32 v0, v1
	s_cbranch_scc1 .LBB15_1137
.LBB15_1138:
	s_cbranch_execnz .LBB15_1141
.LBB15_1139:
	s_load_dwordx4 s[8:11], s[34:35], 0x4
	s_load_dwordx2 s[2:3], s[34:35], 0xc4
	s_cmp_lt_u32 s33, 2
	s_waitcnt lgkmcnt(0)
	v_mul_hi_u32 v0, s9, v8
	v_add_u32_e32 v0, v8, v0
	v_lshrrev_b32_e32 v0, s10, v0
	v_mul_lo_u32 v1, v0, s8
	v_sub_u32_e32 v1, v8, v1
	v_mul_lo_u32 v6, v1, s2
	v_mul_lo_u32 v13, v1, s3
	s_cbranch_scc1 .LBB15_1141
; %bb.1140:
	s_load_dwordx4 s[8:11], s[34:35], 0x10
	s_load_dwordx2 s[2:3], s[34:35], 0xcc
	s_waitcnt lgkmcnt(0)
	v_mul_hi_u32 v1, s9, v0
	v_add_u32_e32 v1, v0, v1
	v_lshrrev_b32_e32 v1, s10, v1
	v_mul_lo_u32 v1, v1, s8
	v_sub_u32_e32 v0, v0, v1
	v_mad_u64_u32 v[6:7], s[8:9], v0, s2, v[6:7]
	v_mad_u64_u32 v[13:14], s[2:3], v0, s3, v[13:14]
.LBB15_1141:
	s_and_b64 vcc, exec, s[0:1]
	v_add_u32_e32 v0, 0x80, v8
	s_cbranch_vccnz .LBB15_1147
; %bb.1142:
	s_cmp_lg_u32 s33, 0
	s_mov_b32 s36, 0
	s_cbranch_scc0 .LBB15_1148
; %bb.1143:
	s_min_u32 s37, s72, 15
	s_add_i32 s37, s37, 1
	s_cmp_eq_u32 s72, 2
	s_cbranch_scc1 .LBB15_1149
; %bb.1144:
	s_and_b32 s36, s37, 28
	s_add_u32 s2, s34, 0xc4
	s_addc_u32 s3, s35, 0
	v_mov_b32_e32 v11, 0
	s_mov_b32 s38, 0
	s_mov_b64 s[30:31], s[34:35]
	v_mov_b32_e32 v4, 0
	v_mov_b32_e32 v1, v0
.LBB15_1145:                            ; =>This Inner Loop Header: Depth=1
	s_load_dwordx8 s[16:23], s[30:31], 0x4
	s_load_dwordx4 s[24:27], s[30:31], 0x24
	s_load_dwordx8 s[8:15], s[2:3], 0x0
	s_add_u32 s30, s30, 48
	s_addc_u32 s31, s31, 0
	s_waitcnt lgkmcnt(0)
	v_mul_hi_u32 v2, s17, v1
	s_add_i32 s38, s38, 4
	s_add_u32 s2, s2, 32
	s_addc_u32 s3, s3, 0
	v_add_u32_e32 v2, v1, v2
	v_lshrrev_b32_e32 v2, s18, v2
	s_waitcnt vmcnt(0)
	v_mul_lo_u32 v3, v2, s16
	v_mul_hi_u32 v5, s20, v2
	s_cmp_lg_u32 s36, s38
	v_sub_u32_e32 v1, v1, v3
	v_add_u32_e32 v3, v2, v5
	v_mul_lo_u32 v5, v1, s8
	v_mul_lo_u32 v7, v1, s9
	v_lshrrev_b32_e32 v1, s21, v3
	v_mul_lo_u32 v3, v1, s19
	v_mul_hi_u32 v9, s23, v1
	v_sub_u32_e32 v2, v2, v3
	v_add_u32_e32 v3, v1, v9
	v_lshrrev_b32_e32 v3, s24, v3
	v_mul_hi_u32 v10, s26, v3
	v_mul_lo_u32 v12, v3, s22
	v_mul_lo_u32 v9, v2, s10
	;; [unrolled: 1-line block ×3, first 2 shown]
	v_sub_u32_e32 v12, v1, v12
	v_add_u32_e32 v1, v3, v10
	v_lshrrev_b32_e32 v1, s27, v1
	v_mul_lo_u32 v10, v1, s25
	v_mul_lo_u32 v14, v12, s12
	;; [unrolled: 1-line block ×3, first 2 shown]
	v_add3_u32 v4, v5, v4, v9
	v_sub_u32_e32 v3, v3, v10
	v_mul_lo_u32 v10, v3, s14
	v_mul_lo_u32 v3, v3, s15
	v_add3_u32 v2, v7, v11, v2
	v_add3_u32 v4, v14, v4, v10
	;; [unrolled: 1-line block ×3, first 2 shown]
	s_cbranch_scc1 .LBB15_1145
; %bb.1146:
	s_and_b32 s10, s37, 3
	s_cmp_eq_u32 s10, 0
	s_cbranch_scc0 .LBB15_1150
	s_branch .LBB15_1152
.LBB15_1147:
                                        ; implicit-def: $vgpr4
                                        ; implicit-def: $vgpr11
	s_branch .LBB15_1153
.LBB15_1148:
	v_mov_b32_e32 v4, 0
	v_mov_b32_e32 v11, 0
	s_branch .LBB15_1152
.LBB15_1149:
	v_mov_b32_e32 v4, 0
	v_mov_b32_e32 v11, 0
	;; [unrolled: 1-line block ×3, first 2 shown]
	s_and_b32 s10, s37, 3
	s_cmp_eq_u32 s10, 0
	s_cbranch_scc1 .LBB15_1152
.LBB15_1150:
	s_lshl_b32 s2, s36, 3
	s_add_u32 s2, s34, s2
	s_addc_u32 s3, s35, 0
	s_add_u32 s2, s2, 0xc4
	s_addc_u32 s3, s3, 0
	s_mul_i32 s8, s36, 12
	s_add_u32 s8, s34, s8
	s_addc_u32 s9, s35, 0
.LBB15_1151:                            ; =>This Inner Loop Header: Depth=1
	s_load_dwordx2 s[12:13], s[8:9], 0x4
	s_load_dword s11, s[8:9], 0xc
	s_load_dwordx2 s[14:15], s[2:3], 0x0
	s_add_u32 s8, s8, 12
	s_addc_u32 s9, s9, 0
	s_waitcnt lgkmcnt(0)
	v_mul_hi_u32 v2, s13, v1
	s_add_u32 s2, s2, 8
	s_addc_u32 s3, s3, 0
	s_add_i32 s10, s10, -1
	v_add_u32_e32 v2, v1, v2
	v_lshrrev_b32_e32 v2, s11, v2
	s_waitcnt vmcnt(0)
	v_mul_lo_u32 v3, v2, s12
	s_cmp_lg_u32 s10, 0
	v_sub_u32_e32 v1, v1, v3
	v_mad_u64_u32 v[4:5], s[12:13], v1, s14, v[4:5]
	v_mad_u64_u32 v[11:12], s[12:13], v1, s15, v[11:12]
	v_mov_b32_e32 v1, v2
	s_cbranch_scc1 .LBB15_1151
.LBB15_1152:
	s_cbranch_execnz .LBB15_1155
.LBB15_1153:
	s_load_dwordx4 s[8:11], s[34:35], 0x4
	s_load_dwordx2 s[2:3], s[34:35], 0xc4
	s_cmp_lt_u32 s33, 2
	s_waitcnt lgkmcnt(0)
	v_mul_hi_u32 v1, s9, v0
	v_add_u32_e32 v1, v0, v1
	v_lshrrev_b32_e32 v1, s10, v1
	v_mul_lo_u32 v2, v1, s8
	v_sub_u32_e32 v0, v0, v2
	v_mul_lo_u32 v4, v0, s2
	v_mul_lo_u32 v11, v0, s3
	s_cbranch_scc1 .LBB15_1155
; %bb.1154:
	s_load_dwordx4 s[8:11], s[34:35], 0x10
	s_load_dwordx2 s[2:3], s[34:35], 0xcc
	s_waitcnt lgkmcnt(0)
	v_mul_hi_u32 v0, s9, v1
	v_add_u32_e32 v0, v1, v0
	v_lshrrev_b32_e32 v0, s10, v0
	v_mul_lo_u32 v0, v0, s8
	v_sub_u32_e32 v0, v1, v0
	s_waitcnt vmcnt(0)
	v_mad_u64_u32 v[4:5], s[8:9], v0, s2, v[4:5]
	v_mad_u64_u32 v[11:12], s[2:3], v0, s3, v[11:12]
.LBB15_1155:
	s_and_b64 vcc, exec, s[0:1]
	v_add_u32_e32 v0, 0x100, v8
	s_cbranch_vccnz .LBB15_1161
; %bb.1156:
	s_cmp_lg_u32 s33, 0
	s_mov_b32 s36, 0
	s_cbranch_scc0 .LBB15_1162
; %bb.1157:
	s_min_u32 s37, s72, 15
	s_add_i32 s37, s37, 1
	s_cmp_eq_u32 s72, 2
	s_cbranch_scc1 .LBB15_1163
; %bb.1158:
	s_and_b32 s36, s37, 28
	s_add_u32 s2, s34, 0xc4
	s_addc_u32 s3, s35, 0
	v_mov_b32_e32 v9, 0
	s_mov_b32 s38, 0
	s_mov_b64 s[30:31], s[34:35]
	v_mov_b32_e32 v2, 0
	v_mov_b32_e32 v1, v0
.LBB15_1159:                            ; =>This Inner Loop Header: Depth=1
	s_load_dwordx8 s[16:23], s[30:31], 0x4
	s_load_dwordx4 s[24:27], s[30:31], 0x24
	s_load_dwordx8 s[8:15], s[2:3], 0x0
	s_add_u32 s30, s30, 48
	s_addc_u32 s31, s31, 0
	s_waitcnt vmcnt(0) lgkmcnt(0)
	v_mul_hi_u32 v3, s17, v1
	s_add_i32 s38, s38, 4
	s_add_u32 s2, s2, 32
	s_addc_u32 s3, s3, 0
	v_add_u32_e32 v3, v1, v3
	v_lshrrev_b32_e32 v3, s18, v3
	v_mul_lo_u32 v5, v3, s16
	v_mul_hi_u32 v7, s20, v3
	s_cmp_lg_u32 s36, s38
	v_sub_u32_e32 v1, v1, v5
	v_add_u32_e32 v5, v3, v7
	v_mul_lo_u32 v7, v1, s8
	v_mul_lo_u32 v8, v1, s9
	v_lshrrev_b32_e32 v1, s21, v5
	v_mul_lo_u32 v5, v1, s19
	v_mul_hi_u32 v10, s23, v1
	v_sub_u32_e32 v3, v3, v5
	v_add_u32_e32 v5, v1, v10
	v_lshrrev_b32_e32 v5, s24, v5
	v_mul_hi_u32 v12, s26, v5
	v_mul_lo_u32 v14, v5, s22
	v_mul_lo_u32 v10, v3, s10
	;; [unrolled: 1-line block ×3, first 2 shown]
	v_sub_u32_e32 v14, v1, v14
	v_add_u32_e32 v1, v5, v12
	v_lshrrev_b32_e32 v1, s27, v1
	v_mul_lo_u32 v12, v1, s25
	v_mul_lo_u32 v16, v14, s12
	;; [unrolled: 1-line block ×3, first 2 shown]
	v_add3_u32 v2, v7, v2, v10
	v_sub_u32_e32 v5, v5, v12
	v_mul_lo_u32 v12, v5, s14
	v_mul_lo_u32 v5, v5, s15
	v_add3_u32 v3, v8, v9, v3
	v_add3_u32 v2, v16, v2, v12
	;; [unrolled: 1-line block ×3, first 2 shown]
	s_cbranch_scc1 .LBB15_1159
; %bb.1160:
	s_and_b32 s10, s37, 3
	s_cmp_eq_u32 s10, 0
	s_cbranch_scc0 .LBB15_1164
	s_branch .LBB15_1166
.LBB15_1161:
                                        ; implicit-def: $vgpr2
                                        ; implicit-def: $vgpr9
	s_branch .LBB15_1167
.LBB15_1162:
	v_mov_b32_e32 v2, 0
	v_mov_b32_e32 v9, 0
	s_branch .LBB15_1166
.LBB15_1163:
	v_mov_b32_e32 v2, 0
	v_mov_b32_e32 v9, 0
	;; [unrolled: 1-line block ×3, first 2 shown]
	s_and_b32 s10, s37, 3
	s_cmp_eq_u32 s10, 0
	s_cbranch_scc1 .LBB15_1166
.LBB15_1164:
	s_lshl_b32 s2, s36, 3
	s_add_u32 s2, s34, s2
	s_addc_u32 s3, s35, 0
	s_add_u32 s2, s2, 0xc4
	s_addc_u32 s3, s3, 0
	s_mul_i32 s8, s36, 12
	s_add_u32 s8, s34, s8
	s_addc_u32 s9, s35, 0
.LBB15_1165:                            ; =>This Inner Loop Header: Depth=1
	s_load_dwordx2 s[12:13], s[8:9], 0x4
	s_load_dword s11, s[8:9], 0xc
	s_load_dwordx2 s[14:15], s[2:3], 0x0
	s_add_u32 s8, s8, 12
	s_addc_u32 s9, s9, 0
	s_waitcnt vmcnt(0) lgkmcnt(0)
	v_mul_hi_u32 v3, s13, v1
	s_add_u32 s2, s2, 8
	s_addc_u32 s3, s3, 0
	s_add_i32 s10, s10, -1
	v_add_u32_e32 v3, v1, v3
	v_lshrrev_b32_e32 v5, s11, v3
	v_mul_lo_u32 v3, v5, s12
	s_cmp_lg_u32 s10, 0
	v_sub_u32_e32 v1, v1, v3
	v_mad_u64_u32 v[2:3], s[12:13], v1, s14, v[2:3]
	v_mad_u64_u32 v[9:10], s[12:13], v1, s15, v[9:10]
	v_mov_b32_e32 v1, v5
	s_cbranch_scc1 .LBB15_1165
.LBB15_1166:
	s_cbranch_execnz .LBB15_1169
.LBB15_1167:
	s_load_dwordx4 s[8:11], s[34:35], 0x4
	s_load_dwordx2 s[2:3], s[34:35], 0xc4
	s_cmp_lt_u32 s33, 2
	s_waitcnt lgkmcnt(0)
	v_mul_hi_u32 v1, s9, v0
	v_add_u32_e32 v1, v0, v1
	v_lshrrev_b32_e32 v1, s10, v1
	v_mul_lo_u32 v2, v1, s8
	v_sub_u32_e32 v0, v0, v2
	v_mul_lo_u32 v2, v0, s2
	v_mul_lo_u32 v9, v0, s3
	s_cbranch_scc1 .LBB15_1169
; %bb.1168:
	s_load_dwordx4 s[8:11], s[34:35], 0x10
	s_load_dwordx2 s[2:3], s[34:35], 0xcc
	s_waitcnt lgkmcnt(0)
	v_mul_hi_u32 v0, s9, v1
	v_add_u32_e32 v0, v1, v0
	v_lshrrev_b32_e32 v0, s10, v0
	v_mul_lo_u32 v0, v0, s8
	v_sub_u32_e32 v0, v1, v0
	s_waitcnt vmcnt(0)
	v_mad_u64_u32 v[2:3], s[8:9], v0, s2, v[2:3]
	v_mad_u64_u32 v[9:10], s[2:3], v0, s3, v[9:10]
.LBB15_1169:
	s_and_b64 vcc, exec, s[0:1]
	s_cbranch_vccnz .LBB15_1175
; %bb.1170:
	s_cmp_lg_u32 s33, 0
	s_mov_b32 s30, 0
	s_cbranch_scc0 .LBB15_1176
; %bb.1171:
	s_min_u32 s31, s72, 15
	s_add_i32 s31, s31, 1
	s_cmp_eq_u32 s72, 2
	s_cbranch_scc1 .LBB15_1177
; %bb.1172:
	s_and_b32 s30, s31, 28
	s_add_u32 s24, s34, 0xc4
	s_addc_u32 s25, s35, 0
	v_mov_b32_e32 v7, 0
	s_mov_b32 s36, 0
	s_mov_b64 s[26:27], s[34:35]
	v_mov_b32_e32 v0, 0
	v_mov_b32_e32 v1, v15
.LBB15_1173:                            ; =>This Inner Loop Header: Depth=1
	s_load_dwordx8 s[16:23], s[26:27], 0x4
	s_load_dwordx4 s[0:3], s[26:27], 0x24
	s_load_dwordx8 s[8:15], s[24:25], 0x0
	s_add_u32 s26, s26, 48
	s_addc_u32 s27, s27, 0
	s_waitcnt vmcnt(0) lgkmcnt(0)
	v_mul_hi_u32 v3, s17, v1
	s_add_i32 s36, s36, 4
	s_add_u32 s24, s24, 32
	s_addc_u32 s25, s25, 0
	v_add_u32_e32 v3, v1, v3
	v_lshrrev_b32_e32 v3, s18, v3
	v_mul_lo_u32 v5, v3, s16
	v_mul_hi_u32 v8, s20, v3
	s_cmp_lg_u32 s30, s36
	v_sub_u32_e32 v1, v1, v5
	v_add_u32_e32 v5, v3, v8
	v_mul_lo_u32 v8, v1, s8
	v_mul_lo_u32 v10, v1, s9
	v_lshrrev_b32_e32 v1, s21, v5
	v_mul_lo_u32 v5, v1, s19
	v_mul_hi_u32 v12, s23, v1
	v_sub_u32_e32 v3, v3, v5
	v_add_u32_e32 v5, v1, v12
	v_lshrrev_b32_e32 v5, s0, v5
	v_mul_hi_u32 v14, s2, v5
	v_mul_lo_u32 v16, v5, s22
	v_mul_lo_u32 v12, v3, s10
	;; [unrolled: 1-line block ×3, first 2 shown]
	v_sub_u32_e32 v16, v1, v16
	v_add_u32_e32 v1, v5, v14
	v_lshrrev_b32_e32 v1, s3, v1
	v_mul_lo_u32 v14, v1, s1
	v_mul_lo_u32 v17, v16, s12
	v_mul_lo_u32 v16, v16, s13
	v_add3_u32 v0, v8, v0, v12
	v_sub_u32_e32 v5, v5, v14
	v_mul_lo_u32 v14, v5, s14
	v_mul_lo_u32 v5, v5, s15
	v_add3_u32 v3, v10, v7, v3
	v_add3_u32 v0, v17, v0, v14
	;; [unrolled: 1-line block ×3, first 2 shown]
	s_cbranch_scc1 .LBB15_1173
; %bb.1174:
	s_and_b32 s8, s31, 3
	s_cmp_eq_u32 s8, 0
	s_cbranch_scc0 .LBB15_1178
	s_branch .LBB15_1180
.LBB15_1175:
                                        ; implicit-def: $vgpr0
                                        ; implicit-def: $vgpr7
	s_branch .LBB15_1181
.LBB15_1176:
	v_mov_b32_e32 v0, 0
	v_mov_b32_e32 v7, 0
	s_branch .LBB15_1180
.LBB15_1177:
	v_mov_b32_e32 v0, 0
	v_mov_b32_e32 v7, 0
	;; [unrolled: 1-line block ×3, first 2 shown]
	s_and_b32 s8, s31, 3
	s_cmp_eq_u32 s8, 0
	s_cbranch_scc1 .LBB15_1180
.LBB15_1178:
	s_lshl_b32 s0, s30, 3
	s_add_u32 s0, s34, s0
	s_addc_u32 s1, s35, 0
	s_add_u32 s0, s0, 0xc4
	s_addc_u32 s1, s1, 0
	s_mul_i32 s2, s30, 12
	s_add_u32 s2, s34, s2
	s_addc_u32 s3, s35, 0
.LBB15_1179:                            ; =>This Inner Loop Header: Depth=1
	s_load_dwordx2 s[10:11], s[2:3], 0x4
	s_load_dword s9, s[2:3], 0xc
	s_load_dwordx2 s[12:13], s[0:1], 0x0
	s_add_u32 s2, s2, 12
	s_addc_u32 s3, s3, 0
	s_waitcnt vmcnt(0) lgkmcnt(0)
	v_mul_hi_u32 v3, s11, v1
	s_add_u32 s0, s0, 8
	s_addc_u32 s1, s1, 0
	s_add_i32 s8, s8, -1
	v_add_u32_e32 v3, v1, v3
	v_lshrrev_b32_e32 v3, s9, v3
	v_mul_lo_u32 v5, v3, s10
	s_cmp_lg_u32 s8, 0
	v_sub_u32_e32 v5, v1, v5
	v_mad_u64_u32 v[0:1], s[10:11], v5, s12, v[0:1]
	v_mad_u64_u32 v[7:8], s[10:11], v5, s13, v[7:8]
	v_mov_b32_e32 v1, v3
	s_cbranch_scc1 .LBB15_1179
.LBB15_1180:
	s_cbranch_execnz .LBB15_1183
.LBB15_1181:
	s_load_dwordx4 s[0:3], s[34:35], 0x4
	s_load_dwordx2 s[8:9], s[34:35], 0xc4
	s_cmp_lt_u32 s33, 2
	s_waitcnt lgkmcnt(0)
	v_mul_hi_u32 v0, s1, v15
	v_add_u32_e32 v0, v15, v0
	v_lshrrev_b32_e32 v1, s2, v0
	v_mul_lo_u32 v0, v1, s0
	s_waitcnt vmcnt(0)
	v_sub_u32_e32 v3, v15, v0
	v_mul_lo_u32 v0, v3, s8
	v_mul_lo_u32 v7, v3, s9
	s_cbranch_scc1 .LBB15_1183
; %bb.1182:
	s_load_dwordx4 s[0:3], s[34:35], 0x10
	s_load_dwordx2 s[8:9], s[34:35], 0xcc
	s_waitcnt lgkmcnt(0)
	v_mul_hi_u32 v3, s1, v1
	v_add_u32_e32 v3, v1, v3
	v_lshrrev_b32_e32 v3, s2, v3
	v_mul_lo_u32 v3, v3, s0
	v_sub_u32_e32 v3, v1, v3
	v_mad_u64_u32 v[0:1], s[0:1], v3, s8, v[0:1]
	v_mad_u64_u32 v[7:8], s[0:1], v3, s9, v[7:8]
.LBB15_1183:
	s_load_dwordx4 s[8:11], s[34:35], 0x148
	s_load_dword s20, s[4:5], 0x160
	s_waitcnt lgkmcnt(0)
	v_mov_b32_e32 v1, s11
	s_bfe_u32 s16, s20, 0x80010
	v_add_co_u32_e32 v12, vcc, s10, v13
	s_cmp_lt_i32 s16, 11
	v_addc_co_u32_e32 v13, vcc, 0, v1, vcc
	s_cbranch_scc1 .LBB15_1190
; %bb.1184:
	s_and_b32 s17, 0xffff, s16
	s_cmp_gt_i32 s17, 25
	s_mov_b64 s[2:3], 0
	s_cbranch_scc0 .LBB15_1192
; %bb.1185:
	s_cmp_gt_i32 s17, 28
	s_cbranch_scc0 .LBB15_1193
; %bb.1186:
	s_cmp_gt_i32 s17, 43
	;; [unrolled: 3-line block ×3, first 2 shown]
	s_cbranch_scc0 .LBB15_1195
; %bb.1188:
	s_cmp_eq_u32 s17, 46
	s_mov_b64 s[12:13], 0
	s_cbranch_scc0 .LBB15_1198
; %bb.1189:
	global_load_dword v1, v[12:13], off
	s_mov_b64 s[0:1], 0
	s_mov_b64 s[4:5], -1
	s_waitcnt vmcnt(0)
	v_lshlrev_b32_e32 v1, 16, v1
	s_branch .LBB15_1199
.LBB15_1190:
	s_mov_b64 s[4:5], 0
                                        ; implicit-def: $vgpr1
	s_mov_b64 s[12:13], s[6:7]
	s_cbranch_execnz .LBB15_1262
.LBB15_1191:
	s_andn2_b64 vcc, exec, s[4:5]
	s_cbranch_vccz .LBB15_1307
	s_branch .LBB15_1813
.LBB15_1192:
	s_mov_b64 s[4:5], 0
	s_mov_b64 s[0:1], 0
                                        ; implicit-def: $vgpr1
	s_cbranch_execnz .LBB15_1227
	s_branch .LBB15_1258
.LBB15_1193:
	s_mov_b64 s[12:13], -1
	s_mov_b64 s[4:5], 0
	s_mov_b64 s[0:1], 0
                                        ; implicit-def: $vgpr1
	s_branch .LBB15_1208
.LBB15_1194:
	s_mov_b64 s[4:5], 0
	s_mov_b64 s[0:1], 0
                                        ; implicit-def: $vgpr1
	s_cbranch_execnz .LBB15_1204
	s_branch .LBB15_1207
.LBB15_1195:
	s_mov_b64 s[12:13], -1
	s_mov_b64 s[4:5], 0
	s_mov_b64 s[0:1], 0
                                        ; implicit-def: $vgpr1
	s_branch .LBB15_1199
.LBB15_1196:
	s_andn2_saveexec_b64 s[12:13], s[12:13]
	s_cbranch_execz .LBB15_1039
.LBB15_1197:
	s_mov_b32 s14, 0x46000000
	v_add_f32_e64 v0, |v1|, s14
	v_and_b32_e32 v0, 0xff, v0
	v_cmp_ne_u32_e32 vcc, 0, v0
	s_andn2_b64 s[6:7], s[6:7], exec
	s_and_b64 s[14:15], vcc, exec
	s_or_b64 s[6:7], s[6:7], s[14:15]
	s_or_b64 exec, exec, s[12:13]
	v_mov_b32_e32 v2, 0
	s_and_saveexec_b64 s[12:13], s[6:7]
	s_cbranch_execnz .LBB15_1040
	s_branch .LBB15_1041
.LBB15_1198:
	s_mov_b64 s[0:1], -1
                                        ; implicit-def: $vgpr1
	s_mov_b64 s[4:5], 0
.LBB15_1199:
	s_and_b64 vcc, exec, s[12:13]
	s_cbranch_vccz .LBB15_1202
; %bb.1200:
	s_cmp_eq_u32 s17, 44
	s_cbranch_scc0 .LBB15_1203
; %bb.1201:
	global_load_ubyte v1, v[12:13], off
	s_movk_i32 s4, 0xff
	s_waitcnt vmcnt(1)
	v_mov_b32_e32 v3, 0x7f800001
	v_mov_b32_e32 v5, 0x400000
	s_mov_b64 s[0:1], 0
	s_waitcnt vmcnt(0)
	v_lshlrev_b32_e32 v8, 23, v1
	v_cmp_ne_u32_e32 vcc, s4, v1
	v_cndmask_b32_e32 v3, v3, v8, vcc
	v_cmp_ne_u32_e32 vcc, 0, v1
	v_cndmask_b32_e32 v1, v5, v3, vcc
	s_mov_b64 s[4:5], -1
.LBB15_1202:
	s_branch .LBB15_1207
.LBB15_1203:
	s_mov_b64 s[0:1], -1
                                        ; implicit-def: $vgpr1
	s_branch .LBB15_1207
.LBB15_1204:
	s_cmp_eq_u32 s17, 29
	s_cbranch_scc0 .LBB15_1206
; %bb.1205:
	global_load_dwordx2 v[14:15], v[12:13], off
	s_mov_b64 s[0:1], 0
	s_mov_b64 s[4:5], -1
	s_mov_b64 s[12:13], 0
	s_waitcnt vmcnt(0)
	v_ffbh_u32_e32 v1, v15
	v_min_u32_e32 v1, 32, v1
	v_lshlrev_b64 v[14:15], v1, v[14:15]
	v_sub_u32_e32 v1, 32, v1
	v_min_u32_e32 v3, 1, v14
	v_or_b32_e32 v3, v15, v3
	v_cvt_f32_u32_e32 v3, v3
	v_ldexp_f32 v1, v3, v1
	s_branch .LBB15_1208
.LBB15_1206:
	s_mov_b64 s[0:1], -1
                                        ; implicit-def: $vgpr1
.LBB15_1207:
	s_mov_b64 s[12:13], 0
.LBB15_1208:
	s_and_b64 vcc, exec, s[12:13]
	s_cbranch_vccz .LBB15_1226
; %bb.1209:
	s_cmp_lt_i32 s17, 27
	s_cbranch_scc1 .LBB15_1212
; %bb.1210:
	s_cmp_gt_i32 s17, 27
	s_cbranch_scc0 .LBB15_1213
; %bb.1211:
	global_load_dword v1, v[12:13], off
	s_mov_b64 s[4:5], 0
	s_waitcnt vmcnt(0)
	v_cvt_f32_u32_e32 v1, v1
	s_branch .LBB15_1214
.LBB15_1212:
	s_mov_b64 s[4:5], -1
                                        ; implicit-def: $vgpr1
	s_branch .LBB15_1217
.LBB15_1213:
	s_mov_b64 s[4:5], -1
                                        ; implicit-def: $vgpr1
.LBB15_1214:
	s_andn2_b64 vcc, exec, s[4:5]
	s_cbranch_vccnz .LBB15_1216
; %bb.1215:
	global_load_ushort v1, v[12:13], off
	s_waitcnt vmcnt(0)
	v_cvt_f32_u32_e32 v1, v1
.LBB15_1216:
	s_mov_b64 s[4:5], 0
.LBB15_1217:
	s_andn2_b64 vcc, exec, s[4:5]
	s_cbranch_vccnz .LBB15_1225
; %bb.1218:
	global_load_ubyte v3, v[12:13], off
	s_movk_i32 s4, 0x7f
	s_waitcnt vmcnt(0)
	v_cmp_lt_i16_e32 vcc, s4, v3
	s_mov_b64 s[4:5], 0
	s_and_saveexec_b64 s[12:13], vcc
	s_xor_b64 s[12:13], exec, s[12:13]
	s_cbranch_execz .LBB15_1238
; %bb.1219:
	s_movk_i32 s4, 0x80
	v_cmp_eq_u16_e32 vcc, s4, v3
	s_mov_b64 s[4:5], -1
	s_and_saveexec_b64 s[14:15], vcc
; %bb.1220:
	s_xor_b64 s[4:5], exec, -1
; %bb.1221:
	s_or_b64 exec, exec, s[14:15]
	s_and_b64 s[4:5], s[4:5], exec
	s_or_saveexec_b64 s[12:13], s[12:13]
	v_mov_b32_e32 v1, 0x7f800001
	s_xor_b64 exec, exec, s[12:13]
	s_cbranch_execnz .LBB15_1239
.LBB15_1222:
	s_or_b64 exec, exec, s[12:13]
	s_and_saveexec_b64 s[12:13], s[4:5]
	s_cbranch_execz .LBB15_1224
.LBB15_1223:
	v_lshlrev_b32_e32 v1, 24, v3
	v_and_b32_e32 v3, 0xffff, v3
	v_and_b32_e32 v5, 7, v3
	v_ffbh_u32_e32 v10, v5
	v_min_u32_e32 v10, 32, v10
	v_subrev_u32_e32 v14, 28, v10
	v_bfe_u32 v8, v3, 3, 4
	v_lshlrev_b32_e32 v3, v14, v3
	v_sub_u32_e32 v10, 29, v10
	v_and_b32_e32 v3, 7, v3
	v_cmp_eq_u32_e32 vcc, 0, v8
	v_cndmask_b32_e32 v8, v8, v10, vcc
	v_cndmask_b32_e32 v3, v5, v3, vcc
	v_mov_b32_e32 v5, 0x3b800000
	v_lshlrev_b32_e32 v3, 20, v3
	v_and_b32_e32 v1, 0x80000000, v1
	v_lshl_add_u32 v5, v8, 23, v5
	v_or3_b32 v1, v1, v5, v3
.LBB15_1224:
	s_or_b64 exec, exec, s[12:13]
.LBB15_1225:
	s_mov_b64 s[4:5], -1
.LBB15_1226:
	s_branch .LBB15_1258
.LBB15_1227:
	s_cmp_gt_i32 s17, 22
	s_cbranch_scc0 .LBB15_1237
; %bb.1228:
	s_cmp_lt_i32 s17, 24
	s_cbranch_scc1 .LBB15_1240
; %bb.1229:
	s_cmp_gt_i32 s17, 24
	s_cbranch_scc0 .LBB15_1241
; %bb.1230:
	global_load_ubyte v3, v[12:13], off
	s_movk_i32 s2, 0x7f
	s_waitcnt vmcnt(0)
	v_cmp_lt_i16_e32 vcc, s2, v3
	s_mov_b64 s[2:3], 0
	s_and_saveexec_b64 s[4:5], vcc
	s_xor_b64 s[4:5], exec, s[4:5]
	s_cbranch_execz .LBB15_1252
; %bb.1231:
	s_movk_i32 s2, 0x80
	v_cmp_eq_u16_e32 vcc, s2, v3
	s_mov_b64 s[2:3], -1
	s_and_saveexec_b64 s[12:13], vcc
; %bb.1232:
	s_xor_b64 s[2:3], exec, -1
; %bb.1233:
	s_or_b64 exec, exec, s[12:13]
	s_and_b64 s[2:3], s[2:3], exec
	s_or_saveexec_b64 s[4:5], s[4:5]
	v_mov_b32_e32 v1, 0x7f800001
	s_xor_b64 exec, exec, s[4:5]
	s_cbranch_execnz .LBB15_1253
.LBB15_1234:
	s_or_b64 exec, exec, s[4:5]
	s_and_saveexec_b64 s[4:5], s[2:3]
	s_cbranch_execz .LBB15_1236
.LBB15_1235:
	v_lshlrev_b32_e32 v1, 24, v3
	v_and_b32_e32 v3, 0xffff, v3
	v_and_b32_e32 v5, 3, v3
	v_ffbh_u32_e32 v10, v5
	v_min_u32_e32 v10, 32, v10
	v_subrev_u32_e32 v14, 29, v10
	v_bfe_u32 v8, v3, 2, 5
	v_lshlrev_b32_e32 v3, v14, v3
	v_sub_u32_e32 v10, 30, v10
	v_and_b32_e32 v3, 3, v3
	v_cmp_eq_u32_e32 vcc, 0, v8
	v_cndmask_b32_e32 v8, v8, v10, vcc
	v_cndmask_b32_e32 v3, v5, v3, vcc
	v_mov_b32_e32 v5, 0x37800000
	v_lshlrev_b32_e32 v3, 21, v3
	v_and_b32_e32 v1, 0x80000000, v1
	v_lshl_add_u32 v5, v8, 23, v5
	v_or3_b32 v1, v1, v5, v3
.LBB15_1236:
	s_or_b64 exec, exec, s[4:5]
	s_mov_b64 s[2:3], 0
	s_branch .LBB15_1242
.LBB15_1237:
                                        ; implicit-def: $vgpr1
	s_mov_b64 s[2:3], 0
	s_branch .LBB15_1248
.LBB15_1238:
	s_or_saveexec_b64 s[12:13], s[12:13]
	v_mov_b32_e32 v1, 0x7f800001
	s_xor_b64 exec, exec, s[12:13]
	s_cbranch_execz .LBB15_1222
.LBB15_1239:
	v_cmp_ne_u16_e32 vcc, 0, v3
	s_andn2_b64 s[4:5], s[4:5], exec
	s_and_b64 s[14:15], vcc, exec
	v_mov_b32_e32 v1, 0
	s_or_b64 s[4:5], s[4:5], s[14:15]
	s_or_b64 exec, exec, s[12:13]
	s_and_saveexec_b64 s[12:13], s[4:5]
	s_cbranch_execnz .LBB15_1223
	s_branch .LBB15_1224
.LBB15_1240:
	s_mov_b64 s[2:3], -1
                                        ; implicit-def: $vgpr1
	s_branch .LBB15_1245
.LBB15_1241:
	s_mov_b64 s[2:3], -1
                                        ; implicit-def: $vgpr1
.LBB15_1242:
	s_and_b64 vcc, exec, s[2:3]
	s_cbranch_vccz .LBB15_1244
; %bb.1243:
	global_load_ubyte v1, v[12:13], off
	s_mov_b32 s2, 0x7f800000
	s_waitcnt vmcnt(0)
	v_lshlrev_b32_e32 v1, 24, v1
	v_and_b32_e32 v3, 0x7f000000, v1
	v_ffbh_u32_e32 v5, v3
	v_min_u32_e32 v5, 32, v5
	v_sub_u32_e64 v5, v5, 4 clamp
	v_lshlrev_b32_e32 v10, v5, v3
	v_lshlrev_b32_e32 v5, 23, v5
	v_lshrrev_b32_e32 v10, 4, v10
	v_add_u32_e32 v8, 0x1000000, v3
	v_sub_u32_e32 v5, v10, v5
	v_ashrrev_i32_e32 v8, 8, v8
	v_add_u32_e32 v5, 0x3c000000, v5
	v_and_or_b32 v5, v8, s2, v5
	v_cmp_ne_u32_e32 vcc, 0, v3
	v_cndmask_b32_e32 v3, 0, v5, vcc
	s_brev_b32 s2, 1
	v_and_or_b32 v1, v1, s2, v3
.LBB15_1244:
	s_mov_b64 s[2:3], 0
.LBB15_1245:
	s_andn2_b64 vcc, exec, s[2:3]
	s_cbranch_vccnz .LBB15_1247
; %bb.1246:
	global_load_ubyte v1, v[12:13], off
	s_movk_i32 s2, 0x7f00
	s_brev_b32 s3, 16
	s_waitcnt vmcnt(0)
	v_lshlrev_b16_e32 v3, 8, v1
	v_lshlrev_b32_e32 v1, 25, v1
	v_lshrrev_b32_e32 v5, 4, v1
	v_and_or_b32 v8, v3, s2, 0.5
	v_or_b32_e32 v5, 0x70000000, v5
	v_add_f32_e32 v8, -0.5, v8
	v_mul_f32_e32 v5, 0x7800000, v5
	v_cmp_gt_u32_e32 vcc, s3, v1
	v_bfe_i32 v3, v3, 0, 16
	v_cndmask_b32_e32 v1, v5, v8, vcc
	s_brev_b32 s2, 1
	v_and_or_b32 v1, v3, s2, v1
.LBB15_1247:
	s_mov_b64 s[4:5], -1
	s_mov_b64 s[2:3], 0
	s_cbranch_execnz .LBB15_1258
.LBB15_1248:
	s_cmp_gt_i32 s17, 14
	s_cbranch_scc0 .LBB15_1251
; %bb.1249:
	s_cmp_eq_u32 s17, 15
	s_cbranch_scc0 .LBB15_1254
; %bb.1250:
	global_load_ushort v1, v[12:13], off
	s_mov_b64 s[0:1], 0
	s_mov_b64 s[4:5], -1
	s_waitcnt vmcnt(0)
	v_lshlrev_b32_e32 v1, 16, v1
	s_branch .LBB15_1255
.LBB15_1251:
	s_mov_b64 s[12:13], -1
                                        ; implicit-def: $vgpr1
	s_branch .LBB15_1256
.LBB15_1252:
	s_or_saveexec_b64 s[4:5], s[4:5]
	v_mov_b32_e32 v1, 0x7f800001
	s_xor_b64 exec, exec, s[4:5]
	s_cbranch_execz .LBB15_1234
.LBB15_1253:
	v_cmp_ne_u16_e32 vcc, 0, v3
	s_andn2_b64 s[2:3], s[2:3], exec
	s_and_b64 s[12:13], vcc, exec
	v_mov_b32_e32 v1, 0
	s_or_b64 s[2:3], s[2:3], s[12:13]
	s_or_b64 exec, exec, s[4:5]
	s_and_saveexec_b64 s[4:5], s[2:3]
	s_cbranch_execnz .LBB15_1235
	s_branch .LBB15_1236
.LBB15_1254:
	s_mov_b64 s[0:1], -1
                                        ; implicit-def: $vgpr1
.LBB15_1255:
	s_mov_b64 s[12:13], 0
.LBB15_1256:
	s_and_b64 vcc, exec, s[12:13]
	s_cbranch_vccz .LBB15_1258
; %bb.1257:
	s_cmp_lg_u32 s17, 11
	s_mov_b64 s[2:3], -1
	s_cselect_b64 s[0:1], -1, 0
.LBB15_1258:
	s_and_b64 vcc, exec, s[0:1]
	s_mov_b64 s[12:13], s[6:7]
	s_cbranch_vccnz .LBB15_1329
; %bb.1259:
	s_andn2_b64 vcc, exec, s[2:3]
	s_cbranch_vccnz .LBB15_1261
.LBB15_1260:
	global_load_ubyte v1, v[12:13], off
	s_mov_b64 s[4:5], -1
	s_waitcnt vmcnt(0)
	v_cmp_ne_u16_e32 vcc, 0, v1
	v_cndmask_b32_e64 v1, 0, 1.0, vcc
.LBB15_1261:
	s_branch .LBB15_1191
.LBB15_1262:
	s_and_b32 s2, 0xffff, s16
	s_cmp_lt_i32 s2, 5
	s_cbranch_scc1 .LBB15_1267
; %bb.1263:
	s_cmp_lt_i32 s2, 8
	s_cbranch_scc1 .LBB15_1268
; %bb.1264:
	;; [unrolled: 3-line block ×3, first 2 shown]
	s_cmp_gt_i32 s2, 9
	s_cbranch_scc0 .LBB15_1270
; %bb.1266:
	global_load_dwordx2 v[14:15], v[12:13], off
	s_mov_b64 s[0:1], 0
	s_waitcnt vmcnt(0)
	v_cvt_f32_f64_e32 v1, v[14:15]
	s_branch .LBB15_1271
.LBB15_1267:
                                        ; implicit-def: $vgpr1
	s_branch .LBB15_1288
.LBB15_1268:
                                        ; implicit-def: $vgpr1
	s_branch .LBB15_1277
.LBB15_1269:
	s_mov_b64 s[0:1], -1
                                        ; implicit-def: $vgpr1
	s_branch .LBB15_1274
.LBB15_1270:
	s_mov_b64 s[0:1], -1
                                        ; implicit-def: $vgpr1
.LBB15_1271:
	s_andn2_b64 vcc, exec, s[0:1]
	s_cbranch_vccnz .LBB15_1273
; %bb.1272:
	global_load_dword v1, v[12:13], off
.LBB15_1273:
	s_mov_b64 s[0:1], 0
.LBB15_1274:
	s_andn2_b64 vcc, exec, s[0:1]
	s_cbranch_vccnz .LBB15_1276
; %bb.1275:
	global_load_dword v1, v[12:13], off
	s_waitcnt vmcnt(0)
	v_cvt_f32_f16_e32 v1, v1
.LBB15_1276:
	s_cbranch_execnz .LBB15_1287
.LBB15_1277:
	s_cmp_lt_i32 s2, 6
	s_cbranch_scc1 .LBB15_1280
; %bb.1278:
	s_cmp_gt_i32 s2, 6
	s_cbranch_scc0 .LBB15_1281
; %bb.1279:
	global_load_dwordx2 v[14:15], v[12:13], off
	s_mov_b64 s[0:1], 0
	s_waitcnt vmcnt(0)
	v_cvt_f32_f64_e32 v1, v[14:15]
	s_branch .LBB15_1282
.LBB15_1280:
	s_mov_b64 s[0:1], -1
                                        ; implicit-def: $vgpr1
	s_branch .LBB15_1285
.LBB15_1281:
	s_mov_b64 s[0:1], -1
                                        ; implicit-def: $vgpr1
.LBB15_1282:
	s_andn2_b64 vcc, exec, s[0:1]
	s_cbranch_vccnz .LBB15_1284
; %bb.1283:
	global_load_dword v1, v[12:13], off
.LBB15_1284:
	s_mov_b64 s[0:1], 0
.LBB15_1285:
	s_andn2_b64 vcc, exec, s[0:1]
	s_cbranch_vccnz .LBB15_1287
; %bb.1286:
	global_load_ushort v1, v[12:13], off
	s_waitcnt vmcnt(0)
	v_cvt_f32_f16_e32 v1, v1
.LBB15_1287:
	s_cbranch_execnz .LBB15_1306
.LBB15_1288:
	s_cmp_lt_i32 s2, 2
	s_cbranch_scc1 .LBB15_1292
; %bb.1289:
	s_cmp_lt_i32 s2, 3
	s_cbranch_scc1 .LBB15_1293
; %bb.1290:
	s_cmp_gt_i32 s2, 3
	s_cbranch_scc0 .LBB15_1294
; %bb.1291:
	global_load_dwordx2 v[14:15], v[12:13], off
	s_mov_b64 s[0:1], 0
	s_waitcnt vmcnt(0)
	v_xor_b32_e32 v3, v14, v15
	v_ffbh_i32_e32 v1, v15
	v_ashrrev_i32_e32 v3, 31, v3
	v_add_u32_e32 v1, -1, v1
	v_add_u32_e32 v3, 32, v3
	v_min_u32_e32 v1, v1, v3
	v_lshlrev_b64 v[14:15], v1, v[14:15]
	v_sub_u32_e32 v1, 32, v1
	v_min_u32_e32 v3, 1, v14
	v_or_b32_e32 v3, v15, v3
	v_cvt_f32_i32_e32 v3, v3
	v_ldexp_f32 v1, v3, v1
	s_branch .LBB15_1295
.LBB15_1292:
                                        ; implicit-def: $vgpr1
	s_branch .LBB15_1301
.LBB15_1293:
	s_mov_b64 s[0:1], -1
                                        ; implicit-def: $vgpr1
	s_branch .LBB15_1298
.LBB15_1294:
	s_mov_b64 s[0:1], -1
                                        ; implicit-def: $vgpr1
.LBB15_1295:
	s_andn2_b64 vcc, exec, s[0:1]
	s_cbranch_vccnz .LBB15_1297
; %bb.1296:
	global_load_dword v1, v[12:13], off
	s_waitcnt vmcnt(0)
	v_cvt_f32_i32_e32 v1, v1
.LBB15_1297:
	s_mov_b64 s[0:1], 0
.LBB15_1298:
	s_andn2_b64 vcc, exec, s[0:1]
	s_cbranch_vccnz .LBB15_1300
; %bb.1299:
	global_load_sshort v1, v[12:13], off
	s_waitcnt vmcnt(0)
	v_cvt_f32_i32_e32 v1, v1
.LBB15_1300:
	s_cbranch_execnz .LBB15_1306
.LBB15_1301:
	s_cmp_gt_i32 s2, 0
	s_cbranch_scc0 .LBB15_1303
; %bb.1302:
	global_load_sbyte v1, v[12:13], off
	s_mov_b64 s[0:1], 0
	s_waitcnt vmcnt(0)
	v_cvt_f32_i32_e32 v1, v1
	s_branch .LBB15_1304
.LBB15_1303:
	s_mov_b64 s[0:1], -1
                                        ; implicit-def: $vgpr1
.LBB15_1304:
	s_andn2_b64 vcc, exec, s[0:1]
	s_cbranch_vccnz .LBB15_1306
; %bb.1305:
	global_load_ubyte v1, v[12:13], off
	s_waitcnt vmcnt(0)
	v_cvt_f32_ubyte0_e32 v1, v1
.LBB15_1306:
.LBB15_1307:
	s_mov_b32 s0, 0x7f800000
	s_waitcnt vmcnt(0)
	v_cmp_neq_f32_e64 s[0:1], |v1|, s0
	v_mov_b32_e32 v5, 0
	s_and_saveexec_b64 s[14:15], s[0:1]
	s_cbranch_execz .LBB15_1317
; %bb.1308:
	v_cmp_nlt_f32_e64 s[0:1], |v1|, 0.5
                                        ; implicit-def: $vgpr5
	s_and_saveexec_b64 s[2:3], s[0:1]
	s_xor_b64 s[16:17], exec, s[2:3]
	s_cbranch_execz .LBB15_1314
; %bb.1309:
	s_brev_b32 s0, 18
	v_and_b32_e32 v3, 0x7fffffff, v1
	v_cmp_nlt_f32_e64 s[0:1], |v1|, s0
                                        ; implicit-def: $vgpr5
                                        ; implicit-def: $vgpr8
	s_and_saveexec_b64 s[2:3], s[0:1]
	s_xor_b64 s[18:19], exec, s[2:3]
	s_cbranch_execz .LBB15_1311
; %bb.1310:
	v_and_b32_e32 v5, 0x7fffff, v3
	v_or_b32_e32 v5, 0x800000, v5
	s_mov_b32 s0, 0xfe5163ab
	v_mad_u64_u32 v[12:13], s[0:1], v5, s0, 0
	v_mov_b32_e32 v14, 0
	s_mov_b32 s0, 0x3c439041
	v_mad_u64_u32 v[15:16], s[0:1], v5, s0, v[13:14]
	s_mov_b32 s0, 0xdb629599
	v_lshrrev_b32_e32 v8, 23, v3
	v_mov_b32_e32 v13, v16
	v_mad_u64_u32 v[16:17], s[0:1], v5, s0, v[13:14]
	s_mov_b32 s0, 0xf534ddc0
	v_add_u32_e32 v8, 0xffffff88, v8
	v_mov_b32_e32 v13, v17
	v_mad_u64_u32 v[17:18], s[0:1], v5, s0, v[13:14]
	s_mov_b32 s0, 0xfc2757d1
	v_not_b32_e32 v10, 63
	v_mov_b32_e32 v13, v18
	v_mad_u64_u32 v[18:19], s[0:1], v5, s0, v[13:14]
	v_cmp_lt_u32_e32 vcc, 63, v8
	s_mov_b32 s0, 0x4e441529
	v_mov_b32_e32 v13, v19
	v_cndmask_b32_e32 v10, 0, v10, vcc
	v_mad_u64_u32 v[19:20], s[0:1], v5, s0, v[13:14]
	v_add_u32_e32 v8, v10, v8
	v_not_b32_e32 v10, 31
	v_cmp_lt_u32_e64 s[0:1], 31, v8
	v_cndmask_b32_e64 v13, 0, v10, s[0:1]
	v_add_u32_e32 v8, v13, v8
	v_mov_b32_e32 v13, v20
	s_mov_b32 s2, 0xa2f9836e
	v_mad_u64_u32 v[13:14], s[2:3], v5, s2, v[13:14]
	v_cmp_lt_u32_e64 s[2:3], 31, v8
	v_cndmask_b32_e64 v5, 0, v10, s[2:3]
	v_add_u32_e32 v5, v5, v8
	v_cndmask_b32_e32 v8, v19, v17, vcc
	v_cndmask_b32_e32 v10, v13, v18, vcc
	v_cndmask_b32_e32 v14, v14, v19, vcc
	v_cndmask_b32_e64 v13, v10, v8, s[0:1]
	v_cndmask_b32_e64 v10, v14, v10, s[0:1]
	v_cndmask_b32_e32 v14, v18, v16, vcc
	v_cndmask_b32_e64 v8, v8, v14, s[0:1]
	v_cndmask_b32_e64 v10, v10, v13, s[2:3]
	;; [unrolled: 1-line block ×3, first 2 shown]
	v_sub_u32_e32 v18, 32, v5
	v_alignbit_b32 v19, v10, v13, v18
	v_cmp_eq_u32_e64 s[4:5], 0, v5
	v_cndmask_b32_e64 v5, v19, v10, s[4:5]
	v_cndmask_b32_e32 v10, v17, v15, vcc
	v_cndmask_b32_e64 v14, v14, v10, s[0:1]
	v_cndmask_b32_e64 v8, v8, v14, s[2:3]
	v_cndmask_b32_e32 v12, v16, v12, vcc
	v_alignbit_b32 v15, v13, v8, v18
	v_cndmask_b32_e64 v10, v10, v12, s[0:1]
	v_cndmask_b32_e64 v13, v15, v13, s[4:5]
	v_bfe_u32 v19, v5, 29, 1
	v_cndmask_b32_e64 v10, v14, v10, s[2:3]
	v_alignbit_b32 v15, v5, v13, 30
	v_sub_u32_e32 v20, 0, v19
	v_alignbit_b32 v12, v8, v10, v18
	v_xor_b32_e32 v15, v15, v20
	v_cndmask_b32_e64 v8, v12, v8, s[4:5]
	v_alignbit_b32 v12, v13, v8, 30
	v_ffbh_u32_e32 v13, v15
	v_min_u32_e32 v13, 32, v13
	v_alignbit_b32 v8, v8, v10, 30
	v_xor_b32_e32 v12, v12, v20
	v_sub_u32_e32 v14, 31, v13
	v_xor_b32_e32 v8, v8, v20
	v_alignbit_b32 v15, v15, v12, v14
	v_alignbit_b32 v8, v12, v8, v14
	;; [unrolled: 1-line block ×3, first 2 shown]
	v_ffbh_u32_e32 v12, v10
	v_min_u32_e32 v12, 32, v12
	v_lshrrev_b32_e32 v17, 29, v5
	v_not_b32_e32 v14, v12
	v_alignbit_b32 v8, v10, v8, v14
	v_lshlrev_b32_e32 v10, 31, v17
	v_or_b32_e32 v14, 0x33000000, v10
	v_add_lshl_u32 v12, v12, v13, 23
	v_lshrrev_b32_e32 v8, 9, v8
	v_sub_u32_e32 v12, v14, v12
	v_or_b32_e32 v10, 0.5, v10
	v_lshlrev_b32_e32 v13, 23, v13
	v_or_b32_e32 v8, v12, v8
	v_lshrrev_b32_e32 v12, 9, v15
	v_sub_u32_e32 v10, v10, v13
	v_or_b32_e32 v10, v12, v10
	s_mov_b32 s0, 0x3fc90fda
	v_mul_f32_e32 v12, 0x3fc90fda, v10
	v_fma_f32 v13, v10, s0, -v12
	v_fmac_f32_e32 v13, 0x33a22168, v10
	v_fmac_f32_e32 v13, 0x3fc90fda, v8
	v_lshrrev_b32_e32 v5, 30, v5
	v_add_f32_e32 v8, v12, v13
	v_add_u32_e32 v5, v19, v5
.LBB15_1311:
	s_andn2_saveexec_b64 s[0:1], s[18:19]
	s_cbranch_execz .LBB15_1313
; %bb.1312:
	s_mov_b32 s2, 0x3f22f983
	v_mul_f32_e64 v5, |v1|, s2
	v_rndne_f32_e32 v10, v5
	s_mov_b32 s2, 0xbfc90fda
	v_cvt_i32_f32_e32 v5, v10
	v_fma_f32 v8, v10, s2, |v1|
	v_fmac_f32_e32 v8, 0xb3a22168, v10
	v_fmac_f32_e32 v8, 0xa7c234c4, v10
.LBB15_1313:
	s_or_b64 exec, exec, s[0:1]
	v_mul_f32_e32 v10, v8, v8
	v_mov_b32_e32 v12, 0x3c0881c4
	v_fmac_f32_e32 v12, 0xb94c1982, v10
	v_mov_b32_e32 v13, 0xbe2aaa9d
	v_fmac_f32_e32 v13, v10, v12
	v_mul_f32_e32 v12, v10, v13
	v_fmac_f32_e32 v8, v8, v12
	v_mov_b32_e32 v12, 0xbab64f3b
	v_fmac_f32_e32 v12, 0x37d75334, v10
	v_mov_b32_e32 v13, 0x3d2aabf7
	;; [unrolled: 2-line block ×3, first 2 shown]
	v_fmac_f32_e32 v12, v10, v13
	v_fma_f32 v10, v10, v12, 1.0
	v_and_b32_e32 v12, 1, v5
	v_lshlrev_b32_e32 v5, 30, v5
	v_cmp_eq_u32_e32 vcc, 0, v12
	v_and_b32_e32 v5, 0x80000000, v5
	v_xor_b32_e32 v3, v3, v1
	v_cndmask_b32_e32 v8, v10, v8, vcc
	v_xor_b32_e32 v3, v3, v5
	s_movk_i32 s0, 0x1f8
	v_xor_b32_e32 v3, v3, v8
	v_mov_b32_e32 v5, 0x7fc00000
	v_cmp_class_f32_e64 vcc, v1, s0
	v_cndmask_b32_e32 v3, v5, v3, vcc
	v_div_scale_f32 v5, s[0:1], v1, v1, v3
	v_div_scale_f32 v8, vcc, v3, v1, v3
	v_rcp_f32_e32 v10, v5
	v_fma_f32 v12, -v5, v10, 1.0
	v_fmac_f32_e32 v10, v12, v10
	v_mul_f32_e32 v12, v8, v10
	v_fma_f32 v13, -v5, v12, v8
	v_fmac_f32_e32 v12, v13, v10
	v_fma_f32 v5, -v5, v12, v8
	v_div_fmas_f32 v5, v5, v10, v12
	v_div_fixup_f32 v5, v5, v1, v3
                                        ; implicit-def: $vgpr1
.LBB15_1314:
	s_andn2_saveexec_b64 s[0:1], s[16:17]
	s_cbranch_execz .LBB15_1316
; %bb.1315:
	v_mul_f32_e32 v1, v1, v1
	v_mov_b32_e32 v3, 0xb2d7322b
	v_fmac_f32_e32 v3, 0x2f309231, v1
	v_mov_b32_e32 v5, 0x3638ef1d
	v_fmac_f32_e32 v5, v1, v3
	;; [unrolled: 2-line block ×5, first 2 shown]
	v_fma_f32 v5, v1, v3, 1.0
.LBB15_1316:
	s_or_b64 exec, exec, s[0:1]
.LBB15_1317:
	s_or_b64 exec, exec, s[14:15]
	s_lshr_b32 s0, s20, 16
	v_mov_b32_e32 v1, s11
	s_and_b32 s21, s0, 0xff
	v_add_co_u32_e32 v10, vcc, s10, v11
	s_cmp_lt_i32 s21, 11
	v_addc_co_u32_e32 v11, vcc, 0, v1, vcc
	s_cbranch_scc1 .LBB15_1324
; %bb.1318:
	s_and_b32 s18, 0xffff, s21
	s_cmp_gt_i32 s18, 25
	s_mov_b64 s[2:3], 0
	s_cbranch_scc0 .LBB15_1326
; %bb.1319:
	s_cmp_gt_i32 s18, 28
	s_cbranch_scc0 .LBB15_1327
; %bb.1320:
	s_cmp_gt_i32 s18, 43
	;; [unrolled: 3-line block ×3, first 2 shown]
	s_cbranch_scc0 .LBB15_1330
; %bb.1322:
	s_cmp_eq_u32 s18, 46
	s_mov_b64 s[14:15], 0
	s_cbranch_scc0 .LBB15_1333
; %bb.1323:
	global_load_dword v1, v[10:11], off
	s_mov_b64 s[0:1], 0
	s_mov_b64 s[4:5], -1
	s_waitcnt vmcnt(0)
	v_lshlrev_b32_e32 v1, 16, v1
	s_branch .LBB15_1334
.LBB15_1324:
	s_mov_b64 s[4:5], 0
                                        ; implicit-def: $vgpr1
	s_cbranch_execnz .LBB15_1399
.LBB15_1325:
	s_andn2_b64 vcc, exec, s[4:5]
	s_cbranch_vccnz .LBB15_1813
	s_branch .LBB15_1446
.LBB15_1326:
	s_mov_b64 s[4:5], 0
	s_mov_b64 s[0:1], 0
                                        ; implicit-def: $vgpr1
	s_cbranch_execnz .LBB15_1363
	s_branch .LBB15_1395
.LBB15_1327:
	s_mov_b64 s[14:15], -1
	s_mov_b64 s[4:5], 0
	s_mov_b64 s[0:1], 0
                                        ; implicit-def: $vgpr1
	s_branch .LBB15_1344
.LBB15_1328:
	s_mov_b64 s[14:15], -1
	s_mov_b64 s[4:5], 0
	s_mov_b64 s[0:1], 0
                                        ; implicit-def: $vgpr1
	s_branch .LBB15_1339
.LBB15_1329:
	s_or_b64 s[12:13], s[6:7], exec
	s_trap 2
	s_cbranch_execz .LBB15_1260
	s_branch .LBB15_1261
.LBB15_1330:
	s_mov_b64 s[14:15], -1
	s_mov_b64 s[4:5], 0
	s_mov_b64 s[0:1], 0
                                        ; implicit-def: $vgpr1
	s_branch .LBB15_1334
.LBB15_1331:
	s_andn2_saveexec_b64 s[14:15], s[14:15]
	s_cbranch_execz .LBB15_1051
.LBB15_1332:
	s_mov_b32 s18, 0x42800000
	v_add_f32_e64 v0, |v1|, s18
	v_and_b32_e32 v0, 0xff, v0
	v_cmp_ne_u32_e32 vcc, 0, v0
	s_andn2_b64 s[12:13], s[12:13], exec
	s_and_b64 s[18:19], vcc, exec
	s_or_b64 s[12:13], s[12:13], s[18:19]
	s_or_b64 exec, exec, s[14:15]
	v_mov_b32_e32 v2, 0
	s_and_saveexec_b64 s[14:15], s[12:13]
	s_cbranch_execnz .LBB15_1052
	s_branch .LBB15_1053
.LBB15_1333:
	s_mov_b64 s[0:1], -1
                                        ; implicit-def: $vgpr1
	s_mov_b64 s[4:5], 0
.LBB15_1334:
	s_and_b64 vcc, exec, s[14:15]
	s_cbranch_vccz .LBB15_1338
; %bb.1335:
	s_cmp_eq_u32 s18, 44
	s_cbranch_scc0 .LBB15_1337
; %bb.1336:
	global_load_ubyte v1, v[10:11], off
	s_movk_i32 s4, 0xff
	v_mov_b32_e32 v3, 0x7f800001
	v_mov_b32_e32 v8, 0x400000
	s_mov_b64 s[0:1], 0
	s_waitcnt vmcnt(0)
	v_lshlrev_b32_e32 v12, 23, v1
	v_cmp_ne_u32_e32 vcc, s4, v1
	v_cndmask_b32_e32 v3, v3, v12, vcc
	v_cmp_ne_u32_e32 vcc, 0, v1
	v_cndmask_b32_e32 v1, v8, v3, vcc
	s_mov_b64 s[4:5], -1
	s_branch .LBB15_1338
.LBB15_1337:
	s_mov_b64 s[0:1], -1
                                        ; implicit-def: $vgpr1
.LBB15_1338:
	s_mov_b64 s[14:15], 0
.LBB15_1339:
	s_and_b64 vcc, exec, s[14:15]
	s_cbranch_vccz .LBB15_1343
; %bb.1340:
	s_cmp_eq_u32 s18, 29
	s_cbranch_scc0 .LBB15_1342
; %bb.1341:
	global_load_dwordx2 v[12:13], v[10:11], off
	s_mov_b64 s[0:1], 0
	s_mov_b64 s[4:5], -1
	s_mov_b64 s[14:15], 0
	s_waitcnt vmcnt(0)
	v_ffbh_u32_e32 v1, v13
	v_min_u32_e32 v1, 32, v1
	v_lshlrev_b64 v[12:13], v1, v[12:13]
	v_sub_u32_e32 v1, 32, v1
	v_min_u32_e32 v3, 1, v12
	v_or_b32_e32 v3, v13, v3
	v_cvt_f32_u32_e32 v3, v3
	v_ldexp_f32 v1, v3, v1
	s_branch .LBB15_1344
.LBB15_1342:
	s_mov_b64 s[0:1], -1
                                        ; implicit-def: $vgpr1
.LBB15_1343:
	s_mov_b64 s[14:15], 0
.LBB15_1344:
	s_and_b64 vcc, exec, s[14:15]
	s_cbranch_vccz .LBB15_1362
; %bb.1345:
	s_cmp_lt_i32 s18, 27
	s_cbranch_scc1 .LBB15_1348
; %bb.1346:
	s_cmp_gt_i32 s18, 27
	s_cbranch_scc0 .LBB15_1349
; %bb.1347:
	global_load_dword v1, v[10:11], off
	s_mov_b64 s[4:5], 0
	s_waitcnt vmcnt(0)
	v_cvt_f32_u32_e32 v1, v1
	s_branch .LBB15_1350
.LBB15_1348:
	s_mov_b64 s[4:5], -1
                                        ; implicit-def: $vgpr1
	s_branch .LBB15_1353
.LBB15_1349:
	s_mov_b64 s[4:5], -1
                                        ; implicit-def: $vgpr1
.LBB15_1350:
	s_andn2_b64 vcc, exec, s[4:5]
	s_cbranch_vccnz .LBB15_1352
; %bb.1351:
	global_load_ushort v1, v[10:11], off
	s_waitcnt vmcnt(0)
	v_cvt_f32_u32_e32 v1, v1
.LBB15_1352:
	s_mov_b64 s[4:5], 0
.LBB15_1353:
	s_andn2_b64 vcc, exec, s[4:5]
	s_cbranch_vccnz .LBB15_1361
; %bb.1354:
	global_load_ubyte v3, v[10:11], off
	s_movk_i32 s4, 0x7f
	s_waitcnt vmcnt(0)
	v_cmp_lt_i16_e32 vcc, s4, v3
	s_mov_b64 s[4:5], 0
	s_and_saveexec_b64 s[14:15], vcc
	s_xor_b64 s[14:15], exec, s[14:15]
	s_cbranch_execz .LBB15_1374
; %bb.1355:
	s_movk_i32 s4, 0x80
	v_cmp_eq_u16_e32 vcc, s4, v3
	s_mov_b64 s[4:5], -1
	s_and_saveexec_b64 s[16:17], vcc
; %bb.1356:
	s_xor_b64 s[4:5], exec, -1
; %bb.1357:
	s_or_b64 exec, exec, s[16:17]
	s_and_b64 s[4:5], s[4:5], exec
	s_or_saveexec_b64 s[14:15], s[14:15]
	v_mov_b32_e32 v1, 0x7f800001
	s_xor_b64 exec, exec, s[14:15]
	s_cbranch_execnz .LBB15_1375
.LBB15_1358:
	s_or_b64 exec, exec, s[14:15]
	s_and_saveexec_b64 s[14:15], s[4:5]
	s_cbranch_execz .LBB15_1360
.LBB15_1359:
	v_lshlrev_b32_e32 v1, 24, v3
	v_and_b32_e32 v3, 0xffff, v3
	v_and_b32_e32 v8, 7, v3
	v_ffbh_u32_e32 v13, v8
	v_min_u32_e32 v13, 32, v13
	v_subrev_u32_e32 v14, 28, v13
	v_bfe_u32 v12, v3, 3, 4
	v_lshlrev_b32_e32 v3, v14, v3
	v_sub_u32_e32 v13, 29, v13
	v_and_b32_e32 v3, 7, v3
	v_cmp_eq_u32_e32 vcc, 0, v12
	v_cndmask_b32_e32 v12, v12, v13, vcc
	v_cndmask_b32_e32 v3, v8, v3, vcc
	v_mov_b32_e32 v8, 0x3b800000
	v_lshlrev_b32_e32 v3, 20, v3
	v_and_b32_e32 v1, 0x80000000, v1
	v_lshl_add_u32 v8, v12, 23, v8
	v_or3_b32 v1, v1, v8, v3
.LBB15_1360:
	s_or_b64 exec, exec, s[14:15]
.LBB15_1361:
	s_mov_b64 s[4:5], -1
.LBB15_1362:
	s_branch .LBB15_1395
.LBB15_1363:
	s_cmp_gt_i32 s18, 22
	s_cbranch_scc0 .LBB15_1373
; %bb.1364:
	s_cmp_lt_i32 s18, 24
	s_cbranch_scc1 .LBB15_1376
; %bb.1365:
	s_cmp_gt_i32 s18, 24
	s_cbranch_scc0 .LBB15_1377
; %bb.1366:
	global_load_ubyte v3, v[10:11], off
	s_movk_i32 s2, 0x7f
	s_waitcnt vmcnt(0)
	v_cmp_lt_i16_e32 vcc, s2, v3
	s_mov_b64 s[2:3], 0
	s_and_saveexec_b64 s[4:5], vcc
	s_xor_b64 s[4:5], exec, s[4:5]
	s_cbranch_execz .LBB15_1389
; %bb.1367:
	s_movk_i32 s2, 0x80
	v_cmp_eq_u16_e32 vcc, s2, v3
	s_mov_b64 s[2:3], -1
	s_and_saveexec_b64 s[14:15], vcc
; %bb.1368:
	s_xor_b64 s[2:3], exec, -1
; %bb.1369:
	s_or_b64 exec, exec, s[14:15]
	s_and_b64 s[2:3], s[2:3], exec
	s_or_saveexec_b64 s[4:5], s[4:5]
	v_mov_b32_e32 v1, 0x7f800001
	s_xor_b64 exec, exec, s[4:5]
	s_cbranch_execnz .LBB15_1390
.LBB15_1370:
	s_or_b64 exec, exec, s[4:5]
	s_and_saveexec_b64 s[4:5], s[2:3]
	s_cbranch_execz .LBB15_1372
.LBB15_1371:
	v_lshlrev_b32_e32 v1, 24, v3
	v_and_b32_e32 v3, 0xffff, v3
	v_and_b32_e32 v8, 3, v3
	v_ffbh_u32_e32 v13, v8
	v_min_u32_e32 v13, 32, v13
	v_subrev_u32_e32 v14, 29, v13
	v_bfe_u32 v12, v3, 2, 5
	v_lshlrev_b32_e32 v3, v14, v3
	v_sub_u32_e32 v13, 30, v13
	v_and_b32_e32 v3, 3, v3
	v_cmp_eq_u32_e32 vcc, 0, v12
	v_cndmask_b32_e32 v12, v12, v13, vcc
	v_cndmask_b32_e32 v3, v8, v3, vcc
	v_mov_b32_e32 v8, 0x37800000
	v_lshlrev_b32_e32 v3, 21, v3
	v_and_b32_e32 v1, 0x80000000, v1
	v_lshl_add_u32 v8, v12, 23, v8
	v_or3_b32 v1, v1, v8, v3
.LBB15_1372:
	s_or_b64 exec, exec, s[4:5]
	s_mov_b64 s[2:3], 0
	s_branch .LBB15_1378
.LBB15_1373:
	s_mov_b64 s[2:3], -1
                                        ; implicit-def: $vgpr1
	s_branch .LBB15_1384
.LBB15_1374:
	s_or_saveexec_b64 s[14:15], s[14:15]
	v_mov_b32_e32 v1, 0x7f800001
	s_xor_b64 exec, exec, s[14:15]
	s_cbranch_execz .LBB15_1358
.LBB15_1375:
	v_cmp_ne_u16_e32 vcc, 0, v3
	s_andn2_b64 s[4:5], s[4:5], exec
	s_and_b64 s[16:17], vcc, exec
	v_mov_b32_e32 v1, 0
	s_or_b64 s[4:5], s[4:5], s[16:17]
	s_or_b64 exec, exec, s[14:15]
	s_and_saveexec_b64 s[14:15], s[4:5]
	s_cbranch_execnz .LBB15_1359
	s_branch .LBB15_1360
.LBB15_1376:
	s_mov_b64 s[2:3], -1
                                        ; implicit-def: $vgpr1
	s_branch .LBB15_1381
.LBB15_1377:
	s_mov_b64 s[2:3], -1
                                        ; implicit-def: $vgpr1
.LBB15_1378:
	s_and_b64 vcc, exec, s[2:3]
	s_cbranch_vccz .LBB15_1380
; %bb.1379:
	global_load_ubyte v1, v[10:11], off
	s_mov_b32 s2, 0x7f800000
	s_waitcnt vmcnt(0)
	v_lshlrev_b32_e32 v1, 24, v1
	v_and_b32_e32 v3, 0x7f000000, v1
	v_ffbh_u32_e32 v8, v3
	v_min_u32_e32 v8, 32, v8
	v_sub_u32_e64 v8, v8, 4 clamp
	v_lshlrev_b32_e32 v13, v8, v3
	v_lshlrev_b32_e32 v8, 23, v8
	v_lshrrev_b32_e32 v13, 4, v13
	v_add_u32_e32 v12, 0x1000000, v3
	v_sub_u32_e32 v8, v13, v8
	v_ashrrev_i32_e32 v12, 8, v12
	v_add_u32_e32 v8, 0x3c000000, v8
	v_and_or_b32 v8, v12, s2, v8
	v_cmp_ne_u32_e32 vcc, 0, v3
	v_cndmask_b32_e32 v3, 0, v8, vcc
	s_brev_b32 s2, 1
	v_and_or_b32 v1, v1, s2, v3
.LBB15_1380:
	s_mov_b64 s[2:3], 0
.LBB15_1381:
	s_andn2_b64 vcc, exec, s[2:3]
	s_cbranch_vccnz .LBB15_1383
; %bb.1382:
	global_load_ubyte v1, v[10:11], off
	s_movk_i32 s2, 0x7f00
	s_brev_b32 s3, 16
	s_waitcnt vmcnt(0)
	v_lshlrev_b16_e32 v3, 8, v1
	v_lshlrev_b32_e32 v1, 25, v1
	v_lshrrev_b32_e32 v8, 4, v1
	v_and_or_b32 v12, v3, s2, 0.5
	v_or_b32_e32 v8, 0x70000000, v8
	v_add_f32_e32 v12, -0.5, v12
	v_mul_f32_e32 v8, 0x7800000, v8
	v_cmp_gt_u32_e32 vcc, s3, v1
	v_bfe_i32 v3, v3, 0, 16
	v_cndmask_b32_e32 v1, v8, v12, vcc
	s_brev_b32 s2, 1
	v_and_or_b32 v1, v3, s2, v1
.LBB15_1383:
	s_mov_b64 s[2:3], 0
	s_mov_b64 s[4:5], -1
.LBB15_1384:
	s_andn2_b64 vcc, exec, s[2:3]
	s_mov_b64 s[2:3], 0
	s_cbranch_vccnz .LBB15_1395
; %bb.1385:
	s_cmp_gt_i32 s18, 14
	s_cbranch_scc0 .LBB15_1388
; %bb.1386:
	s_cmp_eq_u32 s18, 15
	s_cbranch_scc0 .LBB15_1391
; %bb.1387:
	global_load_ushort v1, v[10:11], off
	s_mov_b64 s[0:1], 0
	s_mov_b64 s[4:5], -1
	s_waitcnt vmcnt(0)
	v_lshlrev_b32_e32 v1, 16, v1
	s_branch .LBB15_1392
.LBB15_1388:
	s_mov_b64 s[14:15], -1
                                        ; implicit-def: $vgpr1
	s_branch .LBB15_1393
.LBB15_1389:
	s_or_saveexec_b64 s[4:5], s[4:5]
	v_mov_b32_e32 v1, 0x7f800001
	s_xor_b64 exec, exec, s[4:5]
	s_cbranch_execz .LBB15_1370
.LBB15_1390:
	v_cmp_ne_u16_e32 vcc, 0, v3
	s_andn2_b64 s[2:3], s[2:3], exec
	s_and_b64 s[14:15], vcc, exec
	v_mov_b32_e32 v1, 0
	s_or_b64 s[2:3], s[2:3], s[14:15]
	s_or_b64 exec, exec, s[4:5]
	s_and_saveexec_b64 s[4:5], s[2:3]
	s_cbranch_execnz .LBB15_1371
	s_branch .LBB15_1372
.LBB15_1391:
	s_mov_b64 s[0:1], -1
                                        ; implicit-def: $vgpr1
.LBB15_1392:
	s_mov_b64 s[14:15], 0
.LBB15_1393:
	s_and_b64 vcc, exec, s[14:15]
	s_cbranch_vccz .LBB15_1395
; %bb.1394:
	s_cmp_lg_u32 s18, 11
	s_mov_b64 s[2:3], -1
	s_cselect_b64 s[0:1], -1, 0
.LBB15_1395:
	s_and_b64 vcc, exec, s[0:1]
	s_cbranch_vccnz .LBB15_1468
; %bb.1396:
	s_andn2_b64 vcc, exec, s[2:3]
	s_cbranch_vccnz .LBB15_1398
.LBB15_1397:
	global_load_ubyte v1, v[10:11], off
	s_mov_b64 s[4:5], -1
	s_waitcnt vmcnt(0)
	v_cmp_ne_u16_e32 vcc, 0, v1
	v_cndmask_b32_e64 v1, 0, 1.0, vcc
.LBB15_1398:
	s_branch .LBB15_1325
.LBB15_1399:
	s_and_b32 s2, 0xffff, s21
	s_cmp_lt_i32 s2, 5
	s_cbranch_scc1 .LBB15_1404
; %bb.1400:
	s_cmp_lt_i32 s2, 8
	s_cbranch_scc1 .LBB15_1405
; %bb.1401:
	;; [unrolled: 3-line block ×3, first 2 shown]
	s_cmp_gt_i32 s2, 9
	s_cbranch_scc0 .LBB15_1407
; %bb.1403:
	global_load_dwordx2 v[12:13], v[10:11], off
	s_mov_b64 s[0:1], 0
	s_waitcnt vmcnt(0)
	v_cvt_f32_f64_e32 v1, v[12:13]
	s_branch .LBB15_1408
.LBB15_1404:
                                        ; implicit-def: $vgpr1
	s_branch .LBB15_1426
.LBB15_1405:
	s_mov_b64 s[0:1], -1
                                        ; implicit-def: $vgpr1
	s_branch .LBB15_1414
.LBB15_1406:
	s_mov_b64 s[0:1], -1
                                        ; implicit-def: $vgpr1
	s_branch .LBB15_1411
.LBB15_1407:
	s_mov_b64 s[0:1], -1
                                        ; implicit-def: $vgpr1
.LBB15_1408:
	s_andn2_b64 vcc, exec, s[0:1]
	s_cbranch_vccnz .LBB15_1410
; %bb.1409:
	global_load_dword v1, v[10:11], off
.LBB15_1410:
	s_mov_b64 s[0:1], 0
.LBB15_1411:
	s_andn2_b64 vcc, exec, s[0:1]
	s_cbranch_vccnz .LBB15_1413
; %bb.1412:
	global_load_dword v1, v[10:11], off
	s_waitcnt vmcnt(0)
	v_cvt_f32_f16_e32 v1, v1
.LBB15_1413:
	s_mov_b64 s[0:1], 0
.LBB15_1414:
	s_andn2_b64 vcc, exec, s[0:1]
	s_cbranch_vccnz .LBB15_1425
; %bb.1415:
	s_cmp_lt_i32 s2, 6
	s_cbranch_scc1 .LBB15_1418
; %bb.1416:
	s_cmp_gt_i32 s2, 6
	s_cbranch_scc0 .LBB15_1419
; %bb.1417:
	global_load_dwordx2 v[12:13], v[10:11], off
	s_mov_b64 s[0:1], 0
	s_waitcnt vmcnt(0)
	v_cvt_f32_f64_e32 v1, v[12:13]
	s_branch .LBB15_1420
.LBB15_1418:
	s_mov_b64 s[0:1], -1
                                        ; implicit-def: $vgpr1
	s_branch .LBB15_1423
.LBB15_1419:
	s_mov_b64 s[0:1], -1
                                        ; implicit-def: $vgpr1
.LBB15_1420:
	s_andn2_b64 vcc, exec, s[0:1]
	s_cbranch_vccnz .LBB15_1422
; %bb.1421:
	global_load_dword v1, v[10:11], off
.LBB15_1422:
	s_mov_b64 s[0:1], 0
.LBB15_1423:
	s_andn2_b64 vcc, exec, s[0:1]
	s_cbranch_vccnz .LBB15_1425
; %bb.1424:
	global_load_ushort v1, v[10:11], off
	s_waitcnt vmcnt(0)
	v_cvt_f32_f16_e32 v1, v1
.LBB15_1425:
	s_cbranch_execnz .LBB15_1445
.LBB15_1426:
	s_cmp_lt_i32 s2, 2
	s_cbranch_scc1 .LBB15_1430
; %bb.1427:
	s_cmp_lt_i32 s2, 3
	s_cbranch_scc1 .LBB15_1431
; %bb.1428:
	s_cmp_gt_i32 s2, 3
	s_cbranch_scc0 .LBB15_1432
; %bb.1429:
	global_load_dwordx2 v[12:13], v[10:11], off
	s_mov_b64 s[0:1], 0
	s_waitcnt vmcnt(0)
	v_xor_b32_e32 v3, v12, v13
	v_ffbh_i32_e32 v1, v13
	v_ashrrev_i32_e32 v3, 31, v3
	v_add_u32_e32 v1, -1, v1
	v_add_u32_e32 v3, 32, v3
	v_min_u32_e32 v1, v1, v3
	v_lshlrev_b64 v[12:13], v1, v[12:13]
	v_sub_u32_e32 v1, 32, v1
	v_min_u32_e32 v3, 1, v12
	v_or_b32_e32 v3, v13, v3
	v_cvt_f32_i32_e32 v3, v3
	v_ldexp_f32 v1, v3, v1
	s_branch .LBB15_1433
.LBB15_1430:
	s_mov_b64 s[0:1], -1
                                        ; implicit-def: $vgpr1
	s_branch .LBB15_1439
.LBB15_1431:
	s_mov_b64 s[0:1], -1
                                        ; implicit-def: $vgpr1
	s_branch .LBB15_1436
.LBB15_1432:
	s_mov_b64 s[0:1], -1
                                        ; implicit-def: $vgpr1
.LBB15_1433:
	s_andn2_b64 vcc, exec, s[0:1]
	s_cbranch_vccnz .LBB15_1435
; %bb.1434:
	global_load_dword v1, v[10:11], off
	s_waitcnt vmcnt(0)
	v_cvt_f32_i32_e32 v1, v1
.LBB15_1435:
	s_mov_b64 s[0:1], 0
.LBB15_1436:
	s_andn2_b64 vcc, exec, s[0:1]
	s_cbranch_vccnz .LBB15_1438
; %bb.1437:
	global_load_sshort v1, v[10:11], off
	s_waitcnt vmcnt(0)
	v_cvt_f32_i32_e32 v1, v1
.LBB15_1438:
	s_mov_b64 s[0:1], 0
.LBB15_1439:
	s_andn2_b64 vcc, exec, s[0:1]
	s_cbranch_vccnz .LBB15_1445
; %bb.1440:
	s_cmp_gt_i32 s2, 0
	s_cbranch_scc0 .LBB15_1442
; %bb.1441:
	global_load_sbyte v1, v[10:11], off
	s_mov_b64 s[0:1], 0
	s_waitcnt vmcnt(0)
	v_cvt_f32_i32_e32 v1, v1
	s_branch .LBB15_1443
.LBB15_1442:
	s_mov_b64 s[0:1], -1
                                        ; implicit-def: $vgpr1
.LBB15_1443:
	s_andn2_b64 vcc, exec, s[0:1]
	s_cbranch_vccnz .LBB15_1445
; %bb.1444:
	global_load_ubyte v1, v[10:11], off
	s_waitcnt vmcnt(0)
	v_cvt_f32_ubyte0_e32 v1, v1
.LBB15_1445:
.LBB15_1446:
	s_mov_b32 s0, 0x7f800000
	s_waitcnt vmcnt(0)
	v_cmp_neq_f32_e64 s[0:1], |v1|, s0
	v_mov_b32_e32 v3, 0
	s_and_saveexec_b64 s[14:15], s[0:1]
	s_cbranch_execz .LBB15_1456
; %bb.1447:
	v_cmp_nlt_f32_e64 s[0:1], |v1|, 0.5
                                        ; implicit-def: $vgpr3
	s_and_saveexec_b64 s[2:3], s[0:1]
	s_xor_b64 s[16:17], exec, s[2:3]
	s_cbranch_execz .LBB15_1453
; %bb.1448:
	s_brev_b32 s0, 18
	v_and_b32_e32 v3, 0x7fffffff, v1
	v_cmp_nlt_f32_e64 s[0:1], |v1|, s0
                                        ; implicit-def: $vgpr8
                                        ; implicit-def: $vgpr10
	s_and_saveexec_b64 s[2:3], s[0:1]
	s_xor_b64 s[18:19], exec, s[2:3]
	s_cbranch_execz .LBB15_1450
; %bb.1449:
	v_and_b32_e32 v8, 0x7fffff, v3
	v_or_b32_e32 v8, 0x800000, v8
	s_mov_b32 s0, 0xfe5163ab
	v_mad_u64_u32 v[10:11], s[0:1], v8, s0, 0
	v_mov_b32_e32 v12, 0
	s_mov_b32 s0, 0x3c439041
	v_mad_u64_u32 v[13:14], s[0:1], v8, s0, v[11:12]
	s_mov_b32 s0, 0xdb629599
	v_not_b32_e32 v18, 63
	v_mov_b32_e32 v11, v14
	v_mad_u64_u32 v[14:15], s[0:1], v8, s0, v[11:12]
	s_mov_b32 s0, 0xf534ddc0
	v_not_b32_e32 v20, 31
	v_mov_b32_e32 v11, v15
	v_mad_u64_u32 v[15:16], s[0:1], v8, s0, v[11:12]
	v_lshrrev_b32_e32 v11, 23, v3
	v_add_u32_e32 v19, 0xffffff88, v11
	v_mov_b32_e32 v11, v16
	s_mov_b32 s0, 0xfc2757d1
	v_mad_u64_u32 v[16:17], s[0:1], v8, s0, v[11:12]
	v_cmp_lt_u32_e32 vcc, 63, v19
	v_cndmask_b32_e32 v11, 0, v18, vcc
	v_add_u32_e32 v19, v11, v19
	v_mov_b32_e32 v11, v17
	s_mov_b32 s0, 0x4e441529
	v_mad_u64_u32 v[17:18], s[0:1], v8, s0, v[11:12]
	v_cmp_lt_u32_e64 s[0:1], 31, v19
	v_cndmask_b32_e64 v11, 0, v20, s[0:1]
	v_add_u32_e32 v19, v11, v19
	v_mov_b32_e32 v11, v18
	s_mov_b32 s2, 0xa2f9836e
	v_mad_u64_u32 v[11:12], s[2:3], v8, s2, v[11:12]
	v_cmp_lt_u32_e64 s[2:3], 31, v19
	v_cndmask_b32_e64 v8, 0, v20, s[2:3]
	v_cndmask_b32_e32 v18, v17, v15, vcc
	v_cndmask_b32_e32 v11, v11, v16, vcc
	;; [unrolled: 1-line block ×3, first 2 shown]
	v_add_u32_e32 v8, v8, v19
	v_cndmask_b32_e64 v19, v11, v18, s[0:1]
	v_cndmask_b32_e64 v11, v12, v11, s[0:1]
	v_cndmask_b32_e32 v12, v16, v14, vcc
	v_cndmask_b32_e64 v16, v18, v12, s[0:1]
	v_cndmask_b32_e64 v11, v11, v19, s[2:3]
	;; [unrolled: 1-line block ×3, first 2 shown]
	v_sub_u32_e32 v18, 32, v8
	v_alignbit_b32 v19, v11, v17, v18
	v_cmp_eq_u32_e64 s[4:5], 0, v8
	v_cndmask_b32_e64 v8, v19, v11, s[4:5]
	v_cndmask_b32_e32 v11, v15, v13, vcc
	v_cndmask_b32_e64 v12, v12, v11, s[0:1]
	v_cndmask_b32_e64 v13, v16, v12, s[2:3]
	v_alignbit_b32 v15, v17, v13, v18
	v_cndmask_b32_e32 v10, v14, v10, vcc
	v_cndmask_b32_e64 v15, v15, v17, s[4:5]
	v_bfe_u32 v19, v8, 29, 1
	v_cndmask_b32_e64 v10, v11, v10, s[0:1]
	v_alignbit_b32 v16, v8, v15, 30
	v_sub_u32_e32 v20, 0, v19
	v_cndmask_b32_e64 v10, v12, v10, s[2:3]
	v_xor_b32_e32 v16, v16, v20
	v_alignbit_b32 v11, v13, v10, v18
	v_cndmask_b32_e64 v11, v11, v13, s[4:5]
	v_ffbh_u32_e32 v13, v16
	v_alignbit_b32 v12, v15, v11, 30
	v_min_u32_e32 v13, 32, v13
	v_alignbit_b32 v10, v11, v10, 30
	v_xor_b32_e32 v12, v12, v20
	v_sub_u32_e32 v14, 31, v13
	v_xor_b32_e32 v10, v10, v20
	v_alignbit_b32 v15, v16, v12, v14
	v_alignbit_b32 v10, v12, v10, v14
	;; [unrolled: 1-line block ×3, first 2 shown]
	v_ffbh_u32_e32 v12, v11
	v_min_u32_e32 v12, 32, v12
	v_lshrrev_b32_e32 v17, 29, v8
	v_not_b32_e32 v14, v12
	v_alignbit_b32 v10, v11, v10, v14
	v_lshlrev_b32_e32 v11, 31, v17
	v_or_b32_e32 v14, 0x33000000, v11
	v_add_lshl_u32 v12, v12, v13, 23
	v_lshrrev_b32_e32 v10, 9, v10
	v_sub_u32_e32 v12, v14, v12
	v_or_b32_e32 v11, 0.5, v11
	v_lshlrev_b32_e32 v13, 23, v13
	v_or_b32_e32 v10, v12, v10
	v_lshrrev_b32_e32 v12, 9, v15
	v_sub_u32_e32 v11, v11, v13
	v_or_b32_e32 v11, v12, v11
	s_mov_b32 s0, 0x3fc90fda
	v_mul_f32_e32 v12, 0x3fc90fda, v11
	v_fma_f32 v13, v11, s0, -v12
	v_fmac_f32_e32 v13, 0x33a22168, v11
	v_fmac_f32_e32 v13, 0x3fc90fda, v10
	v_lshrrev_b32_e32 v8, 30, v8
	v_add_f32_e32 v10, v12, v13
	v_add_u32_e32 v8, v19, v8
.LBB15_1450:
	s_andn2_saveexec_b64 s[0:1], s[18:19]
	s_cbranch_execz .LBB15_1452
; %bb.1451:
	s_mov_b32 s2, 0x3f22f983
	v_mul_f32_e64 v8, |v1|, s2
	v_rndne_f32_e32 v11, v8
	s_mov_b32 s2, 0xbfc90fda
	v_cvt_i32_f32_e32 v8, v11
	v_fma_f32 v10, v11, s2, |v1|
	v_fmac_f32_e32 v10, 0xb3a22168, v11
	v_fmac_f32_e32 v10, 0xa7c234c4, v11
.LBB15_1452:
	s_or_b64 exec, exec, s[0:1]
	v_mul_f32_e32 v11, v10, v10
	v_mov_b32_e32 v12, 0x3c0881c4
	v_fmac_f32_e32 v12, 0xb94c1982, v11
	v_mov_b32_e32 v13, 0xbe2aaa9d
	v_fmac_f32_e32 v13, v11, v12
	v_mul_f32_e32 v12, v11, v13
	v_fmac_f32_e32 v10, v10, v12
	v_mov_b32_e32 v12, 0xbab64f3b
	v_fmac_f32_e32 v12, 0x37d75334, v11
	v_mov_b32_e32 v13, 0x3d2aabf7
	;; [unrolled: 2-line block ×3, first 2 shown]
	v_fmac_f32_e32 v12, v11, v13
	v_fma_f32 v11, v11, v12, 1.0
	v_and_b32_e32 v12, 1, v8
	v_lshlrev_b32_e32 v8, 30, v8
	v_cmp_eq_u32_e32 vcc, 0, v12
	v_and_b32_e32 v8, 0x80000000, v8
	v_xor_b32_e32 v3, v3, v1
	v_cndmask_b32_e32 v10, v11, v10, vcc
	v_xor_b32_e32 v3, v3, v8
	s_movk_i32 s0, 0x1f8
	v_xor_b32_e32 v3, v3, v10
	v_mov_b32_e32 v8, 0x7fc00000
	v_cmp_class_f32_e64 vcc, v1, s0
	v_cndmask_b32_e32 v3, v8, v3, vcc
	v_div_scale_f32 v8, s[0:1], v1, v1, v3
	v_div_scale_f32 v10, vcc, v3, v1, v3
	v_rcp_f32_e32 v11, v8
	v_fma_f32 v12, -v8, v11, 1.0
	v_fmac_f32_e32 v11, v12, v11
	v_mul_f32_e32 v12, v10, v11
	v_fma_f32 v13, -v8, v12, v10
	v_fmac_f32_e32 v12, v13, v11
	v_fma_f32 v8, -v8, v12, v10
	v_div_fmas_f32 v8, v8, v11, v12
	v_div_fixup_f32 v3, v8, v1, v3
                                        ; implicit-def: $vgpr1
.LBB15_1453:
	s_andn2_saveexec_b64 s[0:1], s[16:17]
	s_cbranch_execz .LBB15_1455
; %bb.1454:
	v_mul_f32_e32 v1, v1, v1
	v_mov_b32_e32 v3, 0xb2d7322b
	v_fmac_f32_e32 v3, 0x2f309231, v1
	v_mov_b32_e32 v8, 0x3638ef1d
	v_fmac_f32_e32 v8, v1, v3
	;; [unrolled: 2-line block ×5, first 2 shown]
	v_fma_f32 v3, v1, v3, 1.0
.LBB15_1455:
	s_or_b64 exec, exec, s[0:1]
.LBB15_1456:
	s_or_b64 exec, exec, s[14:15]
	v_mov_b32_e32 v1, s11
	v_add_co_u32_e32 v8, vcc, s10, v9
	s_cmp_lt_i32 s21, 11
	v_addc_co_u32_e32 v9, vcc, 0, v1, vcc
	s_cbranch_scc1 .LBB15_1463
; %bb.1457:
	s_and_b32 s18, 0xffff, s21
	s_cmp_gt_i32 s18, 25
	s_mov_b64 s[2:3], 0
	s_cbranch_scc0 .LBB15_1465
; %bb.1458:
	s_cmp_gt_i32 s18, 28
	s_cbranch_scc0 .LBB15_1466
; %bb.1459:
	s_cmp_gt_i32 s18, 43
	;; [unrolled: 3-line block ×3, first 2 shown]
	s_cbranch_scc0 .LBB15_1469
; %bb.1461:
	s_cmp_eq_u32 s18, 46
	s_mov_b64 s[14:15], 0
	s_cbranch_scc0 .LBB15_1470
; %bb.1462:
	global_load_dword v1, v[8:9], off
	s_mov_b64 s[0:1], 0
	s_mov_b64 s[4:5], -1
	s_waitcnt vmcnt(0)
	v_lshlrev_b32_e32 v10, 16, v1
	s_branch .LBB15_1471
.LBB15_1463:
	s_mov_b64 s[4:5], 0
                                        ; implicit-def: $vgpr10
	s_cbranch_execnz .LBB15_1537
.LBB15_1464:
	s_andn2_b64 vcc, exec, s[4:5]
	s_cbranch_vccnz .LBB15_1813
	s_branch .LBB15_1585
.LBB15_1465:
	s_mov_b64 s[14:15], -1
	s_mov_b64 s[4:5], 0
	s_mov_b64 s[0:1], 0
                                        ; implicit-def: $vgpr10
	s_branch .LBB15_1500
.LBB15_1466:
	s_mov_b64 s[14:15], -1
	s_mov_b64 s[4:5], 0
	s_mov_b64 s[0:1], 0
                                        ; implicit-def: $vgpr10
	s_branch .LBB15_1481
.LBB15_1467:
	s_mov_b64 s[14:15], -1
	s_mov_b64 s[4:5], 0
	s_mov_b64 s[0:1], 0
                                        ; implicit-def: $vgpr10
	s_branch .LBB15_1476
.LBB15_1468:
	s_trap 2
	s_or_b64 s[12:13], s[12:13], exec
	s_cbranch_execz .LBB15_1397
	s_branch .LBB15_1398
.LBB15_1469:
	s_mov_b64 s[14:15], -1
	s_mov_b64 s[4:5], 0
	s_mov_b64 s[0:1], 0
                                        ; implicit-def: $vgpr10
	s_branch .LBB15_1471
.LBB15_1470:
	s_mov_b64 s[0:1], -1
                                        ; implicit-def: $vgpr10
	s_mov_b64 s[4:5], 0
.LBB15_1471:
	s_and_b64 vcc, exec, s[14:15]
	s_cbranch_vccz .LBB15_1475
; %bb.1472:
	s_cmp_eq_u32 s18, 44
	s_cbranch_scc0 .LBB15_1474
; %bb.1473:
	global_load_ubyte v1, v[8:9], off
	s_movk_i32 s4, 0xff
	v_mov_b32_e32 v10, 0x7f800001
	v_mov_b32_e32 v11, 0x400000
	s_mov_b64 s[0:1], 0
	s_waitcnt vmcnt(0)
	v_lshlrev_b32_e32 v12, 23, v1
	v_cmp_ne_u32_e32 vcc, s4, v1
	v_cndmask_b32_e32 v10, v10, v12, vcc
	v_cmp_ne_u32_e32 vcc, 0, v1
	v_cndmask_b32_e32 v10, v11, v10, vcc
	s_mov_b64 s[4:5], -1
	s_branch .LBB15_1475
.LBB15_1474:
	s_mov_b64 s[0:1], -1
                                        ; implicit-def: $vgpr10
.LBB15_1475:
	s_mov_b64 s[14:15], 0
.LBB15_1476:
	s_and_b64 vcc, exec, s[14:15]
	s_cbranch_vccz .LBB15_1480
; %bb.1477:
	s_cmp_eq_u32 s18, 29
	s_cbranch_scc0 .LBB15_1479
; %bb.1478:
	global_load_dwordx2 v[10:11], v[8:9], off
	s_mov_b64 s[0:1], 0
	s_mov_b64 s[4:5], -1
	s_mov_b64 s[14:15], 0
	s_waitcnt vmcnt(0)
	v_ffbh_u32_e32 v1, v11
	v_min_u32_e32 v1, 32, v1
	v_lshlrev_b64 v[10:11], v1, v[10:11]
	v_sub_u32_e32 v1, 32, v1
	v_min_u32_e32 v10, 1, v10
	v_or_b32_e32 v10, v11, v10
	v_cvt_f32_u32_e32 v10, v10
	v_ldexp_f32 v10, v10, v1
	s_branch .LBB15_1481
.LBB15_1479:
	s_mov_b64 s[0:1], -1
                                        ; implicit-def: $vgpr10
.LBB15_1480:
	s_mov_b64 s[14:15], 0
.LBB15_1481:
	s_and_b64 vcc, exec, s[14:15]
	s_cbranch_vccz .LBB15_1499
; %bb.1482:
	s_cmp_lt_i32 s18, 27
	s_cbranch_scc1 .LBB15_1485
; %bb.1483:
	s_cmp_gt_i32 s18, 27
	s_cbranch_scc0 .LBB15_1486
; %bb.1484:
	global_load_dword v1, v[8:9], off
	s_mov_b64 s[4:5], 0
	s_waitcnt vmcnt(0)
	v_cvt_f32_u32_e32 v10, v1
	s_branch .LBB15_1487
.LBB15_1485:
	s_mov_b64 s[4:5], -1
                                        ; implicit-def: $vgpr10
	s_branch .LBB15_1490
.LBB15_1486:
	s_mov_b64 s[4:5], -1
                                        ; implicit-def: $vgpr10
.LBB15_1487:
	s_andn2_b64 vcc, exec, s[4:5]
	s_cbranch_vccnz .LBB15_1489
; %bb.1488:
	global_load_ushort v1, v[8:9], off
	s_waitcnt vmcnt(0)
	v_cvt_f32_u32_e32 v10, v1
.LBB15_1489:
	s_mov_b64 s[4:5], 0
.LBB15_1490:
	s_andn2_b64 vcc, exec, s[4:5]
	s_cbranch_vccnz .LBB15_1498
; %bb.1491:
	global_load_ubyte v1, v[8:9], off
	s_movk_i32 s4, 0x7f
	s_waitcnt vmcnt(0)
	v_cmp_lt_i16_e32 vcc, s4, v1
	s_mov_b64 s[4:5], 0
	s_and_saveexec_b64 s[14:15], vcc
	s_xor_b64 s[14:15], exec, s[14:15]
	s_cbranch_execz .LBB15_1512
; %bb.1492:
	s_movk_i32 s4, 0x80
	v_cmp_eq_u16_e32 vcc, s4, v1
	s_mov_b64 s[4:5], -1
	s_and_saveexec_b64 s[16:17], vcc
; %bb.1493:
	s_xor_b64 s[4:5], exec, -1
; %bb.1494:
	s_or_b64 exec, exec, s[16:17]
	s_and_b64 s[4:5], s[4:5], exec
	s_or_saveexec_b64 s[14:15], s[14:15]
	v_mov_b32_e32 v10, 0x7f800001
	s_xor_b64 exec, exec, s[14:15]
	s_cbranch_execnz .LBB15_1513
.LBB15_1495:
	s_or_b64 exec, exec, s[14:15]
	s_and_saveexec_b64 s[14:15], s[4:5]
	s_cbranch_execz .LBB15_1497
.LBB15_1496:
	v_lshlrev_b32_e32 v10, 24, v1
	v_and_b32_e32 v1, 0xffff, v1
	v_and_b32_e32 v11, 7, v1
	v_ffbh_u32_e32 v13, v11
	v_min_u32_e32 v13, 32, v13
	v_subrev_u32_e32 v14, 28, v13
	v_bfe_u32 v12, v1, 3, 4
	v_lshlrev_b32_e32 v1, v14, v1
	v_sub_u32_e32 v13, 29, v13
	v_and_b32_e32 v1, 7, v1
	v_cmp_eq_u32_e32 vcc, 0, v12
	v_cndmask_b32_e32 v12, v12, v13, vcc
	v_cndmask_b32_e32 v1, v11, v1, vcc
	v_mov_b32_e32 v11, 0x3b800000
	v_lshlrev_b32_e32 v1, 20, v1
	v_and_b32_e32 v10, 0x80000000, v10
	v_lshl_add_u32 v11, v12, 23, v11
	v_or3_b32 v10, v10, v11, v1
.LBB15_1497:
	s_or_b64 exec, exec, s[14:15]
.LBB15_1498:
	s_mov_b64 s[4:5], -1
.LBB15_1499:
	s_mov_b64 s[14:15], 0
.LBB15_1500:
	s_and_b64 vcc, exec, s[14:15]
	s_cbranch_vccz .LBB15_1533
; %bb.1501:
	s_cmp_gt_i32 s18, 22
	s_cbranch_scc0 .LBB15_1511
; %bb.1502:
	s_cmp_lt_i32 s18, 24
	s_cbranch_scc1 .LBB15_1514
; %bb.1503:
	s_cmp_gt_i32 s18, 24
	s_cbranch_scc0 .LBB15_1515
; %bb.1504:
	global_load_ubyte v1, v[8:9], off
	s_movk_i32 s2, 0x7f
	s_waitcnt vmcnt(0)
	v_cmp_lt_i16_e32 vcc, s2, v1
	s_mov_b64 s[2:3], 0
	s_and_saveexec_b64 s[4:5], vcc
	s_xor_b64 s[4:5], exec, s[4:5]
	s_cbranch_execz .LBB15_1527
; %bb.1505:
	s_movk_i32 s2, 0x80
	v_cmp_eq_u16_e32 vcc, s2, v1
	s_mov_b64 s[2:3], -1
	s_and_saveexec_b64 s[14:15], vcc
; %bb.1506:
	s_xor_b64 s[2:3], exec, -1
; %bb.1507:
	s_or_b64 exec, exec, s[14:15]
	s_and_b64 s[2:3], s[2:3], exec
	s_or_saveexec_b64 s[4:5], s[4:5]
	v_mov_b32_e32 v10, 0x7f800001
	s_xor_b64 exec, exec, s[4:5]
	s_cbranch_execnz .LBB15_1528
.LBB15_1508:
	s_or_b64 exec, exec, s[4:5]
	s_and_saveexec_b64 s[4:5], s[2:3]
	s_cbranch_execz .LBB15_1510
.LBB15_1509:
	v_lshlrev_b32_e32 v10, 24, v1
	v_and_b32_e32 v1, 0xffff, v1
	v_and_b32_e32 v11, 3, v1
	v_ffbh_u32_e32 v13, v11
	v_min_u32_e32 v13, 32, v13
	v_subrev_u32_e32 v14, 29, v13
	v_bfe_u32 v12, v1, 2, 5
	v_lshlrev_b32_e32 v1, v14, v1
	v_sub_u32_e32 v13, 30, v13
	v_and_b32_e32 v1, 3, v1
	v_cmp_eq_u32_e32 vcc, 0, v12
	v_cndmask_b32_e32 v12, v12, v13, vcc
	v_cndmask_b32_e32 v1, v11, v1, vcc
	v_mov_b32_e32 v11, 0x37800000
	v_lshlrev_b32_e32 v1, 21, v1
	v_and_b32_e32 v10, 0x80000000, v10
	v_lshl_add_u32 v11, v12, 23, v11
	v_or3_b32 v10, v10, v11, v1
.LBB15_1510:
	s_or_b64 exec, exec, s[4:5]
	s_mov_b64 s[2:3], 0
	s_branch .LBB15_1516
.LBB15_1511:
	s_mov_b64 s[2:3], -1
                                        ; implicit-def: $vgpr10
	s_branch .LBB15_1522
.LBB15_1512:
	s_or_saveexec_b64 s[14:15], s[14:15]
	v_mov_b32_e32 v10, 0x7f800001
	s_xor_b64 exec, exec, s[14:15]
	s_cbranch_execz .LBB15_1495
.LBB15_1513:
	v_cmp_ne_u16_e32 vcc, 0, v1
	s_andn2_b64 s[4:5], s[4:5], exec
	s_and_b64 s[16:17], vcc, exec
	v_mov_b32_e32 v10, 0
	s_or_b64 s[4:5], s[4:5], s[16:17]
	s_or_b64 exec, exec, s[14:15]
	s_and_saveexec_b64 s[14:15], s[4:5]
	s_cbranch_execnz .LBB15_1496
	s_branch .LBB15_1497
.LBB15_1514:
	s_mov_b64 s[2:3], -1
                                        ; implicit-def: $vgpr10
	s_branch .LBB15_1519
.LBB15_1515:
	s_mov_b64 s[2:3], -1
                                        ; implicit-def: $vgpr10
.LBB15_1516:
	s_and_b64 vcc, exec, s[2:3]
	s_cbranch_vccz .LBB15_1518
; %bb.1517:
	global_load_ubyte v1, v[8:9], off
	s_mov_b32 s2, 0x7f800000
	s_waitcnt vmcnt(0)
	v_lshlrev_b32_e32 v1, 24, v1
	v_and_b32_e32 v10, 0x7f000000, v1
	v_ffbh_u32_e32 v11, v10
	v_min_u32_e32 v11, 32, v11
	v_sub_u32_e64 v11, v11, 4 clamp
	v_lshlrev_b32_e32 v13, v11, v10
	v_lshlrev_b32_e32 v11, 23, v11
	v_lshrrev_b32_e32 v13, 4, v13
	v_add_u32_e32 v12, 0x1000000, v10
	v_sub_u32_e32 v11, v13, v11
	v_ashrrev_i32_e32 v12, 8, v12
	v_add_u32_e32 v11, 0x3c000000, v11
	v_and_or_b32 v11, v12, s2, v11
	v_cmp_ne_u32_e32 vcc, 0, v10
	v_cndmask_b32_e32 v10, 0, v11, vcc
	s_brev_b32 s2, 1
	v_and_or_b32 v10, v1, s2, v10
.LBB15_1518:
	s_mov_b64 s[2:3], 0
.LBB15_1519:
	s_andn2_b64 vcc, exec, s[2:3]
	s_cbranch_vccnz .LBB15_1521
; %bb.1520:
	global_load_ubyte v1, v[8:9], off
	s_movk_i32 s2, 0x7f00
	s_brev_b32 s3, 16
	s_waitcnt vmcnt(0)
	v_lshlrev_b16_e32 v10, 8, v1
	v_lshlrev_b32_e32 v1, 25, v1
	v_lshrrev_b32_e32 v11, 4, v1
	v_and_or_b32 v12, v10, s2, 0.5
	v_or_b32_e32 v11, 0x70000000, v11
	v_add_f32_e32 v12, -0.5, v12
	v_mul_f32_e32 v11, 0x7800000, v11
	v_cmp_gt_u32_e32 vcc, s3, v1
	v_bfe_i32 v10, v10, 0, 16
	v_cndmask_b32_e32 v1, v11, v12, vcc
	s_brev_b32 s2, 1
	v_and_or_b32 v10, v10, s2, v1
.LBB15_1521:
	s_mov_b64 s[2:3], 0
	s_mov_b64 s[4:5], -1
.LBB15_1522:
	s_andn2_b64 vcc, exec, s[2:3]
	s_mov_b64 s[2:3], 0
	s_cbranch_vccnz .LBB15_1533
; %bb.1523:
	s_cmp_gt_i32 s18, 14
	s_cbranch_scc0 .LBB15_1526
; %bb.1524:
	s_cmp_eq_u32 s18, 15
	s_cbranch_scc0 .LBB15_1529
; %bb.1525:
	global_load_ushort v1, v[8:9], off
	s_mov_b64 s[0:1], 0
	s_mov_b64 s[4:5], -1
	s_waitcnt vmcnt(0)
	v_lshlrev_b32_e32 v10, 16, v1
	s_branch .LBB15_1530
.LBB15_1526:
	s_mov_b64 s[14:15], -1
                                        ; implicit-def: $vgpr10
	s_branch .LBB15_1531
.LBB15_1527:
	s_or_saveexec_b64 s[4:5], s[4:5]
	v_mov_b32_e32 v10, 0x7f800001
	s_xor_b64 exec, exec, s[4:5]
	s_cbranch_execz .LBB15_1508
.LBB15_1528:
	v_cmp_ne_u16_e32 vcc, 0, v1
	s_andn2_b64 s[2:3], s[2:3], exec
	s_and_b64 s[14:15], vcc, exec
	v_mov_b32_e32 v10, 0
	s_or_b64 s[2:3], s[2:3], s[14:15]
	s_or_b64 exec, exec, s[4:5]
	s_and_saveexec_b64 s[4:5], s[2:3]
	s_cbranch_execnz .LBB15_1509
	s_branch .LBB15_1510
.LBB15_1529:
	s_mov_b64 s[0:1], -1
                                        ; implicit-def: $vgpr10
.LBB15_1530:
	s_mov_b64 s[14:15], 0
.LBB15_1531:
	s_and_b64 vcc, exec, s[14:15]
	s_cbranch_vccz .LBB15_1533
; %bb.1532:
	s_cmp_lg_u32 s18, 11
	s_mov_b64 s[2:3], -1
	s_cselect_b64 s[0:1], -1, 0
.LBB15_1533:
	s_and_b64 vcc, exec, s[0:1]
	s_cbranch_vccnz .LBB15_1606
; %bb.1534:
	s_andn2_b64 vcc, exec, s[2:3]
	s_cbranch_vccnz .LBB15_1536
.LBB15_1535:
	global_load_ubyte v1, v[8:9], off
	s_mov_b64 s[4:5], -1
	s_waitcnt vmcnt(0)
	v_cmp_ne_u16_e32 vcc, 0, v1
	v_cndmask_b32_e64 v10, 0, 1.0, vcc
.LBB15_1536:
	s_branch .LBB15_1464
.LBB15_1537:
	s_and_b32 s2, 0xffff, s21
	s_cmp_lt_i32 s2, 5
	s_cbranch_scc1 .LBB15_1542
; %bb.1538:
	s_cmp_lt_i32 s2, 8
	s_cbranch_scc1 .LBB15_1543
; %bb.1539:
	;; [unrolled: 3-line block ×3, first 2 shown]
	s_cmp_gt_i32 s2, 9
	s_cbranch_scc0 .LBB15_1545
; %bb.1541:
	global_load_dwordx2 v[10:11], v[8:9], off
	s_mov_b64 s[0:1], 0
	s_waitcnt vmcnt(0)
	v_cvt_f32_f64_e32 v10, v[10:11]
	s_branch .LBB15_1546
.LBB15_1542:
	s_mov_b64 s[0:1], -1
                                        ; implicit-def: $vgpr10
	s_branch .LBB15_1564
.LBB15_1543:
	s_mov_b64 s[0:1], -1
                                        ; implicit-def: $vgpr10
	s_branch .LBB15_1552
.LBB15_1544:
	s_mov_b64 s[0:1], -1
                                        ; implicit-def: $vgpr10
	s_branch .LBB15_1549
.LBB15_1545:
	s_mov_b64 s[0:1], -1
                                        ; implicit-def: $vgpr10
.LBB15_1546:
	s_andn2_b64 vcc, exec, s[0:1]
	s_cbranch_vccnz .LBB15_1548
; %bb.1547:
	global_load_dword v10, v[8:9], off
.LBB15_1548:
	s_mov_b64 s[0:1], 0
.LBB15_1549:
	s_andn2_b64 vcc, exec, s[0:1]
	s_cbranch_vccnz .LBB15_1551
; %bb.1550:
	global_load_dword v1, v[8:9], off
	s_waitcnt vmcnt(0)
	v_cvt_f32_f16_e32 v10, v1
.LBB15_1551:
	s_mov_b64 s[0:1], 0
.LBB15_1552:
	s_andn2_b64 vcc, exec, s[0:1]
	s_cbranch_vccnz .LBB15_1563
; %bb.1553:
	s_cmp_lt_i32 s2, 6
	s_cbranch_scc1 .LBB15_1556
; %bb.1554:
	s_cmp_gt_i32 s2, 6
	s_cbranch_scc0 .LBB15_1557
; %bb.1555:
	global_load_dwordx2 v[10:11], v[8:9], off
	s_mov_b64 s[0:1], 0
	s_waitcnt vmcnt(0)
	v_cvt_f32_f64_e32 v10, v[10:11]
	s_branch .LBB15_1558
.LBB15_1556:
	s_mov_b64 s[0:1], -1
                                        ; implicit-def: $vgpr10
	s_branch .LBB15_1561
.LBB15_1557:
	s_mov_b64 s[0:1], -1
                                        ; implicit-def: $vgpr10
.LBB15_1558:
	s_andn2_b64 vcc, exec, s[0:1]
	s_cbranch_vccnz .LBB15_1560
; %bb.1559:
	global_load_dword v10, v[8:9], off
.LBB15_1560:
	s_mov_b64 s[0:1], 0
.LBB15_1561:
	s_andn2_b64 vcc, exec, s[0:1]
	s_cbranch_vccnz .LBB15_1563
; %bb.1562:
	global_load_ushort v1, v[8:9], off
	s_waitcnt vmcnt(0)
	v_cvt_f32_f16_e32 v10, v1
.LBB15_1563:
	s_mov_b64 s[0:1], 0
.LBB15_1564:
	s_andn2_b64 vcc, exec, s[0:1]
	s_cbranch_vccnz .LBB15_1584
; %bb.1565:
	s_cmp_lt_i32 s2, 2
	s_cbranch_scc1 .LBB15_1569
; %bb.1566:
	s_cmp_lt_i32 s2, 3
	s_cbranch_scc1 .LBB15_1570
; %bb.1567:
	s_cmp_gt_i32 s2, 3
	s_cbranch_scc0 .LBB15_1571
; %bb.1568:
	global_load_dwordx2 v[10:11], v[8:9], off
	s_mov_b64 s[0:1], 0
	s_waitcnt vmcnt(0)
	v_xor_b32_e32 v12, v10, v11
	v_ffbh_i32_e32 v1, v11
	v_ashrrev_i32_e32 v12, 31, v12
	v_add_u32_e32 v1, -1, v1
	v_add_u32_e32 v12, 32, v12
	v_min_u32_e32 v1, v1, v12
	v_lshlrev_b64 v[10:11], v1, v[10:11]
	v_sub_u32_e32 v1, 32, v1
	v_min_u32_e32 v10, 1, v10
	v_or_b32_e32 v10, v11, v10
	v_cvt_f32_i32_e32 v10, v10
	v_ldexp_f32 v10, v10, v1
	s_branch .LBB15_1572
.LBB15_1569:
	s_mov_b64 s[0:1], -1
                                        ; implicit-def: $vgpr10
	s_branch .LBB15_1578
.LBB15_1570:
	s_mov_b64 s[0:1], -1
                                        ; implicit-def: $vgpr10
	s_branch .LBB15_1575
.LBB15_1571:
	s_mov_b64 s[0:1], -1
                                        ; implicit-def: $vgpr10
.LBB15_1572:
	s_andn2_b64 vcc, exec, s[0:1]
	s_cbranch_vccnz .LBB15_1574
; %bb.1573:
	global_load_dword v1, v[8:9], off
	s_waitcnt vmcnt(0)
	v_cvt_f32_i32_e32 v10, v1
.LBB15_1574:
	s_mov_b64 s[0:1], 0
.LBB15_1575:
	s_andn2_b64 vcc, exec, s[0:1]
	s_cbranch_vccnz .LBB15_1577
; %bb.1576:
	global_load_sshort v1, v[8:9], off
	s_waitcnt vmcnt(0)
	v_cvt_f32_i32_e32 v10, v1
.LBB15_1577:
	s_mov_b64 s[0:1], 0
.LBB15_1578:
	s_andn2_b64 vcc, exec, s[0:1]
	s_cbranch_vccnz .LBB15_1584
; %bb.1579:
	s_cmp_gt_i32 s2, 0
	s_cbranch_scc0 .LBB15_1581
; %bb.1580:
	global_load_sbyte v1, v[8:9], off
	s_mov_b64 s[0:1], 0
	s_waitcnt vmcnt(0)
	v_cvt_f32_i32_e32 v10, v1
	s_branch .LBB15_1582
.LBB15_1581:
	s_mov_b64 s[0:1], -1
                                        ; implicit-def: $vgpr10
.LBB15_1582:
	s_andn2_b64 vcc, exec, s[0:1]
	s_cbranch_vccnz .LBB15_1584
; %bb.1583:
	global_load_ubyte v1, v[8:9], off
	s_waitcnt vmcnt(0)
	v_cvt_f32_ubyte0_e32 v10, v1
.LBB15_1584:
.LBB15_1585:
	s_mov_b32 s0, 0x7f800000
	s_waitcnt vmcnt(0)
	v_cmp_neq_f32_e64 s[0:1], |v10|, s0
	v_mov_b32_e32 v1, 0
	s_and_saveexec_b64 s[14:15], s[0:1]
	s_cbranch_execz .LBB15_1595
; %bb.1586:
	v_cmp_nlt_f32_e64 s[0:1], |v10|, 0.5
                                        ; implicit-def: $vgpr1
	s_and_saveexec_b64 s[2:3], s[0:1]
	s_xor_b64 s[16:17], exec, s[2:3]
	s_cbranch_execz .LBB15_1592
; %bb.1587:
	s_brev_b32 s0, 18
	v_and_b32_e32 v1, 0x7fffffff, v10
	v_cmp_nlt_f32_e64 s[0:1], |v10|, s0
                                        ; implicit-def: $vgpr8
                                        ; implicit-def: $vgpr9
	s_and_saveexec_b64 s[2:3], s[0:1]
	s_xor_b64 s[18:19], exec, s[2:3]
	s_cbranch_execz .LBB15_1589
; %bb.1588:
	v_and_b32_e32 v8, 0x7fffff, v1
	v_or_b32_e32 v19, 0x800000, v8
	s_mov_b32 s0, 0xfe5163ab
	v_mad_u64_u32 v[8:9], s[0:1], v19, s0, 0
	v_mov_b32_e32 v12, 0
	s_mov_b32 s0, 0x3c439041
	v_mov_b32_e32 v11, v9
	v_mad_u64_u32 v[13:14], s[0:1], v19, s0, v[11:12]
	s_mov_b32 s0, 0xdb629599
	v_lshrrev_b32_e32 v9, 23, v1
	v_mov_b32_e32 v11, v14
	v_mad_u64_u32 v[14:15], s[0:1], v19, s0, v[11:12]
	s_mov_b32 s0, 0xf534ddc0
	v_add_u32_e32 v9, 0xffffff88, v9
	v_mov_b32_e32 v11, v15
	v_mad_u64_u32 v[15:16], s[0:1], v19, s0, v[11:12]
	s_mov_b32 s0, 0xfc2757d1
	v_not_b32_e32 v18, 63
	v_mov_b32_e32 v11, v16
	v_mad_u64_u32 v[16:17], s[0:1], v19, s0, v[11:12]
	v_cmp_lt_u32_e32 vcc, 63, v9
	v_cndmask_b32_e32 v11, 0, v18, vcc
	v_add_u32_e32 v9, v11, v9
	v_mov_b32_e32 v11, v17
	s_mov_b32 s0, 0x4e441529
	v_mad_u64_u32 v[17:18], s[0:1], v19, s0, v[11:12]
	v_not_b32_e32 v20, 31
	v_cmp_lt_u32_e64 s[0:1], 31, v9
	v_cndmask_b32_e64 v11, 0, v20, s[0:1]
	v_add_u32_e32 v9, v11, v9
	v_mov_b32_e32 v11, v18
	s_mov_b32 s2, 0xa2f9836e
	v_mad_u64_u32 v[11:12], s[2:3], v19, s2, v[11:12]
	v_cmp_lt_u32_e64 s[2:3], 31, v9
	v_cndmask_b32_e64 v18, 0, v20, s[2:3]
	v_add_u32_e32 v9, v18, v9
	v_cndmask_b32_e32 v18, v17, v15, vcc
	v_cndmask_b32_e32 v11, v11, v16, vcc
	;; [unrolled: 1-line block ×3, first 2 shown]
	v_cndmask_b32_e64 v19, v11, v18, s[0:1]
	v_cndmask_b32_e64 v11, v12, v11, s[0:1]
	v_cndmask_b32_e32 v12, v16, v14, vcc
	v_cndmask_b32_e64 v16, v18, v12, s[0:1]
	v_sub_u32_e32 v18, 32, v9
	v_cmp_eq_u32_e64 s[4:5], 0, v9
	v_cndmask_b32_e32 v9, v15, v13, vcc
	v_cndmask_b32_e64 v11, v11, v19, s[2:3]
	v_cndmask_b32_e64 v17, v19, v16, s[2:3]
	;; [unrolled: 1-line block ×3, first 2 shown]
	v_alignbit_b32 v19, v11, v17, v18
	v_cndmask_b32_e64 v13, v16, v12, s[2:3]
	v_cndmask_b32_e64 v11, v19, v11, s[4:5]
	v_alignbit_b32 v15, v17, v13, v18
	v_cndmask_b32_e32 v8, v14, v8, vcc
	v_cndmask_b32_e64 v15, v15, v17, s[4:5]
	v_bfe_u32 v19, v11, 29, 1
	v_cndmask_b32_e64 v8, v9, v8, s[0:1]
	v_alignbit_b32 v16, v11, v15, 30
	v_sub_u32_e32 v20, 0, v19
	v_cndmask_b32_e64 v8, v12, v8, s[2:3]
	v_xor_b32_e32 v16, v16, v20
	v_alignbit_b32 v9, v13, v8, v18
	v_cndmask_b32_e64 v9, v9, v13, s[4:5]
	v_ffbh_u32_e32 v13, v16
	v_alignbit_b32 v12, v15, v9, 30
	v_min_u32_e32 v13, 32, v13
	v_alignbit_b32 v8, v9, v8, 30
	v_xor_b32_e32 v12, v12, v20
	v_sub_u32_e32 v14, 31, v13
	v_xor_b32_e32 v8, v8, v20
	v_alignbit_b32 v15, v16, v12, v14
	v_alignbit_b32 v8, v12, v8, v14
	;; [unrolled: 1-line block ×3, first 2 shown]
	v_ffbh_u32_e32 v12, v9
	v_min_u32_e32 v12, 32, v12
	v_lshrrev_b32_e32 v17, 29, v11
	v_not_b32_e32 v14, v12
	v_alignbit_b32 v8, v9, v8, v14
	v_lshlrev_b32_e32 v9, 31, v17
	v_or_b32_e32 v14, 0x33000000, v9
	v_add_lshl_u32 v12, v12, v13, 23
	v_lshrrev_b32_e32 v8, 9, v8
	v_sub_u32_e32 v12, v14, v12
	v_or_b32_e32 v9, 0.5, v9
	v_lshlrev_b32_e32 v13, 23, v13
	v_or_b32_e32 v8, v12, v8
	v_lshrrev_b32_e32 v12, 9, v15
	v_sub_u32_e32 v9, v9, v13
	v_or_b32_e32 v9, v12, v9
	s_mov_b32 s0, 0x3fc90fda
	v_mul_f32_e32 v12, 0x3fc90fda, v9
	v_fma_f32 v13, v9, s0, -v12
	v_fmac_f32_e32 v13, 0x33a22168, v9
	v_fmac_f32_e32 v13, 0x3fc90fda, v8
	v_lshrrev_b32_e32 v8, 30, v11
	v_add_f32_e32 v9, v12, v13
	v_add_u32_e32 v8, v19, v8
.LBB15_1589:
	s_andn2_saveexec_b64 s[0:1], s[18:19]
	s_cbranch_execz .LBB15_1591
; %bb.1590:
	s_mov_b32 s2, 0x3f22f983
	v_mul_f32_e64 v8, |v10|, s2
	v_rndne_f32_e32 v11, v8
	s_mov_b32 s2, 0xbfc90fda
	v_cvt_i32_f32_e32 v8, v11
	v_fma_f32 v9, v11, s2, |v10|
	v_fmac_f32_e32 v9, 0xb3a22168, v11
	v_fmac_f32_e32 v9, 0xa7c234c4, v11
.LBB15_1591:
	s_or_b64 exec, exec, s[0:1]
	v_mul_f32_e32 v11, v9, v9
	v_mov_b32_e32 v12, 0x3c0881c4
	v_fmac_f32_e32 v12, 0xb94c1982, v11
	v_mov_b32_e32 v13, 0xbe2aaa9d
	v_fmac_f32_e32 v13, v11, v12
	v_mul_f32_e32 v12, v11, v13
	v_fmac_f32_e32 v9, v9, v12
	v_mov_b32_e32 v12, 0xbab64f3b
	v_fmac_f32_e32 v12, 0x37d75334, v11
	v_mov_b32_e32 v13, 0x3d2aabf7
	;; [unrolled: 2-line block ×3, first 2 shown]
	v_fmac_f32_e32 v12, v11, v13
	v_fma_f32 v11, v11, v12, 1.0
	v_and_b32_e32 v12, 1, v8
	v_lshlrev_b32_e32 v8, 30, v8
	v_cmp_eq_u32_e32 vcc, 0, v12
	v_and_b32_e32 v8, 0x80000000, v8
	v_xor_b32_e32 v1, v1, v10
	v_cndmask_b32_e32 v9, v11, v9, vcc
	v_xor_b32_e32 v1, v1, v8
	s_movk_i32 s0, 0x1f8
	v_xor_b32_e32 v1, v1, v9
	v_mov_b32_e32 v8, 0x7fc00000
	v_cmp_class_f32_e64 vcc, v10, s0
	v_cndmask_b32_e32 v1, v8, v1, vcc
	v_div_scale_f32 v8, s[0:1], v10, v10, v1
	v_div_scale_f32 v9, vcc, v1, v10, v1
	v_rcp_f32_e32 v11, v8
	v_fma_f32 v12, -v8, v11, 1.0
	v_fmac_f32_e32 v11, v12, v11
	v_mul_f32_e32 v12, v9, v11
	v_fma_f32 v13, -v8, v12, v9
	v_fmac_f32_e32 v12, v13, v11
	v_fma_f32 v8, -v8, v12, v9
	v_div_fmas_f32 v8, v8, v11, v12
	v_div_fixup_f32 v1, v8, v10, v1
                                        ; implicit-def: $vgpr10
.LBB15_1592:
	s_andn2_saveexec_b64 s[0:1], s[16:17]
	s_cbranch_execz .LBB15_1594
; %bb.1593:
	v_mul_f32_e32 v1, v10, v10
	v_mov_b32_e32 v8, 0xb2d7322b
	v_fmac_f32_e32 v8, 0x2f309231, v1
	v_mov_b32_e32 v9, 0x3638ef1d
	v_fmac_f32_e32 v9, v1, v8
	v_mov_b32_e32 v8, 0xb9500d01
	v_fmac_f32_e32 v8, v1, v9
	v_mov_b32_e32 v9, 0x3c088889
	v_fmac_f32_e32 v9, v1, v8
	v_mov_b32_e32 v8, 0xbe2aaaab
	v_fmac_f32_e32 v8, v1, v9
	v_fma_f32 v1, v1, v8, 1.0
.LBB15_1594:
	s_or_b64 exec, exec, s[0:1]
.LBB15_1595:
	s_or_b64 exec, exec, s[14:15]
	v_mov_b32_e32 v8, s11
	v_add_co_u32_e32 v7, vcc, s10, v7
	s_cmp_lt_i32 s21, 11
	v_addc_co_u32_e32 v8, vcc, 0, v8, vcc
	s_cbranch_scc1 .LBB15_1602
; %bb.1596:
	s_and_b32 s16, 0xffff, s21
	s_cmp_gt_i32 s16, 25
	s_mov_b64 s[2:3], 0
	s_cbranch_scc0 .LBB15_1603
; %bb.1597:
	s_cmp_gt_i32 s16, 28
	s_cbranch_scc0 .LBB15_1604
; %bb.1598:
	s_cmp_gt_i32 s16, 43
	;; [unrolled: 3-line block ×3, first 2 shown]
	s_cbranch_scc0 .LBB15_1607
; %bb.1600:
	s_cmp_eq_u32 s16, 46
	s_mov_b64 s[10:11], 0
	s_cbranch_scc0 .LBB15_1608
; %bb.1601:
	global_load_dword v9, v[7:8], off
	s_mov_b64 s[0:1], 0
	s_mov_b64 s[4:5], -1
	s_waitcnt vmcnt(0)
	v_lshlrev_b32_e32 v9, 16, v9
	s_branch .LBB15_1609
.LBB15_1602:
	s_mov_b64 s[0:1], -1
	s_mov_b64 s[4:5], 0
                                        ; implicit-def: $vgpr9
	s_branch .LBB15_1675
.LBB15_1603:
	s_mov_b64 s[10:11], -1
	s_mov_b64 s[4:5], 0
	s_mov_b64 s[0:1], 0
                                        ; implicit-def: $vgpr9
	s_branch .LBB15_1638
.LBB15_1604:
	s_mov_b64 s[10:11], -1
	s_mov_b64 s[4:5], 0
	s_mov_b64 s[0:1], 0
                                        ; implicit-def: $vgpr9
	s_branch .LBB15_1619
.LBB15_1605:
	s_mov_b64 s[10:11], -1
	s_mov_b64 s[4:5], 0
	s_mov_b64 s[0:1], 0
                                        ; implicit-def: $vgpr9
	s_branch .LBB15_1614
.LBB15_1606:
	s_trap 2
	s_or_b64 s[12:13], s[12:13], exec
	s_cbranch_execz .LBB15_1535
	s_branch .LBB15_1536
.LBB15_1607:
	s_mov_b64 s[10:11], -1
	s_mov_b64 s[4:5], 0
	s_mov_b64 s[0:1], 0
                                        ; implicit-def: $vgpr9
	s_branch .LBB15_1609
.LBB15_1608:
	s_mov_b64 s[0:1], -1
                                        ; implicit-def: $vgpr9
	s_mov_b64 s[4:5], 0
.LBB15_1609:
	s_and_b64 vcc, exec, s[10:11]
	s_cbranch_vccz .LBB15_1613
; %bb.1610:
	s_cmp_eq_u32 s16, 44
	s_cbranch_scc0 .LBB15_1612
; %bb.1611:
	global_load_ubyte v9, v[7:8], off
	s_movk_i32 s4, 0xff
	v_mov_b32_e32 v10, 0x7f800001
	v_mov_b32_e32 v11, 0x400000
	s_mov_b64 s[0:1], 0
	s_waitcnt vmcnt(0)
	v_lshlrev_b32_e32 v12, 23, v9
	v_cmp_ne_u32_e32 vcc, s4, v9
	v_cndmask_b32_e32 v10, v10, v12, vcc
	v_cmp_ne_u32_e32 vcc, 0, v9
	v_cndmask_b32_e32 v9, v11, v10, vcc
	s_mov_b64 s[4:5], -1
	s_branch .LBB15_1613
.LBB15_1612:
	s_mov_b64 s[0:1], -1
                                        ; implicit-def: $vgpr9
.LBB15_1613:
	s_mov_b64 s[10:11], 0
.LBB15_1614:
	s_and_b64 vcc, exec, s[10:11]
	s_cbranch_vccz .LBB15_1618
; %bb.1615:
	s_cmp_eq_u32 s16, 29
	s_cbranch_scc0 .LBB15_1617
; %bb.1616:
	global_load_dwordx2 v[9:10], v[7:8], off
	s_mov_b64 s[0:1], 0
	s_mov_b64 s[4:5], -1
	s_mov_b64 s[10:11], 0
	s_waitcnt vmcnt(0)
	v_ffbh_u32_e32 v11, v10
	v_min_u32_e32 v11, 32, v11
	v_lshlrev_b64 v[9:10], v11, v[9:10]
	v_min_u32_e32 v9, 1, v9
	v_or_b32_e32 v9, v10, v9
	v_cvt_f32_u32_e32 v9, v9
	v_sub_u32_e32 v10, 32, v11
	v_ldexp_f32 v9, v9, v10
	s_branch .LBB15_1619
.LBB15_1617:
	s_mov_b64 s[0:1], -1
                                        ; implicit-def: $vgpr9
.LBB15_1618:
	s_mov_b64 s[10:11], 0
.LBB15_1619:
	s_and_b64 vcc, exec, s[10:11]
	s_cbranch_vccz .LBB15_1637
; %bb.1620:
	s_cmp_lt_i32 s16, 27
	s_cbranch_scc1 .LBB15_1623
; %bb.1621:
	s_cmp_gt_i32 s16, 27
	s_cbranch_scc0 .LBB15_1624
; %bb.1622:
	global_load_dword v9, v[7:8], off
	s_mov_b64 s[4:5], 0
	s_waitcnt vmcnt(0)
	v_cvt_f32_u32_e32 v9, v9
	s_branch .LBB15_1625
.LBB15_1623:
	s_mov_b64 s[4:5], -1
                                        ; implicit-def: $vgpr9
	s_branch .LBB15_1628
.LBB15_1624:
	s_mov_b64 s[4:5], -1
                                        ; implicit-def: $vgpr9
.LBB15_1625:
	s_andn2_b64 vcc, exec, s[4:5]
	s_cbranch_vccnz .LBB15_1627
; %bb.1626:
	global_load_ushort v9, v[7:8], off
	s_waitcnt vmcnt(0)
	v_cvt_f32_u32_e32 v9, v9
.LBB15_1627:
	s_mov_b64 s[4:5], 0
.LBB15_1628:
	s_andn2_b64 vcc, exec, s[4:5]
	s_cbranch_vccnz .LBB15_1636
; %bb.1629:
	global_load_ubyte v10, v[7:8], off
	s_movk_i32 s4, 0x7f
	s_waitcnt vmcnt(0)
	v_cmp_lt_i16_e32 vcc, s4, v10
	s_mov_b64 s[4:5], 0
	s_and_saveexec_b64 s[10:11], vcc
	s_xor_b64 s[10:11], exec, s[10:11]
	s_cbranch_execz .LBB15_1650
; %bb.1630:
	s_movk_i32 s4, 0x80
	v_cmp_eq_u16_e32 vcc, s4, v10
	s_mov_b64 s[4:5], -1
	s_and_saveexec_b64 s[14:15], vcc
; %bb.1631:
	s_xor_b64 s[4:5], exec, -1
; %bb.1632:
	s_or_b64 exec, exec, s[14:15]
	s_and_b64 s[4:5], s[4:5], exec
	s_or_saveexec_b64 s[10:11], s[10:11]
	v_mov_b32_e32 v9, 0x7f800001
	s_xor_b64 exec, exec, s[10:11]
	s_cbranch_execnz .LBB15_1651
.LBB15_1633:
	s_or_b64 exec, exec, s[10:11]
	s_and_saveexec_b64 s[10:11], s[4:5]
	s_cbranch_execz .LBB15_1635
.LBB15_1634:
	v_lshlrev_b32_e32 v9, 24, v10
	v_and_b32_e32 v10, 0xffff, v10
	v_and_b32_e32 v11, 7, v10
	v_ffbh_u32_e32 v13, v11
	v_min_u32_e32 v13, 32, v13
	v_subrev_u32_e32 v14, 28, v13
	v_bfe_u32 v12, v10, 3, 4
	v_lshlrev_b32_e32 v10, v14, v10
	v_sub_u32_e32 v13, 29, v13
	v_and_b32_e32 v10, 7, v10
	v_cmp_eq_u32_e32 vcc, 0, v12
	v_cndmask_b32_e32 v12, v12, v13, vcc
	v_cndmask_b32_e32 v10, v11, v10, vcc
	v_mov_b32_e32 v11, 0x3b800000
	v_lshlrev_b32_e32 v10, 20, v10
	v_and_b32_e32 v9, 0x80000000, v9
	v_lshl_add_u32 v11, v12, 23, v11
	v_or3_b32 v9, v9, v11, v10
.LBB15_1635:
	s_or_b64 exec, exec, s[10:11]
.LBB15_1636:
	s_mov_b64 s[4:5], -1
.LBB15_1637:
	s_mov_b64 s[10:11], 0
.LBB15_1638:
	s_and_b64 vcc, exec, s[10:11]
	s_cbranch_vccz .LBB15_1671
; %bb.1639:
	s_cmp_gt_i32 s16, 22
	s_cbranch_scc0 .LBB15_1649
; %bb.1640:
	s_cmp_lt_i32 s16, 24
	s_cbranch_scc1 .LBB15_1652
; %bb.1641:
	s_cmp_gt_i32 s16, 24
	s_cbranch_scc0 .LBB15_1653
; %bb.1642:
	global_load_ubyte v10, v[7:8], off
	s_movk_i32 s2, 0x7f
	s_waitcnt vmcnt(0)
	v_cmp_lt_i16_e32 vcc, s2, v10
	s_mov_b64 s[2:3], 0
	s_and_saveexec_b64 s[4:5], vcc
	s_xor_b64 s[4:5], exec, s[4:5]
	s_cbranch_execz .LBB15_1665
; %bb.1643:
	s_movk_i32 s2, 0x80
	v_cmp_eq_u16_e32 vcc, s2, v10
	s_mov_b64 s[2:3], -1
	s_and_saveexec_b64 s[10:11], vcc
; %bb.1644:
	s_xor_b64 s[2:3], exec, -1
; %bb.1645:
	s_or_b64 exec, exec, s[10:11]
	s_and_b64 s[2:3], s[2:3], exec
	s_or_saveexec_b64 s[4:5], s[4:5]
	v_mov_b32_e32 v9, 0x7f800001
	s_xor_b64 exec, exec, s[4:5]
	s_cbranch_execnz .LBB15_1666
.LBB15_1646:
	s_or_b64 exec, exec, s[4:5]
	s_and_saveexec_b64 s[4:5], s[2:3]
	s_cbranch_execz .LBB15_1648
.LBB15_1647:
	v_lshlrev_b32_e32 v9, 24, v10
	v_and_b32_e32 v10, 0xffff, v10
	v_and_b32_e32 v11, 3, v10
	v_ffbh_u32_e32 v13, v11
	v_min_u32_e32 v13, 32, v13
	v_subrev_u32_e32 v14, 29, v13
	v_bfe_u32 v12, v10, 2, 5
	v_lshlrev_b32_e32 v10, v14, v10
	v_sub_u32_e32 v13, 30, v13
	v_and_b32_e32 v10, 3, v10
	v_cmp_eq_u32_e32 vcc, 0, v12
	v_cndmask_b32_e32 v12, v12, v13, vcc
	v_cndmask_b32_e32 v10, v11, v10, vcc
	v_mov_b32_e32 v11, 0x37800000
	v_lshlrev_b32_e32 v10, 21, v10
	v_and_b32_e32 v9, 0x80000000, v9
	v_lshl_add_u32 v11, v12, 23, v11
	v_or3_b32 v9, v9, v11, v10
.LBB15_1648:
	s_or_b64 exec, exec, s[4:5]
	s_mov_b64 s[2:3], 0
	s_branch .LBB15_1654
.LBB15_1649:
	s_mov_b64 s[2:3], -1
                                        ; implicit-def: $vgpr9
	s_branch .LBB15_1660
.LBB15_1650:
	s_or_saveexec_b64 s[10:11], s[10:11]
	v_mov_b32_e32 v9, 0x7f800001
	s_xor_b64 exec, exec, s[10:11]
	s_cbranch_execz .LBB15_1633
.LBB15_1651:
	v_cmp_ne_u16_e32 vcc, 0, v10
	s_andn2_b64 s[4:5], s[4:5], exec
	s_and_b64 s[14:15], vcc, exec
	v_mov_b32_e32 v9, 0
	s_or_b64 s[4:5], s[4:5], s[14:15]
	s_or_b64 exec, exec, s[10:11]
	s_and_saveexec_b64 s[10:11], s[4:5]
	s_cbranch_execnz .LBB15_1634
	s_branch .LBB15_1635
.LBB15_1652:
	s_mov_b64 s[2:3], -1
                                        ; implicit-def: $vgpr9
	s_branch .LBB15_1657
.LBB15_1653:
	s_mov_b64 s[2:3], -1
                                        ; implicit-def: $vgpr9
.LBB15_1654:
	s_and_b64 vcc, exec, s[2:3]
	s_cbranch_vccz .LBB15_1656
; %bb.1655:
	global_load_ubyte v9, v[7:8], off
	s_mov_b32 s2, 0x7f800000
	s_waitcnt vmcnt(0)
	v_lshlrev_b32_e32 v9, 24, v9
	v_and_b32_e32 v10, 0x7f000000, v9
	v_ffbh_u32_e32 v11, v10
	v_min_u32_e32 v11, 32, v11
	v_sub_u32_e64 v11, v11, 4 clamp
	v_lshlrev_b32_e32 v13, v11, v10
	v_lshlrev_b32_e32 v11, 23, v11
	v_lshrrev_b32_e32 v13, 4, v13
	v_add_u32_e32 v12, 0x1000000, v10
	v_sub_u32_e32 v11, v13, v11
	v_ashrrev_i32_e32 v12, 8, v12
	v_add_u32_e32 v11, 0x3c000000, v11
	v_and_or_b32 v11, v12, s2, v11
	v_cmp_ne_u32_e32 vcc, 0, v10
	v_cndmask_b32_e32 v10, 0, v11, vcc
	s_brev_b32 s2, 1
	v_and_or_b32 v9, v9, s2, v10
.LBB15_1656:
	s_mov_b64 s[2:3], 0
.LBB15_1657:
	s_andn2_b64 vcc, exec, s[2:3]
	s_cbranch_vccnz .LBB15_1659
; %bb.1658:
	global_load_ubyte v9, v[7:8], off
	s_movk_i32 s2, 0x7f00
	s_brev_b32 s3, 16
	s_waitcnt vmcnt(0)
	v_lshlrev_b16_e32 v10, 8, v9
	v_lshlrev_b32_e32 v9, 25, v9
	v_lshrrev_b32_e32 v11, 4, v9
	v_and_or_b32 v12, v10, s2, 0.5
	v_or_b32_e32 v11, 0x70000000, v11
	v_add_f32_e32 v12, -0.5, v12
	v_mul_f32_e32 v11, 0x7800000, v11
	v_cmp_gt_u32_e32 vcc, s3, v9
	v_bfe_i32 v10, v10, 0, 16
	v_cndmask_b32_e32 v9, v11, v12, vcc
	s_brev_b32 s2, 1
	v_and_or_b32 v9, v10, s2, v9
.LBB15_1659:
	s_mov_b64 s[2:3], 0
	s_mov_b64 s[4:5], -1
.LBB15_1660:
	s_andn2_b64 vcc, exec, s[2:3]
	s_mov_b64 s[2:3], 0
	s_cbranch_vccnz .LBB15_1671
; %bb.1661:
	s_cmp_gt_i32 s16, 14
	s_cbranch_scc0 .LBB15_1664
; %bb.1662:
	s_cmp_eq_u32 s16, 15
	s_cbranch_scc0 .LBB15_1667
; %bb.1663:
	global_load_ushort v9, v[7:8], off
	s_mov_b64 s[0:1], 0
	s_mov_b64 s[4:5], -1
	s_waitcnt vmcnt(0)
	v_lshlrev_b32_e32 v9, 16, v9
	s_branch .LBB15_1668
.LBB15_1664:
	s_mov_b64 s[10:11], -1
                                        ; implicit-def: $vgpr9
	s_branch .LBB15_1669
.LBB15_1665:
	s_or_saveexec_b64 s[4:5], s[4:5]
	v_mov_b32_e32 v9, 0x7f800001
	s_xor_b64 exec, exec, s[4:5]
	s_cbranch_execz .LBB15_1646
.LBB15_1666:
	v_cmp_ne_u16_e32 vcc, 0, v10
	s_andn2_b64 s[2:3], s[2:3], exec
	s_and_b64 s[10:11], vcc, exec
	v_mov_b32_e32 v9, 0
	s_or_b64 s[2:3], s[2:3], s[10:11]
	s_or_b64 exec, exec, s[4:5]
	s_and_saveexec_b64 s[4:5], s[2:3]
	s_cbranch_execnz .LBB15_1647
	s_branch .LBB15_1648
.LBB15_1667:
	s_mov_b64 s[0:1], -1
                                        ; implicit-def: $vgpr9
.LBB15_1668:
	s_mov_b64 s[10:11], 0
.LBB15_1669:
	s_and_b64 vcc, exec, s[10:11]
	s_cbranch_vccz .LBB15_1671
; %bb.1670:
	s_cmp_lg_u32 s16, 11
	s_mov_b64 s[2:3], -1
	s_cselect_b64 s[0:1], -1, 0
.LBB15_1671:
	s_and_b64 vcc, exec, s[0:1]
	s_cbranch_vccnz .LBB15_2216
; %bb.1672:
	s_andn2_b64 vcc, exec, s[2:3]
	s_cbranch_vccnz .LBB15_1674
.LBB15_1673:
	global_load_ubyte v9, v[7:8], off
	s_mov_b64 s[4:5], -1
	s_waitcnt vmcnt(0)
	v_cmp_ne_u16_e32 vcc, 0, v9
	v_cndmask_b32_e64 v9, 0, 1.0, vcc
.LBB15_1674:
	s_mov_b64 s[0:1], 0
.LBB15_1675:
	s_and_b64 vcc, exec, s[0:1]
	s_cbranch_vccz .LBB15_1724
; %bb.1676:
	s_and_b32 s2, 0xffff, s21
	s_cmp_lt_i32 s2, 5
	s_cbranch_scc1 .LBB15_1681
; %bb.1677:
	s_cmp_lt_i32 s2, 8
	s_cbranch_scc1 .LBB15_1682
; %bb.1678:
	;; [unrolled: 3-line block ×3, first 2 shown]
	s_cmp_gt_i32 s2, 9
	s_cbranch_scc0 .LBB15_1684
; %bb.1680:
	global_load_dwordx2 v[9:10], v[7:8], off
	s_mov_b64 s[0:1], 0
	s_waitcnt vmcnt(0)
	v_cvt_f32_f64_e32 v9, v[9:10]
	s_branch .LBB15_1685
.LBB15_1681:
	s_mov_b64 s[0:1], -1
                                        ; implicit-def: $vgpr9
	s_branch .LBB15_1703
.LBB15_1682:
	s_mov_b64 s[0:1], -1
                                        ; implicit-def: $vgpr9
	s_branch .LBB15_1691
.LBB15_1683:
	s_mov_b64 s[0:1], -1
                                        ; implicit-def: $vgpr9
	s_branch .LBB15_1688
.LBB15_1684:
	s_mov_b64 s[0:1], -1
                                        ; implicit-def: $vgpr9
.LBB15_1685:
	s_andn2_b64 vcc, exec, s[0:1]
	s_cbranch_vccnz .LBB15_1687
; %bb.1686:
	global_load_dword v9, v[7:8], off
.LBB15_1687:
	s_mov_b64 s[0:1], 0
.LBB15_1688:
	s_andn2_b64 vcc, exec, s[0:1]
	s_cbranch_vccnz .LBB15_1690
; %bb.1689:
	global_load_dword v9, v[7:8], off
	s_waitcnt vmcnt(0)
	v_cvt_f32_f16_e32 v9, v9
.LBB15_1690:
	s_mov_b64 s[0:1], 0
.LBB15_1691:
	s_andn2_b64 vcc, exec, s[0:1]
	s_cbranch_vccnz .LBB15_1702
; %bb.1692:
	s_cmp_lt_i32 s2, 6
	s_cbranch_scc1 .LBB15_1695
; %bb.1693:
	s_cmp_gt_i32 s2, 6
	s_cbranch_scc0 .LBB15_1696
; %bb.1694:
	global_load_dwordx2 v[9:10], v[7:8], off
	s_mov_b64 s[0:1], 0
	s_waitcnt vmcnt(0)
	v_cvt_f32_f64_e32 v9, v[9:10]
	s_branch .LBB15_1697
.LBB15_1695:
	s_mov_b64 s[0:1], -1
                                        ; implicit-def: $vgpr9
	s_branch .LBB15_1700
.LBB15_1696:
	s_mov_b64 s[0:1], -1
                                        ; implicit-def: $vgpr9
.LBB15_1697:
	s_andn2_b64 vcc, exec, s[0:1]
	s_cbranch_vccnz .LBB15_1699
; %bb.1698:
	global_load_dword v9, v[7:8], off
.LBB15_1699:
	s_mov_b64 s[0:1], 0
.LBB15_1700:
	s_andn2_b64 vcc, exec, s[0:1]
	s_cbranch_vccnz .LBB15_1702
; %bb.1701:
	global_load_ushort v9, v[7:8], off
	s_waitcnt vmcnt(0)
	v_cvt_f32_f16_e32 v9, v9
.LBB15_1702:
	s_mov_b64 s[0:1], 0
.LBB15_1703:
	s_andn2_b64 vcc, exec, s[0:1]
	s_cbranch_vccnz .LBB15_1723
; %bb.1704:
	s_cmp_lt_i32 s2, 2
	s_cbranch_scc1 .LBB15_1708
; %bb.1705:
	s_cmp_lt_i32 s2, 3
	s_cbranch_scc1 .LBB15_1709
; %bb.1706:
	s_cmp_gt_i32 s2, 3
	s_cbranch_scc0 .LBB15_1710
; %bb.1707:
	global_load_dwordx2 v[9:10], v[7:8], off
	s_mov_b64 s[0:1], 0
	s_waitcnt vmcnt(0)
	v_xor_b32_e32 v12, v9, v10
	v_ffbh_i32_e32 v11, v10
	v_ashrrev_i32_e32 v12, 31, v12
	v_add_u32_e32 v11, -1, v11
	v_add_u32_e32 v12, 32, v12
	v_min_u32_e32 v11, v11, v12
	v_lshlrev_b64 v[9:10], v11, v[9:10]
	v_min_u32_e32 v9, 1, v9
	v_or_b32_e32 v9, v10, v9
	v_cvt_f32_i32_e32 v9, v9
	v_sub_u32_e32 v10, 32, v11
	v_ldexp_f32 v9, v9, v10
	s_branch .LBB15_1711
.LBB15_1708:
	s_mov_b64 s[0:1], -1
                                        ; implicit-def: $vgpr9
	s_branch .LBB15_1717
.LBB15_1709:
	s_mov_b64 s[0:1], -1
                                        ; implicit-def: $vgpr9
	s_branch .LBB15_1714
.LBB15_1710:
	s_mov_b64 s[0:1], -1
                                        ; implicit-def: $vgpr9
.LBB15_1711:
	s_andn2_b64 vcc, exec, s[0:1]
	s_cbranch_vccnz .LBB15_1713
; %bb.1712:
	global_load_dword v9, v[7:8], off
	s_waitcnt vmcnt(0)
	v_cvt_f32_i32_e32 v9, v9
.LBB15_1713:
	s_mov_b64 s[0:1], 0
.LBB15_1714:
	s_andn2_b64 vcc, exec, s[0:1]
	s_cbranch_vccnz .LBB15_1716
; %bb.1715:
	global_load_sshort v9, v[7:8], off
	s_waitcnt vmcnt(0)
	v_cvt_f32_i32_e32 v9, v9
.LBB15_1716:
	s_mov_b64 s[0:1], 0
.LBB15_1717:
	s_andn2_b64 vcc, exec, s[0:1]
	s_cbranch_vccnz .LBB15_1723
; %bb.1718:
	s_cmp_gt_i32 s2, 0
	s_cbranch_scc0 .LBB15_1720
; %bb.1719:
	global_load_sbyte v9, v[7:8], off
	s_mov_b64 s[0:1], 0
	s_waitcnt vmcnt(0)
	v_cvt_f32_i32_e32 v9, v9
	s_branch .LBB15_1721
.LBB15_1720:
	s_mov_b64 s[0:1], -1
                                        ; implicit-def: $vgpr9
.LBB15_1721:
	s_andn2_b64 vcc, exec, s[0:1]
	s_cbranch_vccnz .LBB15_1723
; %bb.1722:
	global_load_ubyte v7, v[7:8], off
	s_waitcnt vmcnt(0)
	v_cvt_f32_ubyte0_e32 v9, v7
.LBB15_1723:
	s_mov_b64 s[4:5], -1
.LBB15_1724:
	s_andn2_b64 vcc, exec, s[4:5]
	s_cbranch_vccnz .LBB15_1813
; %bb.1725:
	s_mov_b32 s0, 0x7f800000
	s_waitcnt vmcnt(0)
	v_cmp_neq_f32_e64 s[0:1], |v9|, s0
	v_mov_b32_e32 v7, 0
	s_and_saveexec_b64 s[10:11], s[0:1]
	s_cbranch_execz .LBB15_1735
; %bb.1726:
	v_cmp_nlt_f32_e64 s[0:1], |v9|, 0.5
                                        ; implicit-def: $vgpr7
	s_and_saveexec_b64 s[2:3], s[0:1]
	s_xor_b64 s[14:15], exec, s[2:3]
	s_cbranch_execz .LBB15_1732
; %bb.1727:
	s_brev_b32 s0, 18
	v_and_b32_e32 v7, 0x7fffffff, v9
	v_cmp_nlt_f32_e64 s[0:1], |v9|, s0
                                        ; implicit-def: $vgpr8
                                        ; implicit-def: $vgpr10
	s_and_saveexec_b64 s[2:3], s[0:1]
	s_xor_b64 s[16:17], exec, s[2:3]
	s_cbranch_execz .LBB15_1729
; %bb.1728:
	v_and_b32_e32 v8, 0x7fffff, v7
	v_or_b32_e32 v8, 0x800000, v8
	s_mov_b32 s0, 0xfe5163ab
	v_mad_u64_u32 v[10:11], s[0:1], v8, s0, 0
	v_mov_b32_e32 v12, 0
	s_mov_b32 s0, 0x3c439041
	v_mad_u64_u32 v[13:14], s[0:1], v8, s0, v[11:12]
	s_mov_b32 s0, 0xdb629599
	v_not_b32_e32 v18, 63
	v_mov_b32_e32 v11, v14
	v_mad_u64_u32 v[14:15], s[0:1], v8, s0, v[11:12]
	s_mov_b32 s0, 0xf534ddc0
	v_not_b32_e32 v20, 31
	v_mov_b32_e32 v11, v15
	v_mad_u64_u32 v[15:16], s[0:1], v8, s0, v[11:12]
	v_lshrrev_b32_e32 v11, 23, v7
	v_add_u32_e32 v19, 0xffffff88, v11
	v_mov_b32_e32 v11, v16
	s_mov_b32 s0, 0xfc2757d1
	v_mad_u64_u32 v[16:17], s[0:1], v8, s0, v[11:12]
	v_cmp_lt_u32_e32 vcc, 63, v19
	v_cndmask_b32_e32 v11, 0, v18, vcc
	v_add_u32_e32 v19, v11, v19
	v_mov_b32_e32 v11, v17
	s_mov_b32 s0, 0x4e441529
	v_mad_u64_u32 v[17:18], s[0:1], v8, s0, v[11:12]
	v_cmp_lt_u32_e64 s[0:1], 31, v19
	v_cndmask_b32_e64 v11, 0, v20, s[0:1]
	v_add_u32_e32 v19, v11, v19
	v_mov_b32_e32 v11, v18
	s_mov_b32 s2, 0xa2f9836e
	v_mad_u64_u32 v[11:12], s[2:3], v8, s2, v[11:12]
	v_cmp_lt_u32_e64 s[2:3], 31, v19
	v_cndmask_b32_e64 v8, 0, v20, s[2:3]
	v_cndmask_b32_e32 v18, v17, v15, vcc
	v_cndmask_b32_e32 v11, v11, v16, vcc
	;; [unrolled: 1-line block ×3, first 2 shown]
	v_add_u32_e32 v8, v8, v19
	v_cndmask_b32_e64 v19, v11, v18, s[0:1]
	v_cndmask_b32_e64 v11, v12, v11, s[0:1]
	v_cndmask_b32_e32 v12, v16, v14, vcc
	v_cndmask_b32_e64 v16, v18, v12, s[0:1]
	v_cndmask_b32_e64 v11, v11, v19, s[2:3]
	;; [unrolled: 1-line block ×3, first 2 shown]
	v_sub_u32_e32 v18, 32, v8
	v_alignbit_b32 v19, v11, v17, v18
	v_cmp_eq_u32_e64 s[4:5], 0, v8
	v_cndmask_b32_e64 v8, v19, v11, s[4:5]
	v_cndmask_b32_e32 v11, v15, v13, vcc
	v_cndmask_b32_e64 v12, v12, v11, s[0:1]
	v_cndmask_b32_e64 v13, v16, v12, s[2:3]
	v_alignbit_b32 v15, v17, v13, v18
	v_cndmask_b32_e32 v10, v14, v10, vcc
	v_cndmask_b32_e64 v15, v15, v17, s[4:5]
	v_bfe_u32 v19, v8, 29, 1
	v_cndmask_b32_e64 v10, v11, v10, s[0:1]
	v_alignbit_b32 v16, v8, v15, 30
	v_sub_u32_e32 v20, 0, v19
	v_cndmask_b32_e64 v10, v12, v10, s[2:3]
	v_xor_b32_e32 v16, v16, v20
	v_alignbit_b32 v11, v13, v10, v18
	v_cndmask_b32_e64 v11, v11, v13, s[4:5]
	v_ffbh_u32_e32 v13, v16
	v_alignbit_b32 v12, v15, v11, 30
	v_min_u32_e32 v13, 32, v13
	v_alignbit_b32 v10, v11, v10, 30
	v_xor_b32_e32 v12, v12, v20
	v_sub_u32_e32 v14, 31, v13
	v_xor_b32_e32 v10, v10, v20
	v_alignbit_b32 v15, v16, v12, v14
	v_alignbit_b32 v10, v12, v10, v14
	;; [unrolled: 1-line block ×3, first 2 shown]
	v_ffbh_u32_e32 v12, v11
	v_min_u32_e32 v12, 32, v12
	v_lshrrev_b32_e32 v17, 29, v8
	v_not_b32_e32 v14, v12
	v_alignbit_b32 v10, v11, v10, v14
	v_lshlrev_b32_e32 v11, 31, v17
	v_or_b32_e32 v14, 0x33000000, v11
	v_add_lshl_u32 v12, v12, v13, 23
	v_lshrrev_b32_e32 v10, 9, v10
	v_sub_u32_e32 v12, v14, v12
	v_or_b32_e32 v11, 0.5, v11
	v_lshlrev_b32_e32 v13, 23, v13
	v_or_b32_e32 v10, v12, v10
	v_lshrrev_b32_e32 v12, 9, v15
	v_sub_u32_e32 v11, v11, v13
	v_or_b32_e32 v11, v12, v11
	s_mov_b32 s0, 0x3fc90fda
	v_mul_f32_e32 v12, 0x3fc90fda, v11
	v_fma_f32 v13, v11, s0, -v12
	v_fmac_f32_e32 v13, 0x33a22168, v11
	v_fmac_f32_e32 v13, 0x3fc90fda, v10
	v_lshrrev_b32_e32 v8, 30, v8
	v_add_f32_e32 v10, v12, v13
	v_add_u32_e32 v8, v19, v8
.LBB15_1729:
	s_andn2_saveexec_b64 s[0:1], s[16:17]
	s_cbranch_execz .LBB15_1731
; %bb.1730:
	s_mov_b32 s2, 0x3f22f983
	v_mul_f32_e64 v8, |v9|, s2
	v_rndne_f32_e32 v11, v8
	s_mov_b32 s2, 0xbfc90fda
	v_cvt_i32_f32_e32 v8, v11
	v_fma_f32 v10, v11, s2, |v9|
	v_fmac_f32_e32 v10, 0xb3a22168, v11
	v_fmac_f32_e32 v10, 0xa7c234c4, v11
.LBB15_1731:
	s_or_b64 exec, exec, s[0:1]
	v_mul_f32_e32 v11, v10, v10
	v_mov_b32_e32 v12, 0x3c0881c4
	v_fmac_f32_e32 v12, 0xb94c1982, v11
	v_mov_b32_e32 v13, 0xbe2aaa9d
	v_fmac_f32_e32 v13, v11, v12
	v_mul_f32_e32 v12, v11, v13
	v_fmac_f32_e32 v10, v10, v12
	v_mov_b32_e32 v12, 0xbab64f3b
	v_fmac_f32_e32 v12, 0x37d75334, v11
	v_mov_b32_e32 v13, 0x3d2aabf7
	;; [unrolled: 2-line block ×3, first 2 shown]
	v_fmac_f32_e32 v12, v11, v13
	v_fma_f32 v11, v11, v12, 1.0
	v_and_b32_e32 v12, 1, v8
	v_lshlrev_b32_e32 v8, 30, v8
	v_cmp_eq_u32_e32 vcc, 0, v12
	v_and_b32_e32 v8, 0x80000000, v8
	v_xor_b32_e32 v7, v7, v9
	v_cndmask_b32_e32 v10, v11, v10, vcc
	v_xor_b32_e32 v7, v7, v8
	s_movk_i32 s0, 0x1f8
	v_xor_b32_e32 v7, v7, v10
	v_mov_b32_e32 v8, 0x7fc00000
	v_cmp_class_f32_e64 vcc, v9, s0
	v_cndmask_b32_e32 v7, v8, v7, vcc
	v_div_scale_f32 v8, s[0:1], v9, v9, v7
	v_div_scale_f32 v10, vcc, v7, v9, v7
	v_rcp_f32_e32 v11, v8
	v_fma_f32 v12, -v8, v11, 1.0
	v_fmac_f32_e32 v11, v12, v11
	v_mul_f32_e32 v12, v10, v11
	v_fma_f32 v13, -v8, v12, v10
	v_fmac_f32_e32 v12, v13, v11
	v_fma_f32 v8, -v8, v12, v10
	v_div_fmas_f32 v8, v8, v11, v12
	v_div_fixup_f32 v7, v8, v9, v7
                                        ; implicit-def: $vgpr9
.LBB15_1732:
	s_andn2_saveexec_b64 s[0:1], s[14:15]
	s_cbranch_execz .LBB15_1734
; %bb.1733:
	v_mul_f32_e32 v7, v9, v9
	v_mov_b32_e32 v8, 0xb2d7322b
	v_fmac_f32_e32 v8, 0x2f309231, v7
	v_mov_b32_e32 v9, 0x3638ef1d
	v_fmac_f32_e32 v9, v7, v8
	;; [unrolled: 2-line block ×5, first 2 shown]
	v_fma_f32 v7, v7, v8, 1.0
.LBB15_1734:
	s_or_b64 exec, exec, s[0:1]
.LBB15_1735:
	s_or_b64 exec, exec, s[10:11]
	s_bfe_u32 s16, s20, 0x80008
	v_mov_b32_e32 v9, s9
	v_add_co_u32_e32 v8, vcc, s8, v6
	s_cmp_lt_i32 s16, 11
	v_addc_co_u32_e32 v9, vcc, 0, v9, vcc
	s_cbranch_scc1 .LBB15_1859
; %bb.1736:
	s_and_b32 s17, 0xffff, s16
	s_mov_b64 s[10:11], -1
	s_mov_b64 s[2:3], 0
	s_cmp_gt_i32 s17, 25
	s_mov_b64 s[4:5], 0
	s_mov_b64 s[0:1], 0
	s_cbranch_scc0 .LBB15_1769
; %bb.1737:
	s_cmp_gt_i32 s17, 28
	s_cbranch_scc0 .LBB15_1752
; %bb.1738:
	s_cmp_gt_i32 s17, 43
	;; [unrolled: 3-line block ×3, first 2 shown]
	s_cbranch_scc0 .LBB15_1742
; %bb.1740:
	s_mov_b64 s[0:1], -1
	s_mov_b64 s[10:11], 0
	s_cmp_eq_u32 s17, 46
	s_cbranch_scc0 .LBB15_1742
; %bb.1741:
	v_bfe_u32 v6, v5, 16, 1
	s_movk_i32 s0, 0x7fff
	v_add3_u32 v6, v5, v6, s0
	v_cmp_o_f32_e32 vcc, v5, v5
	v_mov_b32_e32 v10, 0x7fc0
	v_cndmask_b32_sdwa v6, v10, v6, vcc dst_sel:DWORD dst_unused:UNUSED_PAD src0_sel:DWORD src1_sel:WORD_1
	global_store_dword v[8:9], v6, off
	s_mov_b64 s[0:1], 0
	s_mov_b64 s[4:5], -1
.LBB15_1742:
	s_and_b64 vcc, exec, s[10:11]
	s_cbranch_vccz .LBB15_1747
; %bb.1743:
	s_cmp_eq_u32 s17, 44
	s_mov_b64 s[0:1], -1
	s_cbranch_scc0 .LBB15_1747
; %bb.1744:
	v_bfe_u32 v6, v5, 23, 8
	s_movk_i32 s0, 0xff
	v_cmp_ne_u32_e32 vcc, s0, v6
	v_mov_b32_e32 v10, 0xff
	s_and_saveexec_b64 s[4:5], vcc
; %bb.1745:
	s_mov_b32 s0, 0x3fffff
	v_and_b32_e32 v11, 0x400000, v5
	v_and_or_b32 v6, v5, s0, v6
	v_cmp_ne_u32_e32 vcc, 0, v11
	v_cmp_ne_u32_e64 s[0:1], 0, v6
	s_and_b64 s[0:1], vcc, s[0:1]
	v_lshrrev_b32_e32 v10, 23, v5
	v_cndmask_b32_e64 v6, 0, 1, s[0:1]
	v_add_u32_e32 v10, v10, v6
; %bb.1746:
	s_or_b64 exec, exec, s[4:5]
	s_mov_b64 s[0:1], 0
	s_mov_b64 s[4:5], -1
	global_store_byte v[8:9], v10, off
.LBB15_1747:
	s_mov_b64 s[10:11], 0
.LBB15_1748:
	s_and_b64 vcc, exec, s[10:11]
	s_cbranch_vccz .LBB15_1751
; %bb.1749:
	s_cmp_eq_u32 s17, 29
	s_mov_b64 s[0:1], -1
	s_cbranch_scc0 .LBB15_1751
; %bb.1750:
	v_trunc_f32_e32 v6, v5
	v_mul_f32_e32 v10, 0x2f800000, v6
	v_floor_f32_e32 v10, v10
	v_fmac_f32_e32 v6, 0xcf800000, v10
	v_cvt_u32_f32_e32 v11, v10
	v_cvt_u32_f32_e32 v10, v6
	s_mov_b64 s[0:1], 0
	s_mov_b64 s[4:5], -1
	global_store_dwordx2 v[8:9], v[10:11], off
.LBB15_1751:
	s_mov_b64 s[10:11], 0
.LBB15_1752:
	s_and_b64 vcc, exec, s[10:11]
	s_cbranch_vccz .LBB15_1768
; %bb.1753:
	s_cmp_lt_i32 s17, 27
	s_mov_b64 s[4:5], -1
	s_cbranch_scc1 .LBB15_1759
; %bb.1754:
	v_cvt_u32_f32_e32 v6, v5
	s_cmp_gt_i32 s17, 27
	s_cbranch_scc0 .LBB15_1756
; %bb.1755:
	s_mov_b64 s[4:5], 0
	global_store_dword v[8:9], v6, off
.LBB15_1756:
	s_andn2_b64 vcc, exec, s[4:5]
	s_cbranch_vccnz .LBB15_1758
; %bb.1757:
	global_store_short v[8:9], v6, off
.LBB15_1758:
	s_mov_b64 s[4:5], 0
.LBB15_1759:
	s_andn2_b64 vcc, exec, s[4:5]
	s_cbranch_vccnz .LBB15_1767
; %bb.1760:
	v_and_b32_e32 v6, 0x7fffffff, v5
	s_mov_b32 s4, 0x43800000
	v_cmp_gt_u32_e32 vcc, s4, v6
	v_mov_b32_e32 v10, 0x80
	s_and_saveexec_b64 s[4:5], vcc
	s_cbranch_execz .LBB15_1766
; %bb.1761:
	s_mov_b32 s10, 0x3bffffff
	v_cmp_lt_u32_e32 vcc, s10, v6
	s_mov_b64 s[10:11], 0
                                        ; implicit-def: $vgpr6
	s_and_saveexec_b64 s[14:15], vcc
	s_xor_b64 s[14:15], exec, s[14:15]
	s_cbranch_execz .LBB15_2217
; %bb.1762:
	v_bfe_u32 v6, v5, 20, 1
	s_mov_b32 s18, 0x487ffff
	v_add3_u32 v6, v5, v6, s18
	s_mov_b64 s[10:11], exec
	v_lshrrev_b32_e32 v6, 20, v6
	s_andn2_saveexec_b64 s[14:15], s[14:15]
	s_cbranch_execnz .LBB15_2218
.LBB15_1763:
	s_or_b64 exec, exec, s[14:15]
	v_mov_b32_e32 v10, 0
	s_and_saveexec_b64 s[14:15], s[10:11]
.LBB15_1764:
	v_lshrrev_b32_e32 v10, 24, v5
	s_movk_i32 s10, 0x80
	v_and_or_b32 v10, v10, s10, v6
.LBB15_1765:
	s_or_b64 exec, exec, s[14:15]
.LBB15_1766:
	s_or_b64 exec, exec, s[4:5]
	global_store_byte v[8:9], v10, off
.LBB15_1767:
	s_mov_b64 s[4:5], -1
.LBB15_1768:
	s_mov_b64 s[10:11], 0
.LBB15_1769:
	s_and_b64 vcc, exec, s[10:11]
	s_cbranch_vccz .LBB15_1809
; %bb.1770:
	s_cmp_gt_i32 s17, 22
	s_mov_b64 s[2:3], -1
	s_cbranch_scc0 .LBB15_1802
; %bb.1771:
	s_cmp_lt_i32 s17, 24
	s_cbranch_scc1 .LBB15_1791
; %bb.1772:
	s_cmp_gt_i32 s17, 24
	s_cbranch_scc0 .LBB15_1780
; %bb.1773:
	v_and_b32_e32 v6, 0x7fffffff, v5
	s_mov_b32 s2, 0x47800000
	v_cmp_gt_u32_e32 vcc, s2, v6
	v_mov_b32_e32 v10, 0x80
	s_and_saveexec_b64 s[2:3], vcc
	s_cbranch_execz .LBB15_1779
; %bb.1774:
	s_mov_b32 s4, 0x37ffffff
	v_cmp_lt_u32_e32 vcc, s4, v6
	s_mov_b64 s[4:5], 0
                                        ; implicit-def: $vgpr6
	s_and_saveexec_b64 s[10:11], vcc
	s_xor_b64 s[10:11], exec, s[10:11]
	s_cbranch_execz .LBB15_2220
; %bb.1775:
	v_bfe_u32 v6, v5, 21, 1
	s_mov_b32 s14, 0x88fffff
	v_add3_u32 v6, v5, v6, s14
	s_mov_b64 s[4:5], exec
	v_lshrrev_b32_e32 v6, 21, v6
	s_andn2_saveexec_b64 s[10:11], s[10:11]
	s_cbranch_execnz .LBB15_2221
.LBB15_1776:
	s_or_b64 exec, exec, s[10:11]
	v_mov_b32_e32 v10, 0
	s_and_saveexec_b64 s[10:11], s[4:5]
.LBB15_1777:
	v_lshrrev_b32_e32 v10, 24, v5
	s_movk_i32 s4, 0x80
	v_and_or_b32 v10, v10, s4, v6
.LBB15_1778:
	s_or_b64 exec, exec, s[10:11]
.LBB15_1779:
	s_or_b64 exec, exec, s[2:3]
	s_mov_b64 s[2:3], 0
	global_store_byte v[8:9], v10, off
.LBB15_1780:
	s_and_b64 vcc, exec, s[2:3]
	s_cbranch_vccz .LBB15_1790
; %bb.1781:
	v_and_b32_e32 v10, 0x7fffffff, v5
	s_mov_b32 s2, 0x43f00000
	v_cmp_gt_u32_e32 vcc, s2, v10
                                        ; implicit-def: $vgpr6
	s_and_saveexec_b64 s[2:3], vcc
	s_xor_b64 s[2:3], exec, s[2:3]
	s_cbranch_execz .LBB15_1787
; %bb.1782:
	s_mov_b32 s4, 0x3c7fffff
	v_cmp_lt_u32_e32 vcc, s4, v10
                                        ; implicit-def: $vgpr6
	s_and_saveexec_b64 s[4:5], vcc
	s_xor_b64 s[4:5], exec, s[4:5]
; %bb.1783:
	v_bfe_u32 v6, v5, 20, 1
	s_mov_b32 s10, 0x407ffff
	v_add3_u32 v6, v5, v6, s10
	v_lshrrev_b32_e32 v10, 20, v6
	v_and_b32_e32 v6, 0xff00000, v6
	s_mov_b32 s10, 0x7f00000
	v_mov_b32_e32 v11, 0x7e
	v_cmp_ne_u32_e32 vcc, s10, v6
	v_cndmask_b32_e32 v6, v11, v10, vcc
; %bb.1784:
	s_andn2_saveexec_b64 s[4:5], s[4:5]
; %bb.1785:
	s_mov_b32 s10, 0x46800000
	v_add_f32_e64 v6, |v5|, s10
; %bb.1786:
	s_or_b64 exec, exec, s[4:5]
                                        ; implicit-def: $vgpr10
.LBB15_1787:
	s_andn2_saveexec_b64 s[2:3], s[2:3]
; %bb.1788:
	s_mov_b32 s4, 0x7f800000
	v_mov_b32_e32 v6, 0x7e
	v_mov_b32_e32 v11, 0x7f
	v_cmp_lt_u32_e32 vcc, s4, v10
	v_cndmask_b32_e32 v6, v6, v11, vcc
; %bb.1789:
	s_or_b64 exec, exec, s[2:3]
	v_lshrrev_b32_e32 v10, 24, v5
	s_movk_i32 s2, 0x80
	v_and_or_b32 v6, v10, s2, v6
	global_store_byte v[8:9], v6, off
.LBB15_1790:
	s_mov_b64 s[2:3], 0
.LBB15_1791:
	s_andn2_b64 vcc, exec, s[2:3]
	s_cbranch_vccnz .LBB15_1801
; %bb.1792:
	v_and_b32_e32 v10, 0x7fffffff, v5
	s_mov_b32 s2, 0x47800000
	v_cmp_gt_u32_e32 vcc, s2, v10
                                        ; implicit-def: $vgpr6
	s_and_saveexec_b64 s[2:3], vcc
	s_xor_b64 s[2:3], exec, s[2:3]
	s_cbranch_execz .LBB15_1798
; %bb.1793:
	s_mov_b32 s4, 0x387fffff
	v_cmp_lt_u32_e32 vcc, s4, v10
                                        ; implicit-def: $vgpr6
	s_and_saveexec_b64 s[4:5], vcc
	s_xor_b64 s[4:5], exec, s[4:5]
; %bb.1794:
	v_bfe_u32 v6, v5, 21, 1
	s_mov_b32 s10, 0x80fffff
	v_add3_u32 v6, v5, v6, s10
	v_lshrrev_b32_e32 v6, 21, v6
; %bb.1795:
	s_andn2_saveexec_b64 s[4:5], s[4:5]
; %bb.1796:
	s_mov_b32 s10, 0x43000000
	v_add_f32_e64 v6, |v5|, s10
; %bb.1797:
	s_or_b64 exec, exec, s[4:5]
                                        ; implicit-def: $vgpr10
.LBB15_1798:
	s_andn2_saveexec_b64 s[2:3], s[2:3]
; %bb.1799:
	s_mov_b32 s4, 0x7f800000
	v_mov_b32_e32 v6, 0x7c
	v_mov_b32_e32 v11, 0x7f
	v_cmp_lt_u32_e32 vcc, s4, v10
	v_cndmask_b32_e32 v6, v6, v11, vcc
; %bb.1800:
	s_or_b64 exec, exec, s[2:3]
	v_lshrrev_b32_e32 v10, 24, v5
	s_movk_i32 s2, 0x80
	v_and_or_b32 v6, v10, s2, v6
	global_store_byte v[8:9], v6, off
.LBB15_1801:
	s_mov_b64 s[2:3], 0
	s_mov_b64 s[4:5], -1
.LBB15_1802:
	s_andn2_b64 vcc, exec, s[2:3]
	s_mov_b64 s[2:3], 0
	s_cbranch_vccnz .LBB15_1809
; %bb.1803:
	s_cmp_gt_i32 s17, 14
	s_mov_b64 s[10:11], -1
	s_cbranch_scc0 .LBB15_1807
; %bb.1804:
	s_cmp_eq_u32 s17, 15
	s_mov_b64 s[0:1], -1
	s_cbranch_scc0 .LBB15_1806
; %bb.1805:
	v_bfe_u32 v6, v5, 16, 1
	s_movk_i32 s0, 0x7fff
	v_add3_u32 v6, v5, v6, s0
	v_cmp_o_f32_e32 vcc, v5, v5
	v_mov_b32_e32 v10, 0x7fc0
	v_cndmask_b32_sdwa v6, v10, v6, vcc dst_sel:DWORD dst_unused:UNUSED_PAD src0_sel:DWORD src1_sel:WORD_1
	global_store_short v[8:9], v6, off
	s_mov_b64 s[0:1], 0
	s_mov_b64 s[4:5], -1
.LBB15_1806:
	s_mov_b64 s[10:11], 0
.LBB15_1807:
	s_and_b64 vcc, exec, s[10:11]
	s_cbranch_vccz .LBB15_1809
; %bb.1808:
	s_cmp_lg_u32 s17, 11
	s_mov_b64 s[2:3], -1
	s_cselect_b64 s[0:1], -1, 0
.LBB15_1809:
	s_and_b64 vcc, exec, s[0:1]
	s_cbranch_vccnz .LBB15_2219
; %bb.1810:
	s_andn2_b64 vcc, exec, s[2:3]
	s_cbranch_vccnz .LBB15_1812
.LBB15_1811:
	v_cmp_neq_f32_e32 vcc, 0, v5
	v_cndmask_b32_e64 v6, 0, 1, vcc
	s_mov_b64 s[4:5], -1
	global_store_byte v[8:9], v6, off
.LBB15_1812:
	s_mov_b64 s[0:1], 0
	s_branch .LBB15_1860
.LBB15_1813:
	s_mov_b64 s[0:1], 0
                                        ; implicit-def: $vgpr0_vgpr1
                                        ; implicit-def: $sgpr16
                                        ; implicit-def: $vgpr7
.LBB15_1814:
	s_mov_b64 s[2:3], 0
.LBB15_1815:
	s_and_b64 s[40:41], s[2:3], exec
	s_andn2_b64 s[2:3], s[6:7], exec
	s_and_b64 s[4:5], s[12:13], exec
	s_and_b64 s[0:1], s[0:1], exec
	s_or_b64 s[6:7], s[2:3], s[4:5]
.LBB15_1816:
	s_or_b64 exec, exec, s[28:29]
	s_and_saveexec_b64 s[2:3], s[6:7]
	s_cbranch_execz .LBB15_1819
; %bb.1817:
	; divergent unreachable
	s_or_b64 exec, exec, s[2:3]
	s_and_saveexec_b64 s[2:3], s[40:41]
	s_xor_b64 s[2:3], exec, s[2:3]
	s_cbranch_execnz .LBB15_1820
.LBB15_1818:
	s_or_b64 exec, exec, s[2:3]
	s_and_saveexec_b64 s[2:3], s[0:1]
	s_cbranch_execnz .LBB15_1821
	s_branch .LBB15_1858
.LBB15_1819:
	s_or_b64 exec, exec, s[2:3]
	s_and_saveexec_b64 s[2:3], s[40:41]
	s_xor_b64 s[2:3], exec, s[2:3]
	s_cbranch_execz .LBB15_1818
.LBB15_1820:
	v_cmp_neq_f32_e32 vcc, 0, v7
	v_cndmask_b32_e64 v2, 0, 1, vcc
	s_waitcnt vmcnt(0)
	global_store_byte v[0:1], v2, off
	s_or_b64 exec, exec, s[2:3]
	s_and_saveexec_b64 s[2:3], s[0:1]
	s_cbranch_execz .LBB15_1858
.LBB15_1821:
	s_sext_i32_i16 s2, s16
	s_cmp_lt_i32 s2, 5
	s_mov_b64 s[0:1], -1
	s_cbranch_scc1 .LBB15_1842
; %bb.1822:
	s_cmp_lt_i32 s2, 8
	s_cbranch_scc1 .LBB15_1832
; %bb.1823:
	s_cmp_lt_i32 s2, 9
	s_cbranch_scc1 .LBB15_1829
; %bb.1824:
	s_cmp_gt_i32 s2, 9
	s_cbranch_scc0 .LBB15_1826
; %bb.1825:
	s_waitcnt vmcnt(0)
	v_cvt_f64_f32_e32 v[2:3], v7
	v_mov_b32_e32 v4, 0
	v_mov_b32_e32 v5, v4
	s_mov_b64 s[0:1], 0
	global_store_dwordx4 v[0:1], v[2:5], off
.LBB15_1826:
	s_andn2_b64 vcc, exec, s[0:1]
	s_cbranch_vccnz .LBB15_1828
; %bb.1827:
	v_mov_b32_e32 v8, 0
	s_waitcnt vmcnt(0)
	global_store_dwordx2 v[0:1], v[7:8], off
.LBB15_1828:
	s_mov_b64 s[0:1], 0
.LBB15_1829:
	s_andn2_b64 vcc, exec, s[0:1]
	s_cbranch_vccnz .LBB15_1831
; %bb.1830:
	v_cvt_f16_f32_e32 v2, v7
	s_waitcnt vmcnt(0)
	global_store_dword v[0:1], v2, off
.LBB15_1831:
	s_mov_b64 s[0:1], 0
.LBB15_1832:
	s_andn2_b64 vcc, exec, s[0:1]
	s_cbranch_vccnz .LBB15_1841
; %bb.1833:
	s_sext_i32_i16 s2, s16
	s_cmp_lt_i32 s2, 6
	s_mov_b64 s[0:1], -1
	s_cbranch_scc1 .LBB15_1839
; %bb.1834:
	s_cmp_gt_i32 s2, 6
	s_cbranch_scc0 .LBB15_1836
; %bb.1835:
	s_waitcnt vmcnt(0)
	v_cvt_f64_f32_e32 v[2:3], v7
	s_mov_b64 s[0:1], 0
	global_store_dwordx2 v[0:1], v[2:3], off
.LBB15_1836:
	s_andn2_b64 vcc, exec, s[0:1]
	s_cbranch_vccnz .LBB15_1838
; %bb.1837:
	s_waitcnt vmcnt(0)
	global_store_dword v[0:1], v7, off
.LBB15_1838:
	s_mov_b64 s[0:1], 0
.LBB15_1839:
	s_andn2_b64 vcc, exec, s[0:1]
	s_cbranch_vccnz .LBB15_1841
; %bb.1840:
	v_cvt_f16_f32_e32 v2, v7
	s_waitcnt vmcnt(0)
	global_store_short v[0:1], v2, off
.LBB15_1841:
	s_mov_b64 s[0:1], 0
.LBB15_1842:
	s_andn2_b64 vcc, exec, s[0:1]
	s_cbranch_vccnz .LBB15_1858
; %bb.1843:
	s_sext_i32_i16 s2, s16
	s_cmp_lt_i32 s2, 2
	s_mov_b64 s[0:1], -1
	s_cbranch_scc1 .LBB15_1853
; %bb.1844:
	s_cmp_lt_i32 s2, 3
	s_cbranch_scc1 .LBB15_1850
; %bb.1845:
	s_cmp_gt_i32 s2, 3
	s_cbranch_scc0 .LBB15_1847
; %bb.1846:
	v_trunc_f32_e32 v2, v7
	s_mov_b32 s0, 0x2f800000
	s_waitcnt vmcnt(0)
	v_mul_f32_e64 v3, |v2|, s0
	v_floor_f32_e32 v3, v3
	s_mov_b32 s0, 0xcf800000
	v_cvt_u32_f32_e32 v4, v3
	v_fma_f32 v3, v3, s0, |v2|
	v_cvt_u32_f32_e32 v3, v3
	v_ashrrev_i32_e32 v5, 31, v2
	v_xor_b32_e32 v4, v4, v5
	s_mov_b64 s[0:1], 0
	v_xor_b32_e32 v2, v3, v5
	v_sub_co_u32_e32 v2, vcc, v2, v5
	v_subb_co_u32_e32 v3, vcc, v4, v5, vcc
	global_store_dwordx2 v[0:1], v[2:3], off
.LBB15_1847:
	s_andn2_b64 vcc, exec, s[0:1]
	s_cbranch_vccnz .LBB15_1849
; %bb.1848:
	v_cvt_i32_f32_e32 v2, v7
	s_waitcnt vmcnt(0)
	global_store_dword v[0:1], v2, off
.LBB15_1849:
	s_mov_b64 s[0:1], 0
.LBB15_1850:
	s_andn2_b64 vcc, exec, s[0:1]
	s_cbranch_vccnz .LBB15_1852
; %bb.1851:
	v_cvt_i32_f32_e32 v2, v7
	s_waitcnt vmcnt(0)
	global_store_short v[0:1], v2, off
.LBB15_1852:
	s_mov_b64 s[0:1], 0
.LBB15_1853:
	s_andn2_b64 vcc, exec, s[0:1]
	s_cbranch_vccnz .LBB15_1858
; %bb.1854:
	s_sext_i32_i16 s0, s16
	s_cmp_gt_i32 s0, 0
	s_mov_b64 s[0:1], -1
	s_cbranch_scc0 .LBB15_1856
; %bb.1855:
	v_cvt_i32_f32_e32 v2, v7
	s_mov_b64 s[0:1], 0
	s_waitcnt vmcnt(0)
	global_store_byte v[0:1], v2, off
.LBB15_1856:
	s_andn2_b64 vcc, exec, s[0:1]
	s_cbranch_vccnz .LBB15_1858
; %bb.1857:
	v_trunc_f32_e32 v2, v7
	s_mov_b32 s0, 0x2f800000
	s_waitcnt vmcnt(0)
	v_mul_f32_e64 v3, |v2|, s0
	v_floor_f32_e32 v3, v3
	s_mov_b32 s0, 0xcf800000
	v_fma_f32 v3, v3, s0, |v2|
	v_cvt_u32_f32_e32 v3, v3
	v_ashrrev_i32_e32 v2, 31, v2
	v_xor_b32_e32 v3, v3, v2
	v_sub_u32_e32 v2, v3, v2
	global_store_byte v[0:1], v2, off
	s_endpgm
.LBB15_1858:
	s_endpgm
.LBB15_1859:
	s_mov_b64 s[0:1], -1
	s_mov_b64 s[4:5], 0
.LBB15_1860:
	s_and_b64 vcc, exec, s[0:1]
	s_cbranch_vccz .LBB15_1899
; %bb.1861:
	s_and_b32 s2, 0xffff, s16
	s_cmp_lt_i32 s2, 5
	s_mov_b64 s[0:1], -1
	s_cbranch_scc1 .LBB15_1882
; %bb.1862:
	s_cmp_lt_i32 s2, 8
	s_cbranch_scc1 .LBB15_1872
; %bb.1863:
	s_cmp_lt_i32 s2, 9
	s_cbranch_scc1 .LBB15_1869
; %bb.1864:
	s_cmp_gt_i32 s2, 9
	s_cbranch_scc0 .LBB15_1866
; %bb.1865:
	v_cvt_f64_f32_e32 v[10:11], v5
	v_mov_b32_e32 v12, 0
	v_mov_b32_e32 v13, v12
	s_mov_b64 s[0:1], 0
	global_store_dwordx4 v[8:9], v[10:13], off
.LBB15_1866:
	s_andn2_b64 vcc, exec, s[0:1]
	s_cbranch_vccnz .LBB15_1868
; %bb.1867:
	v_mov_b32_e32 v6, 0
	global_store_dwordx2 v[8:9], v[5:6], off
.LBB15_1868:
	s_mov_b64 s[0:1], 0
.LBB15_1869:
	s_andn2_b64 vcc, exec, s[0:1]
	s_cbranch_vccnz .LBB15_1871
; %bb.1870:
	v_cvt_f16_f32_e32 v6, v5
	global_store_dword v[8:9], v6, off
.LBB15_1871:
	s_mov_b64 s[0:1], 0
.LBB15_1872:
	s_andn2_b64 vcc, exec, s[0:1]
	s_cbranch_vccnz .LBB15_1881
; %bb.1873:
	s_cmp_lt_i32 s2, 6
	s_mov_b64 s[0:1], -1
	s_cbranch_scc1 .LBB15_1879
; %bb.1874:
	s_cmp_gt_i32 s2, 6
	s_cbranch_scc0 .LBB15_1876
; %bb.1875:
	v_cvt_f64_f32_e32 v[10:11], v5
	s_mov_b64 s[0:1], 0
	global_store_dwordx2 v[8:9], v[10:11], off
.LBB15_1876:
	s_andn2_b64 vcc, exec, s[0:1]
	s_cbranch_vccnz .LBB15_1878
; %bb.1877:
	global_store_dword v[8:9], v5, off
.LBB15_1878:
	s_mov_b64 s[0:1], 0
.LBB15_1879:
	s_andn2_b64 vcc, exec, s[0:1]
	s_cbranch_vccnz .LBB15_1881
; %bb.1880:
	v_cvt_f16_f32_e32 v6, v5
	global_store_short v[8:9], v6, off
.LBB15_1881:
	s_mov_b64 s[0:1], 0
.LBB15_1882:
	s_andn2_b64 vcc, exec, s[0:1]
	s_cbranch_vccnz .LBB15_1898
; %bb.1883:
	s_cmp_lt_i32 s2, 2
	s_mov_b64 s[0:1], -1
	s_cbranch_scc1 .LBB15_1893
; %bb.1884:
	s_cmp_lt_i32 s2, 3
	s_cbranch_scc1 .LBB15_1890
; %bb.1885:
	s_cmp_gt_i32 s2, 3
	s_cbranch_scc0 .LBB15_1887
; %bb.1886:
	v_trunc_f32_e32 v6, v5
	s_mov_b32 s0, 0x2f800000
	v_mul_f32_e64 v10, |v6|, s0
	v_floor_f32_e32 v10, v10
	s_mov_b32 s0, 0xcf800000
	v_cvt_u32_f32_e32 v11, v10
	v_fma_f32 v10, v10, s0, |v6|
	v_cvt_u32_f32_e32 v10, v10
	v_ashrrev_i32_e32 v6, 31, v6
	v_xor_b32_e32 v11, v11, v6
	s_mov_b64 s[0:1], 0
	v_xor_b32_e32 v10, v10, v6
	v_sub_co_u32_e32 v10, vcc, v10, v6
	v_subb_co_u32_e32 v11, vcc, v11, v6, vcc
	global_store_dwordx2 v[8:9], v[10:11], off
.LBB15_1887:
	s_andn2_b64 vcc, exec, s[0:1]
	s_cbranch_vccnz .LBB15_1889
; %bb.1888:
	v_cvt_i32_f32_e32 v6, v5
	global_store_dword v[8:9], v6, off
.LBB15_1889:
	s_mov_b64 s[0:1], 0
.LBB15_1890:
	s_andn2_b64 vcc, exec, s[0:1]
	s_cbranch_vccnz .LBB15_1892
; %bb.1891:
	v_cvt_i32_f32_e32 v6, v5
	global_store_short v[8:9], v6, off
.LBB15_1892:
	s_mov_b64 s[0:1], 0
.LBB15_1893:
	s_andn2_b64 vcc, exec, s[0:1]
	s_cbranch_vccnz .LBB15_1898
; %bb.1894:
	s_cmp_gt_i32 s2, 0
	s_mov_b64 s[0:1], -1
	s_cbranch_scc0 .LBB15_1896
; %bb.1895:
	v_cvt_i32_f32_e32 v6, v5
	s_mov_b64 s[0:1], 0
	global_store_byte v[8:9], v6, off
.LBB15_1896:
	s_andn2_b64 vcc, exec, s[0:1]
	s_cbranch_vccnz .LBB15_1898
; %bb.1897:
	v_trunc_f32_e32 v5, v5
	s_mov_b32 s0, 0x2f800000
	v_mul_f32_e64 v6, |v5|, s0
	v_floor_f32_e32 v6, v6
	s_mov_b32 s0, 0xcf800000
	v_fma_f32 v6, v6, s0, |v5|
	v_cvt_u32_f32_e32 v6, v6
	v_ashrrev_i32_e32 v5, 31, v5
	v_xor_b32_e32 v6, v6, v5
	v_sub_u32_e32 v5, v6, v5
	global_store_byte v[8:9], v5, off
.LBB15_1898:
	s_mov_b64 s[4:5], -1
.LBB15_1899:
	s_andn2_b64 vcc, exec, s[4:5]
	s_cbranch_vccnz .LBB15_2214
; %bb.1900:
	s_lshr_b32 s0, s20, 8
	s_and_b32 s16, s0, 0xff
	v_mov_b32_e32 v6, s9
	v_add_co_u32_e32 v5, vcc, s8, v4
	s_cmp_lt_i32 s16, 11
	v_addc_co_u32_e32 v6, vcc, 0, v6, vcc
	s_cbranch_scc1 .LBB15_1978
; %bb.1901:
	s_and_b32 s17, 0xffff, s16
	s_mov_b64 s[10:11], -1
	s_mov_b64 s[2:3], 0
	s_cmp_gt_i32 s17, 25
	s_mov_b64 s[4:5], 0
	s_mov_b64 s[0:1], 0
	s_cbranch_scc0 .LBB15_1934
; %bb.1902:
	s_cmp_gt_i32 s17, 28
	s_cbranch_scc0 .LBB15_1917
; %bb.1903:
	s_cmp_gt_i32 s17, 43
	;; [unrolled: 3-line block ×3, first 2 shown]
	s_cbranch_scc0 .LBB15_1907
; %bb.1905:
	s_mov_b64 s[0:1], -1
	s_mov_b64 s[10:11], 0
	s_cmp_eq_u32 s17, 46
	s_cbranch_scc0 .LBB15_1907
; %bb.1906:
	v_bfe_u32 v4, v3, 16, 1
	s_movk_i32 s0, 0x7fff
	v_add3_u32 v4, v3, v4, s0
	v_cmp_o_f32_e32 vcc, v3, v3
	v_mov_b32_e32 v8, 0x7fc0
	v_cndmask_b32_sdwa v4, v8, v4, vcc dst_sel:DWORD dst_unused:UNUSED_PAD src0_sel:DWORD src1_sel:WORD_1
	global_store_dword v[5:6], v4, off
	s_mov_b64 s[0:1], 0
	s_mov_b64 s[4:5], -1
.LBB15_1907:
	s_and_b64 vcc, exec, s[10:11]
	s_cbranch_vccz .LBB15_1912
; %bb.1908:
	s_cmp_eq_u32 s17, 44
	s_mov_b64 s[0:1], -1
	s_cbranch_scc0 .LBB15_1912
; %bb.1909:
	v_bfe_u32 v4, v3, 23, 8
	s_movk_i32 s0, 0xff
	v_cmp_ne_u32_e32 vcc, s0, v4
	v_mov_b32_e32 v8, 0xff
	s_and_saveexec_b64 s[4:5], vcc
; %bb.1910:
	s_mov_b32 s0, 0x3fffff
	v_and_b32_e32 v9, 0x400000, v3
	v_and_or_b32 v4, v3, s0, v4
	v_cmp_ne_u32_e32 vcc, 0, v9
	v_cmp_ne_u32_e64 s[0:1], 0, v4
	s_and_b64 s[0:1], vcc, s[0:1]
	v_lshrrev_b32_e32 v8, 23, v3
	v_cndmask_b32_e64 v4, 0, 1, s[0:1]
	v_add_u32_e32 v8, v8, v4
; %bb.1911:
	s_or_b64 exec, exec, s[4:5]
	s_mov_b64 s[0:1], 0
	s_mov_b64 s[4:5], -1
	global_store_byte v[5:6], v8, off
.LBB15_1912:
	s_mov_b64 s[10:11], 0
.LBB15_1913:
	s_and_b64 vcc, exec, s[10:11]
	s_cbranch_vccz .LBB15_1916
; %bb.1914:
	s_cmp_eq_u32 s17, 29
	s_mov_b64 s[0:1], -1
	s_cbranch_scc0 .LBB15_1916
; %bb.1915:
	v_trunc_f32_e32 v4, v3
	v_mul_f32_e32 v8, 0x2f800000, v4
	v_floor_f32_e32 v8, v8
	v_fmac_f32_e32 v4, 0xcf800000, v8
	v_cvt_u32_f32_e32 v9, v8
	v_cvt_u32_f32_e32 v8, v4
	s_mov_b64 s[0:1], 0
	s_mov_b64 s[4:5], -1
	global_store_dwordx2 v[5:6], v[8:9], off
.LBB15_1916:
	s_mov_b64 s[10:11], 0
.LBB15_1917:
	s_and_b64 vcc, exec, s[10:11]
	s_cbranch_vccz .LBB15_1933
; %bb.1918:
	s_cmp_lt_i32 s17, 27
	s_mov_b64 s[4:5], -1
	s_cbranch_scc1 .LBB15_1924
; %bb.1919:
	s_cmp_gt_i32 s17, 27
	s_cbranch_scc0 .LBB15_1921
; %bb.1920:
	v_cvt_u32_f32_e32 v4, v3
	s_mov_b64 s[4:5], 0
	global_store_dword v[5:6], v4, off
.LBB15_1921:
	s_andn2_b64 vcc, exec, s[4:5]
	s_cbranch_vccnz .LBB15_1923
; %bb.1922:
	v_cvt_u32_f32_e32 v4, v3
	global_store_short v[5:6], v4, off
.LBB15_1923:
	s_mov_b64 s[4:5], 0
.LBB15_1924:
	s_andn2_b64 vcc, exec, s[4:5]
	s_cbranch_vccnz .LBB15_1932
; %bb.1925:
	v_and_b32_e32 v4, 0x7fffffff, v3
	s_mov_b32 s4, 0x43800000
	v_cmp_gt_u32_e32 vcc, s4, v4
	v_mov_b32_e32 v8, 0x80
	s_and_saveexec_b64 s[4:5], vcc
	s_cbranch_execz .LBB15_1931
; %bb.1926:
	s_mov_b32 s10, 0x3bffffff
	v_cmp_lt_u32_e32 vcc, s10, v4
	s_mov_b64 s[10:11], 0
                                        ; implicit-def: $vgpr4
	s_and_saveexec_b64 s[14:15], vcc
	s_xor_b64 s[14:15], exec, s[14:15]
	s_cbranch_execz .LBB15_2222
; %bb.1927:
	v_bfe_u32 v4, v3, 20, 1
	s_mov_b32 s18, 0x487ffff
	v_add3_u32 v4, v3, v4, s18
	s_mov_b64 s[10:11], exec
	v_lshrrev_b32_e32 v4, 20, v4
	s_andn2_saveexec_b64 s[14:15], s[14:15]
	s_cbranch_execnz .LBB15_2223
.LBB15_1928:
	s_or_b64 exec, exec, s[14:15]
	v_mov_b32_e32 v8, 0
	s_and_saveexec_b64 s[14:15], s[10:11]
.LBB15_1929:
	v_lshrrev_b32_e32 v8, 24, v3
	s_movk_i32 s10, 0x80
	v_and_or_b32 v8, v8, s10, v4
.LBB15_1930:
	s_or_b64 exec, exec, s[14:15]
.LBB15_1931:
	s_or_b64 exec, exec, s[4:5]
	global_store_byte v[5:6], v8, off
.LBB15_1932:
	s_mov_b64 s[4:5], -1
.LBB15_1933:
	s_mov_b64 s[10:11], 0
.LBB15_1934:
	s_and_b64 vcc, exec, s[10:11]
	s_cbranch_vccz .LBB15_1974
; %bb.1935:
	s_cmp_gt_i32 s17, 22
	s_mov_b64 s[2:3], -1
	s_cbranch_scc0 .LBB15_1967
; %bb.1936:
	s_cmp_lt_i32 s17, 24
	s_cbranch_scc1 .LBB15_1956
; %bb.1937:
	s_cmp_gt_i32 s17, 24
	s_cbranch_scc0 .LBB15_1945
; %bb.1938:
	v_and_b32_e32 v4, 0x7fffffff, v3
	s_mov_b32 s2, 0x47800000
	v_cmp_gt_u32_e32 vcc, s2, v4
	v_mov_b32_e32 v8, 0x80
	s_and_saveexec_b64 s[2:3], vcc
	s_cbranch_execz .LBB15_1944
; %bb.1939:
	s_mov_b32 s4, 0x37ffffff
	v_cmp_lt_u32_e32 vcc, s4, v4
	s_mov_b64 s[4:5], 0
                                        ; implicit-def: $vgpr4
	s_and_saveexec_b64 s[10:11], vcc
	s_xor_b64 s[10:11], exec, s[10:11]
	s_cbranch_execz .LBB15_2225
; %bb.1940:
	v_bfe_u32 v4, v3, 21, 1
	s_mov_b32 s14, 0x88fffff
	v_add3_u32 v4, v3, v4, s14
	s_mov_b64 s[4:5], exec
	v_lshrrev_b32_e32 v4, 21, v4
	s_andn2_saveexec_b64 s[10:11], s[10:11]
	s_cbranch_execnz .LBB15_2226
.LBB15_1941:
	s_or_b64 exec, exec, s[10:11]
	v_mov_b32_e32 v8, 0
	s_and_saveexec_b64 s[10:11], s[4:5]
.LBB15_1942:
	v_lshrrev_b32_e32 v8, 24, v3
	s_movk_i32 s4, 0x80
	v_and_or_b32 v8, v8, s4, v4
.LBB15_1943:
	s_or_b64 exec, exec, s[10:11]
.LBB15_1944:
	s_or_b64 exec, exec, s[2:3]
	s_mov_b64 s[2:3], 0
	global_store_byte v[5:6], v8, off
.LBB15_1945:
	s_and_b64 vcc, exec, s[2:3]
	s_cbranch_vccz .LBB15_1955
; %bb.1946:
	v_and_b32_e32 v8, 0x7fffffff, v3
	s_mov_b32 s2, 0x43f00000
	v_cmp_gt_u32_e32 vcc, s2, v8
                                        ; implicit-def: $vgpr4
	s_and_saveexec_b64 s[2:3], vcc
	s_xor_b64 s[2:3], exec, s[2:3]
	s_cbranch_execz .LBB15_1952
; %bb.1947:
	s_mov_b32 s4, 0x3c7fffff
	v_cmp_lt_u32_e32 vcc, s4, v8
                                        ; implicit-def: $vgpr4
	s_and_saveexec_b64 s[4:5], vcc
	s_xor_b64 s[4:5], exec, s[4:5]
; %bb.1948:
	v_bfe_u32 v4, v3, 20, 1
	s_mov_b32 s10, 0x407ffff
	v_add3_u32 v4, v3, v4, s10
	v_lshrrev_b32_e32 v8, 20, v4
	v_and_b32_e32 v4, 0xff00000, v4
	s_mov_b32 s10, 0x7f00000
	v_mov_b32_e32 v9, 0x7e
	v_cmp_ne_u32_e32 vcc, s10, v4
	v_cndmask_b32_e32 v4, v9, v8, vcc
; %bb.1949:
	s_andn2_saveexec_b64 s[4:5], s[4:5]
; %bb.1950:
	s_mov_b32 s10, 0x46800000
	v_add_f32_e64 v4, |v3|, s10
; %bb.1951:
	s_or_b64 exec, exec, s[4:5]
                                        ; implicit-def: $vgpr8
.LBB15_1952:
	s_andn2_saveexec_b64 s[2:3], s[2:3]
; %bb.1953:
	s_mov_b32 s4, 0x7f800000
	v_mov_b32_e32 v4, 0x7e
	v_mov_b32_e32 v9, 0x7f
	v_cmp_lt_u32_e32 vcc, s4, v8
	v_cndmask_b32_e32 v4, v4, v9, vcc
; %bb.1954:
	s_or_b64 exec, exec, s[2:3]
	v_lshrrev_b32_e32 v8, 24, v3
	s_movk_i32 s2, 0x80
	v_and_or_b32 v4, v8, s2, v4
	global_store_byte v[5:6], v4, off
.LBB15_1955:
	s_mov_b64 s[2:3], 0
.LBB15_1956:
	s_andn2_b64 vcc, exec, s[2:3]
	s_cbranch_vccnz .LBB15_1966
; %bb.1957:
	v_and_b32_e32 v8, 0x7fffffff, v3
	s_mov_b32 s2, 0x47800000
	v_cmp_gt_u32_e32 vcc, s2, v8
                                        ; implicit-def: $vgpr4
	s_and_saveexec_b64 s[2:3], vcc
	s_xor_b64 s[2:3], exec, s[2:3]
	s_cbranch_execz .LBB15_1963
; %bb.1958:
	s_mov_b32 s4, 0x387fffff
	v_cmp_lt_u32_e32 vcc, s4, v8
                                        ; implicit-def: $vgpr4
	s_and_saveexec_b64 s[4:5], vcc
	s_xor_b64 s[4:5], exec, s[4:5]
; %bb.1959:
	v_bfe_u32 v4, v3, 21, 1
	s_mov_b32 s10, 0x80fffff
	v_add3_u32 v4, v3, v4, s10
	v_lshrrev_b32_e32 v4, 21, v4
; %bb.1960:
	s_andn2_saveexec_b64 s[4:5], s[4:5]
; %bb.1961:
	s_mov_b32 s10, 0x43000000
	v_add_f32_e64 v4, |v3|, s10
; %bb.1962:
	s_or_b64 exec, exec, s[4:5]
                                        ; implicit-def: $vgpr8
.LBB15_1963:
	s_andn2_saveexec_b64 s[2:3], s[2:3]
; %bb.1964:
	s_mov_b32 s4, 0x7f800000
	v_mov_b32_e32 v4, 0x7c
	v_mov_b32_e32 v9, 0x7f
	v_cmp_lt_u32_e32 vcc, s4, v8
	v_cndmask_b32_e32 v4, v4, v9, vcc
; %bb.1965:
	s_or_b64 exec, exec, s[2:3]
	v_lshrrev_b32_e32 v8, 24, v3
	s_movk_i32 s2, 0x80
	v_and_or_b32 v4, v8, s2, v4
	global_store_byte v[5:6], v4, off
.LBB15_1966:
	s_mov_b64 s[2:3], 0
	s_mov_b64 s[4:5], -1
.LBB15_1967:
	s_andn2_b64 vcc, exec, s[2:3]
	s_mov_b64 s[2:3], 0
	s_cbranch_vccnz .LBB15_1974
; %bb.1968:
	s_cmp_gt_i32 s17, 14
	s_mov_b64 s[10:11], -1
	s_cbranch_scc0 .LBB15_1972
; %bb.1969:
	s_cmp_eq_u32 s17, 15
	s_mov_b64 s[0:1], -1
	s_cbranch_scc0 .LBB15_1971
; %bb.1970:
	v_bfe_u32 v4, v3, 16, 1
	s_movk_i32 s0, 0x7fff
	v_add3_u32 v4, v3, v4, s0
	v_cmp_o_f32_e32 vcc, v3, v3
	v_mov_b32_e32 v8, 0x7fc0
	v_cndmask_b32_sdwa v4, v8, v4, vcc dst_sel:DWORD dst_unused:UNUSED_PAD src0_sel:DWORD src1_sel:WORD_1
	global_store_short v[5:6], v4, off
	s_mov_b64 s[0:1], 0
	s_mov_b64 s[4:5], -1
.LBB15_1971:
	s_mov_b64 s[10:11], 0
.LBB15_1972:
	s_and_b64 vcc, exec, s[10:11]
	s_cbranch_vccz .LBB15_1974
; %bb.1973:
	s_cmp_lg_u32 s17, 11
	s_mov_b64 s[2:3], -1
	s_cselect_b64 s[0:1], -1, 0
.LBB15_1974:
	s_and_b64 vcc, exec, s[0:1]
	s_cbranch_vccnz .LBB15_2224
; %bb.1975:
	s_andn2_b64 vcc, exec, s[2:3]
	s_cbranch_vccnz .LBB15_1977
.LBB15_1976:
	v_cmp_neq_f32_e32 vcc, 0, v3
	v_cndmask_b32_e64 v4, 0, 1, vcc
	s_mov_b64 s[4:5], -1
	global_store_byte v[5:6], v4, off
.LBB15_1977:
	s_mov_b64 s[0:1], 0
	s_branch .LBB15_1979
.LBB15_1978:
	s_mov_b64 s[0:1], -1
	s_mov_b64 s[4:5], 0
.LBB15_1979:
	s_and_b64 vcc, exec, s[0:1]
	s_cbranch_vccz .LBB15_2018
; %bb.1980:
	s_and_b32 s2, 0xffff, s16
	s_cmp_lt_i32 s2, 5
	s_mov_b64 s[0:1], -1
	s_cbranch_scc1 .LBB15_2001
; %bb.1981:
	s_cmp_lt_i32 s2, 8
	s_cbranch_scc1 .LBB15_1991
; %bb.1982:
	s_cmp_lt_i32 s2, 9
	s_cbranch_scc1 .LBB15_1988
; %bb.1983:
	s_cmp_gt_i32 s2, 9
	s_cbranch_scc0 .LBB15_1985
; %bb.1984:
	v_cvt_f64_f32_e32 v[8:9], v3
	v_mov_b32_e32 v10, 0
	v_mov_b32_e32 v11, v10
	s_mov_b64 s[0:1], 0
	global_store_dwordx4 v[5:6], v[8:11], off
.LBB15_1985:
	s_andn2_b64 vcc, exec, s[0:1]
	s_cbranch_vccnz .LBB15_1987
; %bb.1986:
	v_mov_b32_e32 v4, 0
	global_store_dwordx2 v[5:6], v[3:4], off
.LBB15_1987:
	s_mov_b64 s[0:1], 0
.LBB15_1988:
	s_andn2_b64 vcc, exec, s[0:1]
	s_cbranch_vccnz .LBB15_1990
; %bb.1989:
	v_cvt_f16_f32_e32 v4, v3
	global_store_dword v[5:6], v4, off
.LBB15_1990:
	s_mov_b64 s[0:1], 0
.LBB15_1991:
	s_andn2_b64 vcc, exec, s[0:1]
	s_cbranch_vccnz .LBB15_2000
; %bb.1992:
	s_cmp_lt_i32 s2, 6
	s_mov_b64 s[0:1], -1
	s_cbranch_scc1 .LBB15_1998
; %bb.1993:
	s_cmp_gt_i32 s2, 6
	s_cbranch_scc0 .LBB15_1995
; %bb.1994:
	v_cvt_f64_f32_e32 v[8:9], v3
	s_mov_b64 s[0:1], 0
	global_store_dwordx2 v[5:6], v[8:9], off
.LBB15_1995:
	s_andn2_b64 vcc, exec, s[0:1]
	s_cbranch_vccnz .LBB15_1997
; %bb.1996:
	global_store_dword v[5:6], v3, off
.LBB15_1997:
	s_mov_b64 s[0:1], 0
.LBB15_1998:
	s_andn2_b64 vcc, exec, s[0:1]
	s_cbranch_vccnz .LBB15_2000
; %bb.1999:
	v_cvt_f16_f32_e32 v4, v3
	global_store_short v[5:6], v4, off
.LBB15_2000:
	s_mov_b64 s[0:1], 0
.LBB15_2001:
	s_andn2_b64 vcc, exec, s[0:1]
	s_cbranch_vccnz .LBB15_2017
; %bb.2002:
	s_cmp_lt_i32 s2, 2
	s_mov_b64 s[0:1], -1
	s_cbranch_scc1 .LBB15_2012
; %bb.2003:
	s_cmp_lt_i32 s2, 3
	s_cbranch_scc1 .LBB15_2009
; %bb.2004:
	s_cmp_gt_i32 s2, 3
	s_cbranch_scc0 .LBB15_2006
; %bb.2005:
	v_trunc_f32_e32 v4, v3
	s_mov_b32 s0, 0x2f800000
	v_mul_f32_e64 v8, |v4|, s0
	v_floor_f32_e32 v8, v8
	s_mov_b32 s0, 0xcf800000
	v_cvt_u32_f32_e32 v9, v8
	v_fma_f32 v8, v8, s0, |v4|
	v_cvt_u32_f32_e32 v8, v8
	v_ashrrev_i32_e32 v4, 31, v4
	v_xor_b32_e32 v9, v9, v4
	s_mov_b64 s[0:1], 0
	v_xor_b32_e32 v8, v8, v4
	v_sub_co_u32_e32 v8, vcc, v8, v4
	v_subb_co_u32_e32 v9, vcc, v9, v4, vcc
	global_store_dwordx2 v[5:6], v[8:9], off
.LBB15_2006:
	s_andn2_b64 vcc, exec, s[0:1]
	s_cbranch_vccnz .LBB15_2008
; %bb.2007:
	v_cvt_i32_f32_e32 v4, v3
	global_store_dword v[5:6], v4, off
.LBB15_2008:
	s_mov_b64 s[0:1], 0
.LBB15_2009:
	s_andn2_b64 vcc, exec, s[0:1]
	s_cbranch_vccnz .LBB15_2011
; %bb.2010:
	v_cvt_i32_f32_e32 v4, v3
	global_store_short v[5:6], v4, off
.LBB15_2011:
	s_mov_b64 s[0:1], 0
.LBB15_2012:
	s_andn2_b64 vcc, exec, s[0:1]
	s_cbranch_vccnz .LBB15_2017
; %bb.2013:
	s_cmp_gt_i32 s2, 0
	s_mov_b64 s[0:1], -1
	s_cbranch_scc0 .LBB15_2015
; %bb.2014:
	v_cvt_i32_f32_e32 v4, v3
	s_mov_b64 s[0:1], 0
	global_store_byte v[5:6], v4, off
.LBB15_2015:
	s_andn2_b64 vcc, exec, s[0:1]
	s_cbranch_vccnz .LBB15_2017
; %bb.2016:
	v_trunc_f32_e32 v3, v3
	s_mov_b32 s0, 0x2f800000
	v_mul_f32_e64 v4, |v3|, s0
	v_floor_f32_e32 v4, v4
	s_mov_b32 s0, 0xcf800000
	v_fma_f32 v4, v4, s0, |v3|
	v_cvt_u32_f32_e32 v4, v4
	v_ashrrev_i32_e32 v3, 31, v3
	v_xor_b32_e32 v4, v4, v3
	v_sub_u32_e32 v3, v4, v3
	global_store_byte v[5:6], v3, off
.LBB15_2017:
	s_mov_b64 s[4:5], -1
.LBB15_2018:
	s_andn2_b64 vcc, exec, s[4:5]
	s_cbranch_vccnz .LBB15_2214
; %bb.2019:
	v_mov_b32_e32 v4, s9
	v_add_co_u32_e32 v3, vcc, s8, v2
	s_cmp_lt_i32 s16, 11
	v_addc_co_u32_e32 v4, vcc, 0, v4, vcc
	s_cbranch_scc1 .LBB15_2097
; %bb.2020:
	s_and_b32 s17, 0xffff, s16
	s_mov_b64 s[10:11], -1
	s_mov_b64 s[2:3], 0
	s_cmp_gt_i32 s17, 25
	s_mov_b64 s[4:5], 0
	s_mov_b64 s[0:1], 0
	s_cbranch_scc0 .LBB15_2053
; %bb.2021:
	s_cmp_gt_i32 s17, 28
	s_cbranch_scc0 .LBB15_2036
; %bb.2022:
	s_cmp_gt_i32 s17, 43
	;; [unrolled: 3-line block ×3, first 2 shown]
	s_cbranch_scc0 .LBB15_2026
; %bb.2024:
	s_mov_b64 s[0:1], -1
	s_mov_b64 s[10:11], 0
	s_cmp_eq_u32 s17, 46
	s_cbranch_scc0 .LBB15_2026
; %bb.2025:
	v_bfe_u32 v2, v1, 16, 1
	s_movk_i32 s0, 0x7fff
	v_add3_u32 v2, v1, v2, s0
	v_cmp_o_f32_e32 vcc, v1, v1
	v_mov_b32_e32 v5, 0x7fc0
	v_cndmask_b32_sdwa v2, v5, v2, vcc dst_sel:DWORD dst_unused:UNUSED_PAD src0_sel:DWORD src1_sel:WORD_1
	global_store_dword v[3:4], v2, off
	s_mov_b64 s[0:1], 0
	s_mov_b64 s[4:5], -1
.LBB15_2026:
	s_and_b64 vcc, exec, s[10:11]
	s_cbranch_vccz .LBB15_2031
; %bb.2027:
	s_cmp_eq_u32 s17, 44
	s_mov_b64 s[0:1], -1
	s_cbranch_scc0 .LBB15_2031
; %bb.2028:
	v_bfe_u32 v2, v1, 23, 8
	s_movk_i32 s0, 0xff
	v_cmp_ne_u32_e32 vcc, s0, v2
	v_mov_b32_e32 v5, 0xff
	s_and_saveexec_b64 s[4:5], vcc
; %bb.2029:
	s_mov_b32 s0, 0x3fffff
	v_and_b32_e32 v6, 0x400000, v1
	v_and_or_b32 v2, v1, s0, v2
	v_cmp_ne_u32_e32 vcc, 0, v6
	v_cmp_ne_u32_e64 s[0:1], 0, v2
	s_and_b64 s[0:1], vcc, s[0:1]
	v_lshrrev_b32_e32 v5, 23, v1
	v_cndmask_b32_e64 v2, 0, 1, s[0:1]
	v_add_u32_e32 v5, v5, v2
; %bb.2030:
	s_or_b64 exec, exec, s[4:5]
	s_mov_b64 s[0:1], 0
	s_mov_b64 s[4:5], -1
	global_store_byte v[3:4], v5, off
.LBB15_2031:
	s_mov_b64 s[10:11], 0
.LBB15_2032:
	s_and_b64 vcc, exec, s[10:11]
	s_cbranch_vccz .LBB15_2035
; %bb.2033:
	s_cmp_eq_u32 s17, 29
	s_mov_b64 s[0:1], -1
	s_cbranch_scc0 .LBB15_2035
; %bb.2034:
	v_trunc_f32_e32 v2, v1
	v_mul_f32_e32 v5, 0x2f800000, v2
	v_floor_f32_e32 v5, v5
	v_fmac_f32_e32 v2, 0xcf800000, v5
	v_cvt_u32_f32_e32 v6, v5
	v_cvt_u32_f32_e32 v5, v2
	s_mov_b64 s[0:1], 0
	s_mov_b64 s[4:5], -1
	global_store_dwordx2 v[3:4], v[5:6], off
.LBB15_2035:
	s_mov_b64 s[10:11], 0
.LBB15_2036:
	s_and_b64 vcc, exec, s[10:11]
	s_cbranch_vccz .LBB15_2052
; %bb.2037:
	s_cmp_lt_i32 s17, 27
	s_mov_b64 s[4:5], -1
	s_cbranch_scc1 .LBB15_2043
; %bb.2038:
	v_cvt_u32_f32_e32 v2, v1
	s_cmp_gt_i32 s17, 27
	s_cbranch_scc0 .LBB15_2040
; %bb.2039:
	s_mov_b64 s[4:5], 0
	global_store_dword v[3:4], v2, off
.LBB15_2040:
	s_andn2_b64 vcc, exec, s[4:5]
	s_cbranch_vccnz .LBB15_2042
; %bb.2041:
	global_store_short v[3:4], v2, off
.LBB15_2042:
	s_mov_b64 s[4:5], 0
.LBB15_2043:
	s_andn2_b64 vcc, exec, s[4:5]
	s_cbranch_vccnz .LBB15_2051
; %bb.2044:
	v_and_b32_e32 v2, 0x7fffffff, v1
	s_mov_b32 s4, 0x43800000
	v_cmp_gt_u32_e32 vcc, s4, v2
	v_mov_b32_e32 v5, 0x80
	s_and_saveexec_b64 s[4:5], vcc
	s_cbranch_execz .LBB15_2050
; %bb.2045:
	s_mov_b32 s10, 0x3bffffff
	v_cmp_lt_u32_e32 vcc, s10, v2
	s_mov_b64 s[10:11], 0
                                        ; implicit-def: $vgpr2
	s_and_saveexec_b64 s[14:15], vcc
	s_xor_b64 s[14:15], exec, s[14:15]
	s_cbranch_execz .LBB15_2227
; %bb.2046:
	v_bfe_u32 v2, v1, 20, 1
	s_mov_b32 s18, 0x487ffff
	v_add3_u32 v2, v1, v2, s18
	s_mov_b64 s[10:11], exec
	v_lshrrev_b32_e32 v2, 20, v2
	s_andn2_saveexec_b64 s[14:15], s[14:15]
	s_cbranch_execnz .LBB15_2228
.LBB15_2047:
	s_or_b64 exec, exec, s[14:15]
	v_mov_b32_e32 v5, 0
	s_and_saveexec_b64 s[14:15], s[10:11]
.LBB15_2048:
	v_lshrrev_b32_e32 v5, 24, v1
	s_movk_i32 s10, 0x80
	v_and_or_b32 v5, v5, s10, v2
.LBB15_2049:
	s_or_b64 exec, exec, s[14:15]
.LBB15_2050:
	s_or_b64 exec, exec, s[4:5]
	global_store_byte v[3:4], v5, off
.LBB15_2051:
	s_mov_b64 s[4:5], -1
.LBB15_2052:
	s_mov_b64 s[10:11], 0
.LBB15_2053:
	s_and_b64 vcc, exec, s[10:11]
	s_cbranch_vccz .LBB15_2093
; %bb.2054:
	s_cmp_gt_i32 s17, 22
	s_mov_b64 s[2:3], -1
	s_cbranch_scc0 .LBB15_2086
; %bb.2055:
	s_cmp_lt_i32 s17, 24
	s_cbranch_scc1 .LBB15_2075
; %bb.2056:
	s_cmp_gt_i32 s17, 24
	s_cbranch_scc0 .LBB15_2064
; %bb.2057:
	v_and_b32_e32 v2, 0x7fffffff, v1
	s_mov_b32 s2, 0x47800000
	v_cmp_gt_u32_e32 vcc, s2, v2
	v_mov_b32_e32 v5, 0x80
	s_and_saveexec_b64 s[2:3], vcc
	s_cbranch_execz .LBB15_2063
; %bb.2058:
	s_mov_b32 s4, 0x37ffffff
	v_cmp_lt_u32_e32 vcc, s4, v2
	s_mov_b64 s[4:5], 0
                                        ; implicit-def: $vgpr2
	s_and_saveexec_b64 s[10:11], vcc
	s_xor_b64 s[10:11], exec, s[10:11]
	s_cbranch_execz .LBB15_2230
; %bb.2059:
	v_bfe_u32 v2, v1, 21, 1
	s_mov_b32 s14, 0x88fffff
	v_add3_u32 v2, v1, v2, s14
	s_mov_b64 s[4:5], exec
	v_lshrrev_b32_e32 v2, 21, v2
	s_andn2_saveexec_b64 s[10:11], s[10:11]
	s_cbranch_execnz .LBB15_2231
.LBB15_2060:
	s_or_b64 exec, exec, s[10:11]
	v_mov_b32_e32 v5, 0
	s_and_saveexec_b64 s[10:11], s[4:5]
.LBB15_2061:
	v_lshrrev_b32_e32 v5, 24, v1
	s_movk_i32 s4, 0x80
	v_and_or_b32 v5, v5, s4, v2
.LBB15_2062:
	s_or_b64 exec, exec, s[10:11]
.LBB15_2063:
	s_or_b64 exec, exec, s[2:3]
	s_mov_b64 s[2:3], 0
	global_store_byte v[3:4], v5, off
.LBB15_2064:
	s_and_b64 vcc, exec, s[2:3]
	s_cbranch_vccz .LBB15_2074
; %bb.2065:
	v_and_b32_e32 v5, 0x7fffffff, v1
	s_mov_b32 s2, 0x43f00000
	v_cmp_gt_u32_e32 vcc, s2, v5
                                        ; implicit-def: $vgpr2
	s_and_saveexec_b64 s[2:3], vcc
	s_xor_b64 s[2:3], exec, s[2:3]
	s_cbranch_execz .LBB15_2071
; %bb.2066:
	s_mov_b32 s4, 0x3c7fffff
	v_cmp_lt_u32_e32 vcc, s4, v5
                                        ; implicit-def: $vgpr2
	s_and_saveexec_b64 s[4:5], vcc
	s_xor_b64 s[4:5], exec, s[4:5]
; %bb.2067:
	v_bfe_u32 v2, v1, 20, 1
	s_mov_b32 s10, 0x407ffff
	v_add3_u32 v2, v1, v2, s10
	v_lshrrev_b32_e32 v5, 20, v2
	v_and_b32_e32 v2, 0xff00000, v2
	s_mov_b32 s10, 0x7f00000
	v_mov_b32_e32 v6, 0x7e
	v_cmp_ne_u32_e32 vcc, s10, v2
	v_cndmask_b32_e32 v2, v6, v5, vcc
; %bb.2068:
	s_andn2_saveexec_b64 s[4:5], s[4:5]
; %bb.2069:
	s_mov_b32 s10, 0x46800000
	v_add_f32_e64 v2, |v1|, s10
; %bb.2070:
	s_or_b64 exec, exec, s[4:5]
                                        ; implicit-def: $vgpr5
.LBB15_2071:
	s_andn2_saveexec_b64 s[2:3], s[2:3]
; %bb.2072:
	s_mov_b32 s4, 0x7f800000
	v_mov_b32_e32 v2, 0x7e
	v_mov_b32_e32 v6, 0x7f
	v_cmp_lt_u32_e32 vcc, s4, v5
	v_cndmask_b32_e32 v2, v2, v6, vcc
; %bb.2073:
	s_or_b64 exec, exec, s[2:3]
	v_lshrrev_b32_e32 v5, 24, v1
	s_movk_i32 s2, 0x80
	v_and_or_b32 v2, v5, s2, v2
	global_store_byte v[3:4], v2, off
.LBB15_2074:
	s_mov_b64 s[2:3], 0
.LBB15_2075:
	s_andn2_b64 vcc, exec, s[2:3]
	s_cbranch_vccnz .LBB15_2085
; %bb.2076:
	v_and_b32_e32 v5, 0x7fffffff, v1
	s_mov_b32 s2, 0x47800000
	v_cmp_gt_u32_e32 vcc, s2, v5
                                        ; implicit-def: $vgpr2
	s_and_saveexec_b64 s[2:3], vcc
	s_xor_b64 s[2:3], exec, s[2:3]
	s_cbranch_execz .LBB15_2082
; %bb.2077:
	s_mov_b32 s4, 0x387fffff
	v_cmp_lt_u32_e32 vcc, s4, v5
                                        ; implicit-def: $vgpr2
	s_and_saveexec_b64 s[4:5], vcc
	s_xor_b64 s[4:5], exec, s[4:5]
; %bb.2078:
	v_bfe_u32 v2, v1, 21, 1
	s_mov_b32 s10, 0x80fffff
	v_add3_u32 v2, v1, v2, s10
	v_lshrrev_b32_e32 v2, 21, v2
; %bb.2079:
	s_andn2_saveexec_b64 s[4:5], s[4:5]
; %bb.2080:
	s_mov_b32 s10, 0x43000000
	v_add_f32_e64 v2, |v1|, s10
; %bb.2081:
	s_or_b64 exec, exec, s[4:5]
                                        ; implicit-def: $vgpr5
.LBB15_2082:
	s_andn2_saveexec_b64 s[2:3], s[2:3]
; %bb.2083:
	s_mov_b32 s4, 0x7f800000
	v_mov_b32_e32 v2, 0x7c
	v_mov_b32_e32 v6, 0x7f
	v_cmp_lt_u32_e32 vcc, s4, v5
	v_cndmask_b32_e32 v2, v2, v6, vcc
; %bb.2084:
	s_or_b64 exec, exec, s[2:3]
	v_lshrrev_b32_e32 v5, 24, v1
	s_movk_i32 s2, 0x80
	v_and_or_b32 v2, v5, s2, v2
	global_store_byte v[3:4], v2, off
.LBB15_2085:
	s_mov_b64 s[2:3], 0
	s_mov_b64 s[4:5], -1
.LBB15_2086:
	s_andn2_b64 vcc, exec, s[2:3]
	s_mov_b64 s[2:3], 0
	s_cbranch_vccnz .LBB15_2093
; %bb.2087:
	s_cmp_gt_i32 s17, 14
	s_mov_b64 s[10:11], -1
	s_cbranch_scc0 .LBB15_2091
; %bb.2088:
	s_cmp_eq_u32 s17, 15
	s_mov_b64 s[0:1], -1
	s_cbranch_scc0 .LBB15_2090
; %bb.2089:
	v_bfe_u32 v2, v1, 16, 1
	s_movk_i32 s0, 0x7fff
	v_add3_u32 v2, v1, v2, s0
	v_cmp_o_f32_e32 vcc, v1, v1
	v_mov_b32_e32 v5, 0x7fc0
	v_cndmask_b32_sdwa v2, v5, v2, vcc dst_sel:DWORD dst_unused:UNUSED_PAD src0_sel:DWORD src1_sel:WORD_1
	global_store_short v[3:4], v2, off
	s_mov_b64 s[0:1], 0
	s_mov_b64 s[4:5], -1
.LBB15_2090:
	s_mov_b64 s[10:11], 0
.LBB15_2091:
	s_and_b64 vcc, exec, s[10:11]
	s_cbranch_vccz .LBB15_2093
; %bb.2092:
	s_cmp_lg_u32 s17, 11
	s_mov_b64 s[2:3], -1
	s_cselect_b64 s[0:1], -1, 0
.LBB15_2093:
	s_and_b64 vcc, exec, s[0:1]
	s_cbranch_vccnz .LBB15_2229
; %bb.2094:
	s_andn2_b64 vcc, exec, s[2:3]
	s_cbranch_vccnz .LBB15_2096
.LBB15_2095:
	v_cmp_neq_f32_e32 vcc, 0, v1
	v_cndmask_b32_e64 v2, 0, 1, vcc
	s_mov_b64 s[4:5], -1
	global_store_byte v[3:4], v2, off
.LBB15_2096:
	s_mov_b64 s[0:1], 0
	s_branch .LBB15_2098
.LBB15_2097:
	s_mov_b64 s[0:1], -1
	s_mov_b64 s[4:5], 0
.LBB15_2098:
	s_and_b64 vcc, exec, s[0:1]
	s_cbranch_vccz .LBB15_2137
; %bb.2099:
	s_and_b32 s2, 0xffff, s16
	s_cmp_lt_i32 s2, 5
	s_mov_b64 s[0:1], -1
	s_cbranch_scc1 .LBB15_2120
; %bb.2100:
	s_cmp_lt_i32 s2, 8
	s_cbranch_scc1 .LBB15_2110
; %bb.2101:
	s_cmp_lt_i32 s2, 9
	s_cbranch_scc1 .LBB15_2107
; %bb.2102:
	s_cmp_gt_i32 s2, 9
	s_cbranch_scc0 .LBB15_2104
; %bb.2103:
	v_cvt_f64_f32_e32 v[8:9], v1
	v_mov_b32_e32 v10, 0
	v_mov_b32_e32 v11, v10
	s_mov_b64 s[0:1], 0
	global_store_dwordx4 v[3:4], v[8:11], off
.LBB15_2104:
	s_andn2_b64 vcc, exec, s[0:1]
	s_cbranch_vccnz .LBB15_2106
; %bb.2105:
	v_mov_b32_e32 v2, 0
	global_store_dwordx2 v[3:4], v[1:2], off
.LBB15_2106:
	s_mov_b64 s[0:1], 0
.LBB15_2107:
	s_andn2_b64 vcc, exec, s[0:1]
	s_cbranch_vccnz .LBB15_2109
; %bb.2108:
	v_cvt_f16_f32_e32 v2, v1
	global_store_dword v[3:4], v2, off
.LBB15_2109:
	s_mov_b64 s[0:1], 0
.LBB15_2110:
	s_andn2_b64 vcc, exec, s[0:1]
	s_cbranch_vccnz .LBB15_2119
; %bb.2111:
	s_cmp_lt_i32 s2, 6
	s_mov_b64 s[0:1], -1
	s_cbranch_scc1 .LBB15_2117
; %bb.2112:
	s_cmp_gt_i32 s2, 6
	s_cbranch_scc0 .LBB15_2114
; %bb.2113:
	v_cvt_f64_f32_e32 v[5:6], v1
	s_mov_b64 s[0:1], 0
	global_store_dwordx2 v[3:4], v[5:6], off
.LBB15_2114:
	s_andn2_b64 vcc, exec, s[0:1]
	s_cbranch_vccnz .LBB15_2116
; %bb.2115:
	global_store_dword v[3:4], v1, off
.LBB15_2116:
	s_mov_b64 s[0:1], 0
.LBB15_2117:
	s_andn2_b64 vcc, exec, s[0:1]
	s_cbranch_vccnz .LBB15_2119
; %bb.2118:
	v_cvt_f16_f32_e32 v2, v1
	global_store_short v[3:4], v2, off
.LBB15_2119:
	s_mov_b64 s[0:1], 0
.LBB15_2120:
	s_andn2_b64 vcc, exec, s[0:1]
	s_cbranch_vccnz .LBB15_2136
; %bb.2121:
	s_cmp_lt_i32 s2, 2
	s_mov_b64 s[0:1], -1
	s_cbranch_scc1 .LBB15_2131
; %bb.2122:
	s_cmp_lt_i32 s2, 3
	s_cbranch_scc1 .LBB15_2128
; %bb.2123:
	s_cmp_gt_i32 s2, 3
	s_cbranch_scc0 .LBB15_2125
; %bb.2124:
	v_trunc_f32_e32 v2, v1
	s_mov_b32 s0, 0x2f800000
	v_mul_f32_e64 v5, |v2|, s0
	v_floor_f32_e32 v5, v5
	s_mov_b32 s0, 0xcf800000
	v_cvt_u32_f32_e32 v6, v5
	v_fma_f32 v5, v5, s0, |v2|
	v_cvt_u32_f32_e32 v5, v5
	v_ashrrev_i32_e32 v2, 31, v2
	v_xor_b32_e32 v6, v6, v2
	s_mov_b64 s[0:1], 0
	v_xor_b32_e32 v5, v5, v2
	v_sub_co_u32_e32 v5, vcc, v5, v2
	v_subb_co_u32_e32 v6, vcc, v6, v2, vcc
	global_store_dwordx2 v[3:4], v[5:6], off
.LBB15_2125:
	s_andn2_b64 vcc, exec, s[0:1]
	s_cbranch_vccnz .LBB15_2127
; %bb.2126:
	v_cvt_i32_f32_e32 v2, v1
	global_store_dword v[3:4], v2, off
.LBB15_2127:
	s_mov_b64 s[0:1], 0
.LBB15_2128:
	s_andn2_b64 vcc, exec, s[0:1]
	s_cbranch_vccnz .LBB15_2130
; %bb.2129:
	v_cvt_i32_f32_e32 v2, v1
	global_store_short v[3:4], v2, off
.LBB15_2130:
	s_mov_b64 s[0:1], 0
.LBB15_2131:
	s_andn2_b64 vcc, exec, s[0:1]
	s_cbranch_vccnz .LBB15_2136
; %bb.2132:
	s_cmp_gt_i32 s2, 0
	s_mov_b64 s[0:1], -1
	s_cbranch_scc0 .LBB15_2134
; %bb.2133:
	v_cvt_i32_f32_e32 v2, v1
	s_mov_b64 s[0:1], 0
	global_store_byte v[3:4], v2, off
.LBB15_2134:
	s_andn2_b64 vcc, exec, s[0:1]
	s_cbranch_vccnz .LBB15_2136
; %bb.2135:
	v_trunc_f32_e32 v1, v1
	s_mov_b32 s0, 0x2f800000
	v_mul_f32_e64 v2, |v1|, s0
	v_floor_f32_e32 v2, v2
	s_mov_b32 s0, 0xcf800000
	v_fma_f32 v2, v2, s0, |v1|
	v_cvt_u32_f32_e32 v2, v2
	v_ashrrev_i32_e32 v1, 31, v1
	v_xor_b32_e32 v2, v2, v1
	v_sub_u32_e32 v1, v2, v1
	global_store_byte v[3:4], v1, off
.LBB15_2136:
	s_mov_b64 s[4:5], -1
.LBB15_2137:
	s_andn2_b64 vcc, exec, s[4:5]
	s_cbranch_vccnz .LBB15_2214
; %bb.2138:
	v_mov_b32_e32 v1, s9
	v_add_co_u32_e32 v0, vcc, s8, v0
	s_cmp_lt_i32 s16, 11
	v_addc_co_u32_e32 v1, vcc, 0, v1, vcc
	s_cbranch_scc1 .LBB15_2215
; %bb.2139:
	s_and_b32 s14, 0xffff, s16
	s_mov_b64 s[4:5], -1
	s_mov_b64 s[2:3], 0
	s_cmp_gt_i32 s14, 25
	s_mov_b64 s[0:1], 0
	s_cbranch_scc0 .LBB15_2172
; %bb.2140:
	s_cmp_gt_i32 s14, 28
	s_cbranch_scc0 .LBB15_2156
; %bb.2141:
	s_cmp_gt_i32 s14, 43
	s_cbranch_scc0 .LBB15_2152
; %bb.2142:
	s_cmp_gt_i32 s14, 45
	s_cbranch_scc0 .LBB15_2146
; %bb.2143:
	s_cmp_eq_u32 s14, 46
	s_mov_b64 s[0:1], -1
	s_cbranch_scc0 .LBB15_2145
; %bb.2144:
	v_bfe_u32 v2, v7, 16, 1
	s_movk_i32 s0, 0x7fff
	v_add3_u32 v2, v7, v2, s0
	v_cmp_o_f32_e32 vcc, v7, v7
	v_mov_b32_e32 v3, 0x7fc0
	v_cndmask_b32_sdwa v2, v3, v2, vcc dst_sel:DWORD dst_unused:UNUSED_PAD src0_sel:DWORD src1_sel:WORD_1
	global_store_dword v[0:1], v2, off
	s_mov_b64 s[0:1], 0
.LBB15_2145:
	s_mov_b64 s[4:5], 0
.LBB15_2146:
	s_and_b64 vcc, exec, s[4:5]
	s_cbranch_vccz .LBB15_2151
; %bb.2147:
	s_cmp_eq_u32 s14, 44
	s_mov_b64 s[0:1], -1
	s_cbranch_scc0 .LBB15_2151
; %bb.2148:
	v_bfe_u32 v2, v7, 23, 8
	s_movk_i32 s0, 0xff
	v_cmp_ne_u32_e32 vcc, s0, v2
	v_mov_b32_e32 v3, 0xff
	s_and_saveexec_b64 s[4:5], vcc
; %bb.2149:
	s_mov_b32 s0, 0x3fffff
	v_and_b32_e32 v4, 0x400000, v7
	v_and_or_b32 v2, v7, s0, v2
	v_cmp_ne_u32_e32 vcc, 0, v4
	v_cmp_ne_u32_e64 s[0:1], 0, v2
	s_and_b64 s[0:1], vcc, s[0:1]
	v_lshrrev_b32_e32 v3, 23, v7
	v_cndmask_b32_e64 v2, 0, 1, s[0:1]
	v_add_u32_e32 v3, v3, v2
; %bb.2150:
	s_or_b64 exec, exec, s[4:5]
	s_mov_b64 s[0:1], 0
	global_store_byte v[0:1], v3, off
.LBB15_2151:
	s_mov_b64 s[4:5], 0
.LBB15_2152:
	s_and_b64 vcc, exec, s[4:5]
	s_cbranch_vccz .LBB15_2155
; %bb.2153:
	s_cmp_eq_u32 s14, 29
	s_mov_b64 s[0:1], -1
	s_cbranch_scc0 .LBB15_2155
; %bb.2154:
	v_trunc_f32_e32 v2, v7
	v_mul_f32_e32 v3, 0x2f800000, v2
	v_floor_f32_e32 v4, v3
	v_fmac_f32_e32 v2, 0xcf800000, v4
	v_cvt_u32_f32_e32 v3, v4
	v_cvt_u32_f32_e32 v2, v2
	s_mov_b64 s[0:1], 0
	global_store_dwordx2 v[0:1], v[2:3], off
.LBB15_2155:
	s_mov_b64 s[4:5], 0
.LBB15_2156:
	s_and_b64 vcc, exec, s[4:5]
	s_cbranch_vccz .LBB15_2171
; %bb.2157:
	s_cmp_lt_i32 s14, 27
	s_mov_b64 s[4:5], -1
	s_cbranch_scc1 .LBB15_2163
; %bb.2158:
	s_cmp_gt_i32 s14, 27
	s_cbranch_scc0 .LBB15_2160
; %bb.2159:
	v_cvt_u32_f32_e32 v2, v7
	s_mov_b64 s[4:5], 0
	global_store_dword v[0:1], v2, off
.LBB15_2160:
	s_andn2_b64 vcc, exec, s[4:5]
	s_cbranch_vccnz .LBB15_2162
; %bb.2161:
	v_cvt_u32_f32_e32 v2, v7
	global_store_short v[0:1], v2, off
.LBB15_2162:
	s_mov_b64 s[4:5], 0
.LBB15_2163:
	s_andn2_b64 vcc, exec, s[4:5]
	s_cbranch_vccnz .LBB15_2171
; %bb.2164:
	v_and_b32_e32 v2, 0x7fffffff, v7
	s_mov_b32 s4, 0x43800000
	v_cmp_gt_u32_e32 vcc, s4, v2
	v_mov_b32_e32 v3, 0x80
	s_and_saveexec_b64 s[4:5], vcc
	s_cbranch_execz .LBB15_2170
; %bb.2165:
	s_mov_b32 s8, 0x3bffffff
	v_cmp_lt_u32_e32 vcc, s8, v2
	s_mov_b64 s[8:9], 0
                                        ; implicit-def: $vgpr2
	s_and_saveexec_b64 s[10:11], vcc
	s_xor_b64 s[10:11], exec, s[10:11]
	s_cbranch_execz .LBB15_2232
; %bb.2166:
	v_bfe_u32 v2, v7, 20, 1
	s_mov_b32 s15, 0x487ffff
	v_add3_u32 v2, v7, v2, s15
	s_mov_b64 s[8:9], exec
	v_lshrrev_b32_e32 v2, 20, v2
	s_andn2_saveexec_b64 s[10:11], s[10:11]
	s_cbranch_execnz .LBB15_2233
.LBB15_2167:
	s_or_b64 exec, exec, s[10:11]
	v_mov_b32_e32 v3, 0
	s_and_saveexec_b64 s[10:11], s[8:9]
.LBB15_2168:
	v_lshrrev_b32_e32 v3, 24, v7
	s_movk_i32 s8, 0x80
	v_and_or_b32 v3, v3, s8, v2
.LBB15_2169:
	s_or_b64 exec, exec, s[10:11]
.LBB15_2170:
	s_or_b64 exec, exec, s[4:5]
	global_store_byte v[0:1], v3, off
.LBB15_2171:
	s_mov_b64 s[4:5], 0
.LBB15_2172:
	s_and_b64 vcc, exec, s[4:5]
	s_cbranch_vccz .LBB15_2212
; %bb.2173:
	s_cmp_gt_i32 s14, 22
	s_mov_b64 s[2:3], -1
	s_cbranch_scc0 .LBB15_2205
; %bb.2174:
	s_cmp_lt_i32 s14, 24
	s_cbranch_scc1 .LBB15_2194
; %bb.2175:
	s_cmp_gt_i32 s14, 24
	s_cbranch_scc0 .LBB15_2183
; %bb.2176:
	v_and_b32_e32 v2, 0x7fffffff, v7
	s_mov_b32 s2, 0x47800000
	v_cmp_gt_u32_e32 vcc, s2, v2
	v_mov_b32_e32 v3, 0x80
	s_and_saveexec_b64 s[2:3], vcc
	s_cbranch_execz .LBB15_2182
; %bb.2177:
	s_mov_b32 s4, 0x37ffffff
	v_cmp_lt_u32_e32 vcc, s4, v2
	s_mov_b64 s[4:5], 0
                                        ; implicit-def: $vgpr2
	s_and_saveexec_b64 s[8:9], vcc
	s_xor_b64 s[8:9], exec, s[8:9]
	s_cbranch_execz .LBB15_2235
; %bb.2178:
	v_bfe_u32 v2, v7, 21, 1
	s_mov_b32 s10, 0x88fffff
	v_add3_u32 v2, v7, v2, s10
	s_mov_b64 s[4:5], exec
	v_lshrrev_b32_e32 v2, 21, v2
	s_andn2_saveexec_b64 s[8:9], s[8:9]
	s_cbranch_execnz .LBB15_2236
.LBB15_2179:
	s_or_b64 exec, exec, s[8:9]
	v_mov_b32_e32 v3, 0
	s_and_saveexec_b64 s[8:9], s[4:5]
.LBB15_2180:
	v_lshrrev_b32_e32 v3, 24, v7
	s_movk_i32 s4, 0x80
	v_and_or_b32 v3, v3, s4, v2
.LBB15_2181:
	s_or_b64 exec, exec, s[8:9]
.LBB15_2182:
	s_or_b64 exec, exec, s[2:3]
	s_mov_b64 s[2:3], 0
	global_store_byte v[0:1], v3, off
.LBB15_2183:
	s_and_b64 vcc, exec, s[2:3]
	s_cbranch_vccz .LBB15_2193
; %bb.2184:
	v_and_b32_e32 v3, 0x7fffffff, v7
	s_mov_b32 s2, 0x43f00000
	v_cmp_gt_u32_e32 vcc, s2, v3
                                        ; implicit-def: $vgpr2
	s_and_saveexec_b64 s[2:3], vcc
	s_xor_b64 s[2:3], exec, s[2:3]
	s_cbranch_execz .LBB15_2190
; %bb.2185:
	s_mov_b32 s4, 0x3c7fffff
	v_cmp_lt_u32_e32 vcc, s4, v3
                                        ; implicit-def: $vgpr2
	s_and_saveexec_b64 s[4:5], vcc
	s_xor_b64 s[4:5], exec, s[4:5]
; %bb.2186:
	v_bfe_u32 v2, v7, 20, 1
	s_mov_b32 s8, 0x407ffff
	v_add3_u32 v2, v7, v2, s8
	v_lshrrev_b32_e32 v3, 20, v2
	v_and_b32_e32 v2, 0xff00000, v2
	s_mov_b32 s8, 0x7f00000
	v_mov_b32_e32 v4, 0x7e
	v_cmp_ne_u32_e32 vcc, s8, v2
	v_cndmask_b32_e32 v2, v4, v3, vcc
; %bb.2187:
	s_andn2_saveexec_b64 s[4:5], s[4:5]
; %bb.2188:
	s_mov_b32 s8, 0x46800000
	v_add_f32_e64 v2, |v7|, s8
; %bb.2189:
	s_or_b64 exec, exec, s[4:5]
                                        ; implicit-def: $vgpr3
.LBB15_2190:
	s_andn2_saveexec_b64 s[2:3], s[2:3]
; %bb.2191:
	s_mov_b32 s4, 0x7f800000
	v_mov_b32_e32 v2, 0x7e
	v_mov_b32_e32 v4, 0x7f
	v_cmp_lt_u32_e32 vcc, s4, v3
	v_cndmask_b32_e32 v2, v2, v4, vcc
; %bb.2192:
	s_or_b64 exec, exec, s[2:3]
	v_lshrrev_b32_e32 v3, 24, v7
	s_movk_i32 s2, 0x80
	v_and_or_b32 v2, v3, s2, v2
	global_store_byte v[0:1], v2, off
.LBB15_2193:
	s_mov_b64 s[2:3], 0
.LBB15_2194:
	s_andn2_b64 vcc, exec, s[2:3]
	s_cbranch_vccnz .LBB15_2204
; %bb.2195:
	v_and_b32_e32 v3, 0x7fffffff, v7
	s_mov_b32 s2, 0x47800000
	v_cmp_gt_u32_e32 vcc, s2, v3
                                        ; implicit-def: $vgpr2
	s_and_saveexec_b64 s[2:3], vcc
	s_xor_b64 s[2:3], exec, s[2:3]
	s_cbranch_execz .LBB15_2201
; %bb.2196:
	s_mov_b32 s4, 0x387fffff
	v_cmp_lt_u32_e32 vcc, s4, v3
                                        ; implicit-def: $vgpr2
	s_and_saveexec_b64 s[4:5], vcc
	s_xor_b64 s[4:5], exec, s[4:5]
; %bb.2197:
	v_bfe_u32 v2, v7, 21, 1
	s_mov_b32 s8, 0x80fffff
	v_add3_u32 v2, v7, v2, s8
	v_lshrrev_b32_e32 v2, 21, v2
; %bb.2198:
	s_andn2_saveexec_b64 s[4:5], s[4:5]
; %bb.2199:
	s_mov_b32 s8, 0x43000000
	v_add_f32_e64 v2, |v7|, s8
; %bb.2200:
	s_or_b64 exec, exec, s[4:5]
                                        ; implicit-def: $vgpr3
.LBB15_2201:
	s_andn2_saveexec_b64 s[2:3], s[2:3]
; %bb.2202:
	s_mov_b32 s4, 0x7f800000
	v_mov_b32_e32 v2, 0x7c
	v_mov_b32_e32 v4, 0x7f
	v_cmp_lt_u32_e32 vcc, s4, v3
	v_cndmask_b32_e32 v2, v2, v4, vcc
; %bb.2203:
	s_or_b64 exec, exec, s[2:3]
	v_lshrrev_b32_e32 v3, 24, v7
	s_movk_i32 s2, 0x80
	v_and_or_b32 v2, v3, s2, v2
	global_store_byte v[0:1], v2, off
.LBB15_2204:
	s_mov_b64 s[2:3], 0
.LBB15_2205:
	s_andn2_b64 vcc, exec, s[2:3]
	s_mov_b64 s[2:3], 0
	s_cbranch_vccnz .LBB15_2212
; %bb.2206:
	s_cmp_gt_i32 s14, 14
	s_mov_b64 s[4:5], -1
	s_cbranch_scc0 .LBB15_2210
; %bb.2207:
	s_cmp_eq_u32 s14, 15
	s_mov_b64 s[0:1], -1
	s_cbranch_scc0 .LBB15_2209
; %bb.2208:
	v_bfe_u32 v2, v7, 16, 1
	s_movk_i32 s0, 0x7fff
	v_add3_u32 v2, v7, v2, s0
	v_cmp_o_f32_e32 vcc, v7, v7
	v_mov_b32_e32 v3, 0x7fc0
	v_cndmask_b32_sdwa v2, v3, v2, vcc dst_sel:DWORD dst_unused:UNUSED_PAD src0_sel:DWORD src1_sel:WORD_1
	global_store_short v[0:1], v2, off
	s_mov_b64 s[0:1], 0
.LBB15_2209:
	s_mov_b64 s[4:5], 0
.LBB15_2210:
	s_and_b64 vcc, exec, s[4:5]
	s_cbranch_vccz .LBB15_2212
; %bb.2211:
	s_cmp_lg_u32 s14, 11
	s_mov_b64 s[2:3], -1
	s_cselect_b64 s[0:1], -1, 0
.LBB15_2212:
	s_and_b64 vcc, exec, s[0:1]
	s_cbranch_vccnz .LBB15_2234
.LBB15_2213:
	s_mov_b64 s[0:1], 0
	s_branch .LBB15_1815
.LBB15_2214:
	s_mov_b64 s[0:1], 0
                                        ; implicit-def: $vgpr0_vgpr1
                                        ; implicit-def: $sgpr16
	s_branch .LBB15_1814
.LBB15_2215:
	s_mov_b64 s[2:3], 0
	s_mov_b64 s[0:1], -1
	s_branch .LBB15_1815
.LBB15_2216:
	s_trap 2
	s_or_b64 s[12:13], s[12:13], exec
	s_cbranch_execz .LBB15_1673
	s_branch .LBB15_1674
.LBB15_2217:
	s_andn2_saveexec_b64 s[14:15], s[14:15]
	s_cbranch_execz .LBB15_1763
.LBB15_2218:
	s_mov_b32 s18, 0x46000000
	v_add_f32_e64 v6, |v5|, s18
	v_and_b32_e32 v6, 0xff, v6
	v_cmp_ne_u32_e32 vcc, 0, v6
	s_andn2_b64 s[10:11], s[10:11], exec
	s_and_b64 s[18:19], vcc, exec
	s_or_b64 s[10:11], s[10:11], s[18:19]
	s_or_b64 exec, exec, s[14:15]
	v_mov_b32_e32 v10, 0
	s_and_saveexec_b64 s[14:15], s[10:11]
	s_cbranch_execnz .LBB15_1764
	s_branch .LBB15_1765
.LBB15_2219:
	s_trap 2
	s_or_b64 s[12:13], s[12:13], exec
	s_cbranch_execz .LBB15_1811
	s_branch .LBB15_1812
.LBB15_2220:
	s_andn2_saveexec_b64 s[10:11], s[10:11]
	s_cbranch_execz .LBB15_1776
.LBB15_2221:
	s_mov_b32 s14, 0x42800000
	v_add_f32_e64 v6, |v5|, s14
	v_and_b32_e32 v6, 0xff, v6
	v_cmp_ne_u32_e32 vcc, 0, v6
	s_andn2_b64 s[4:5], s[4:5], exec
	s_and_b64 s[14:15], vcc, exec
	s_or_b64 s[4:5], s[4:5], s[14:15]
	s_or_b64 exec, exec, s[10:11]
	v_mov_b32_e32 v10, 0
	s_and_saveexec_b64 s[10:11], s[4:5]
	s_cbranch_execnz .LBB15_1777
	s_branch .LBB15_1778
.LBB15_2222:
	s_andn2_saveexec_b64 s[14:15], s[14:15]
	s_cbranch_execz .LBB15_1928
.LBB15_2223:
	s_mov_b32 s18, 0x46000000
	v_add_f32_e64 v4, |v3|, s18
	v_and_b32_e32 v4, 0xff, v4
	v_cmp_ne_u32_e32 vcc, 0, v4
	s_andn2_b64 s[10:11], s[10:11], exec
	s_and_b64 s[18:19], vcc, exec
	s_or_b64 s[10:11], s[10:11], s[18:19]
	s_or_b64 exec, exec, s[14:15]
	v_mov_b32_e32 v8, 0
	s_and_saveexec_b64 s[14:15], s[10:11]
	s_cbranch_execnz .LBB15_1929
	s_branch .LBB15_1930
.LBB15_2224:
	s_trap 2
	s_or_b64 s[12:13], s[12:13], exec
	s_cbranch_execz .LBB15_1976
	s_branch .LBB15_1977
.LBB15_2225:
	s_andn2_saveexec_b64 s[10:11], s[10:11]
	s_cbranch_execz .LBB15_1941
.LBB15_2226:
	s_mov_b32 s14, 0x42800000
	v_add_f32_e64 v4, |v3|, s14
	v_and_b32_e32 v4, 0xff, v4
	v_cmp_ne_u32_e32 vcc, 0, v4
	s_andn2_b64 s[4:5], s[4:5], exec
	s_and_b64 s[14:15], vcc, exec
	s_or_b64 s[4:5], s[4:5], s[14:15]
	s_or_b64 exec, exec, s[10:11]
	v_mov_b32_e32 v8, 0
	s_and_saveexec_b64 s[10:11], s[4:5]
	s_cbranch_execnz .LBB15_1942
	s_branch .LBB15_1943
.LBB15_2227:
	s_andn2_saveexec_b64 s[14:15], s[14:15]
	s_cbranch_execz .LBB15_2047
.LBB15_2228:
	s_mov_b32 s18, 0x46000000
	v_add_f32_e64 v2, |v1|, s18
	v_and_b32_e32 v2, 0xff, v2
	v_cmp_ne_u32_e32 vcc, 0, v2
	s_andn2_b64 s[10:11], s[10:11], exec
	s_and_b64 s[18:19], vcc, exec
	s_or_b64 s[10:11], s[10:11], s[18:19]
	s_or_b64 exec, exec, s[14:15]
	v_mov_b32_e32 v5, 0
	s_and_saveexec_b64 s[14:15], s[10:11]
	s_cbranch_execnz .LBB15_2048
	s_branch .LBB15_2049
.LBB15_2229:
	s_trap 2
	s_or_b64 s[12:13], s[12:13], exec
	s_cbranch_execz .LBB15_2095
	s_branch .LBB15_2096
.LBB15_2230:
	s_andn2_saveexec_b64 s[10:11], s[10:11]
	s_cbranch_execz .LBB15_2060
.LBB15_2231:
	s_mov_b32 s14, 0x42800000
	v_add_f32_e64 v2, |v1|, s14
	v_and_b32_e32 v2, 0xff, v2
	v_cmp_ne_u32_e32 vcc, 0, v2
	s_andn2_b64 s[4:5], s[4:5], exec
	s_and_b64 s[14:15], vcc, exec
	s_or_b64 s[4:5], s[4:5], s[14:15]
	s_or_b64 exec, exec, s[10:11]
	v_mov_b32_e32 v5, 0
	s_and_saveexec_b64 s[10:11], s[4:5]
	s_cbranch_execnz .LBB15_2061
	s_branch .LBB15_2062
.LBB15_2232:
	s_andn2_saveexec_b64 s[10:11], s[10:11]
	s_cbranch_execz .LBB15_2167
.LBB15_2233:
	s_mov_b32 s15, 0x46000000
	v_add_f32_e64 v2, |v7|, s15
	v_and_b32_e32 v2, 0xff, v2
	v_cmp_ne_u32_e32 vcc, 0, v2
	s_andn2_b64 s[8:9], s[8:9], exec
	s_and_b64 s[18:19], vcc, exec
	s_or_b64 s[8:9], s[8:9], s[18:19]
	s_or_b64 exec, exec, s[10:11]
	v_mov_b32_e32 v3, 0
	s_and_saveexec_b64 s[10:11], s[8:9]
	s_cbranch_execnz .LBB15_2168
	s_branch .LBB15_2169
.LBB15_2234:
	s_mov_b64 s[2:3], 0
	s_or_b64 s[12:13], s[12:13], exec
	s_trap 2
	s_branch .LBB15_2213
.LBB15_2235:
	s_andn2_saveexec_b64 s[8:9], s[8:9]
	s_cbranch_execz .LBB15_2179
.LBB15_2236:
	s_mov_b32 s10, 0x42800000
	v_add_f32_e64 v2, |v7|, s10
	v_and_b32_e32 v2, 0xff, v2
	v_cmp_ne_u32_e32 vcc, 0, v2
	s_andn2_b64 s[4:5], s[4:5], exec
	s_and_b64 s[10:11], vcc, exec
	s_or_b64 s[4:5], s[4:5], s[10:11]
	s_or_b64 exec, exec, s[8:9]
	v_mov_b32_e32 v3, 0
	s_and_saveexec_b64 s[8:9], s[4:5]
	s_cbranch_execnz .LBB15_2180
	s_branch .LBB15_2181
	.section	.rodata,"a",@progbits
	.p2align	6, 0x0
	.amdhsa_kernel _ZN2at6native32elementwise_kernel_manual_unrollILi128ELi4EZNS0_15gpu_kernel_implIZZZNS0_12_GLOBAL__N_131spherical_bessel_j0_kernel_cudaERNS_18TensorIteratorBaseEENKUlvE_clEvENKUlvE0_clEvEUlfE_EEvS5_RKT_EUlibE0_EEviT1_
		.amdhsa_group_segment_fixed_size 0
		.amdhsa_private_segment_fixed_size 0
		.amdhsa_kernarg_size 360
		.amdhsa_user_sgpr_count 6
		.amdhsa_user_sgpr_private_segment_buffer 1
		.amdhsa_user_sgpr_dispatch_ptr 0
		.amdhsa_user_sgpr_queue_ptr 0
		.amdhsa_user_sgpr_kernarg_segment_ptr 1
		.amdhsa_user_sgpr_dispatch_id 0
		.amdhsa_user_sgpr_flat_scratch_init 0
		.amdhsa_user_sgpr_private_segment_size 0
		.amdhsa_uses_dynamic_stack 0
		.amdhsa_system_sgpr_private_segment_wavefront_offset 0
		.amdhsa_system_sgpr_workgroup_id_x 1
		.amdhsa_system_sgpr_workgroup_id_y 0
		.amdhsa_system_sgpr_workgroup_id_z 0
		.amdhsa_system_sgpr_workgroup_info 0
		.amdhsa_system_vgpr_workitem_id 0
		.amdhsa_next_free_vgpr 21
		.amdhsa_next_free_sgpr 78
		.amdhsa_reserve_vcc 1
		.amdhsa_reserve_flat_scratch 0
		.amdhsa_float_round_mode_32 0
		.amdhsa_float_round_mode_16_64 0
		.amdhsa_float_denorm_mode_32 3
		.amdhsa_float_denorm_mode_16_64 3
		.amdhsa_dx10_clamp 1
		.amdhsa_ieee_mode 1
		.amdhsa_fp16_overflow 0
		.amdhsa_exception_fp_ieee_invalid_op 0
		.amdhsa_exception_fp_denorm_src 0
		.amdhsa_exception_fp_ieee_div_zero 0
		.amdhsa_exception_fp_ieee_overflow 0
		.amdhsa_exception_fp_ieee_underflow 0
		.amdhsa_exception_fp_ieee_inexact 0
		.amdhsa_exception_int_div_zero 0
	.end_amdhsa_kernel
	.section	.text._ZN2at6native32elementwise_kernel_manual_unrollILi128ELi4EZNS0_15gpu_kernel_implIZZZNS0_12_GLOBAL__N_131spherical_bessel_j0_kernel_cudaERNS_18TensorIteratorBaseEENKUlvE_clEvENKUlvE0_clEvEUlfE_EEvS5_RKT_EUlibE0_EEviT1_,"axG",@progbits,_ZN2at6native32elementwise_kernel_manual_unrollILi128ELi4EZNS0_15gpu_kernel_implIZZZNS0_12_GLOBAL__N_131spherical_bessel_j0_kernel_cudaERNS_18TensorIteratorBaseEENKUlvE_clEvENKUlvE0_clEvEUlfE_EEvS5_RKT_EUlibE0_EEviT1_,comdat
.Lfunc_end15:
	.size	_ZN2at6native32elementwise_kernel_manual_unrollILi128ELi4EZNS0_15gpu_kernel_implIZZZNS0_12_GLOBAL__N_131spherical_bessel_j0_kernel_cudaERNS_18TensorIteratorBaseEENKUlvE_clEvENKUlvE0_clEvEUlfE_EEvS5_RKT_EUlibE0_EEviT1_, .Lfunc_end15-_ZN2at6native32elementwise_kernel_manual_unrollILi128ELi4EZNS0_15gpu_kernel_implIZZZNS0_12_GLOBAL__N_131spherical_bessel_j0_kernel_cudaERNS_18TensorIteratorBaseEENKUlvE_clEvENKUlvE0_clEvEUlfE_EEvS5_RKT_EUlibE0_EEviT1_
                                        ; -- End function
	.set _ZN2at6native32elementwise_kernel_manual_unrollILi128ELi4EZNS0_15gpu_kernel_implIZZZNS0_12_GLOBAL__N_131spherical_bessel_j0_kernel_cudaERNS_18TensorIteratorBaseEENKUlvE_clEvENKUlvE0_clEvEUlfE_EEvS5_RKT_EUlibE0_EEviT1_.num_vgpr, 21
	.set _ZN2at6native32elementwise_kernel_manual_unrollILi128ELi4EZNS0_15gpu_kernel_implIZZZNS0_12_GLOBAL__N_131spherical_bessel_j0_kernel_cudaERNS_18TensorIteratorBaseEENKUlvE_clEvENKUlvE0_clEvEUlfE_EEvS5_RKT_EUlibE0_EEviT1_.num_agpr, 0
	.set _ZN2at6native32elementwise_kernel_manual_unrollILi128ELi4EZNS0_15gpu_kernel_implIZZZNS0_12_GLOBAL__N_131spherical_bessel_j0_kernel_cudaERNS_18TensorIteratorBaseEENKUlvE_clEvENKUlvE0_clEvEUlfE_EEvS5_RKT_EUlibE0_EEviT1_.numbered_sgpr, 78
	.set _ZN2at6native32elementwise_kernel_manual_unrollILi128ELi4EZNS0_15gpu_kernel_implIZZZNS0_12_GLOBAL__N_131spherical_bessel_j0_kernel_cudaERNS_18TensorIteratorBaseEENKUlvE_clEvENKUlvE0_clEvEUlfE_EEvS5_RKT_EUlibE0_EEviT1_.num_named_barrier, 0
	.set _ZN2at6native32elementwise_kernel_manual_unrollILi128ELi4EZNS0_15gpu_kernel_implIZZZNS0_12_GLOBAL__N_131spherical_bessel_j0_kernel_cudaERNS_18TensorIteratorBaseEENKUlvE_clEvENKUlvE0_clEvEUlfE_EEvS5_RKT_EUlibE0_EEviT1_.private_seg_size, 0
	.set _ZN2at6native32elementwise_kernel_manual_unrollILi128ELi4EZNS0_15gpu_kernel_implIZZZNS0_12_GLOBAL__N_131spherical_bessel_j0_kernel_cudaERNS_18TensorIteratorBaseEENKUlvE_clEvENKUlvE0_clEvEUlfE_EEvS5_RKT_EUlibE0_EEviT1_.uses_vcc, 1
	.set _ZN2at6native32elementwise_kernel_manual_unrollILi128ELi4EZNS0_15gpu_kernel_implIZZZNS0_12_GLOBAL__N_131spherical_bessel_j0_kernel_cudaERNS_18TensorIteratorBaseEENKUlvE_clEvENKUlvE0_clEvEUlfE_EEvS5_RKT_EUlibE0_EEviT1_.uses_flat_scratch, 0
	.set _ZN2at6native32elementwise_kernel_manual_unrollILi128ELi4EZNS0_15gpu_kernel_implIZZZNS0_12_GLOBAL__N_131spherical_bessel_j0_kernel_cudaERNS_18TensorIteratorBaseEENKUlvE_clEvENKUlvE0_clEvEUlfE_EEvS5_RKT_EUlibE0_EEviT1_.has_dyn_sized_stack, 0
	.set _ZN2at6native32elementwise_kernel_manual_unrollILi128ELi4EZNS0_15gpu_kernel_implIZZZNS0_12_GLOBAL__N_131spherical_bessel_j0_kernel_cudaERNS_18TensorIteratorBaseEENKUlvE_clEvENKUlvE0_clEvEUlfE_EEvS5_RKT_EUlibE0_EEviT1_.has_recursion, 0
	.set _ZN2at6native32elementwise_kernel_manual_unrollILi128ELi4EZNS0_15gpu_kernel_implIZZZNS0_12_GLOBAL__N_131spherical_bessel_j0_kernel_cudaERNS_18TensorIteratorBaseEENKUlvE_clEvENKUlvE0_clEvEUlfE_EEvS5_RKT_EUlibE0_EEviT1_.has_indirect_call, 0
	.section	.AMDGPU.csdata,"",@progbits
; Kernel info:
; codeLenInByte = 45984
; TotalNumSgprs: 82
; NumVgprs: 21
; ScratchSize: 0
; MemoryBound: 1
; FloatMode: 240
; IeeeMode: 1
; LDSByteSize: 0 bytes/workgroup (compile time only)
; SGPRBlocks: 10
; VGPRBlocks: 5
; NumSGPRsForWavesPerEU: 82
; NumVGPRsForWavesPerEU: 21
; Occupancy: 9
; WaveLimiterHint : 1
; COMPUTE_PGM_RSRC2:SCRATCH_EN: 0
; COMPUTE_PGM_RSRC2:USER_SGPR: 6
; COMPUTE_PGM_RSRC2:TRAP_HANDLER: 0
; COMPUTE_PGM_RSRC2:TGID_X_EN: 1
; COMPUTE_PGM_RSRC2:TGID_Y_EN: 0
; COMPUTE_PGM_RSRC2:TGID_Z_EN: 0
; COMPUTE_PGM_RSRC2:TIDIG_COMP_CNT: 0
	.section	.AMDGPU.gpr_maximums,"",@progbits
	.set amdgpu.max_num_vgpr, 0
	.set amdgpu.max_num_agpr, 0
	.set amdgpu.max_num_sgpr, 0
	.section	.AMDGPU.csdata,"",@progbits
	.type	__hip_cuid_b15d07a8216b2a86,@object ; @__hip_cuid_b15d07a8216b2a86
	.section	.bss,"aw",@nobits
	.globl	__hip_cuid_b15d07a8216b2a86
__hip_cuid_b15d07a8216b2a86:
	.byte	0                               ; 0x0
	.size	__hip_cuid_b15d07a8216b2a86, 1

	.ident	"AMD clang version 22.0.0git (https://github.com/RadeonOpenCompute/llvm-project roc-7.2.4 26084 f58b06dce1f9c15707c5f808fd002e18c2accf7e)"
	.section	".note.GNU-stack","",@progbits
	.addrsig
	.addrsig_sym __hip_cuid_b15d07a8216b2a86
	.amdgpu_metadata
---
amdhsa.kernels:
  - .args:
      - .offset:         0
        .size:           4
        .value_kind:     by_value
      - .offset:         4
        .size:           1
        .value_kind:     by_value
      - .offset:         8
        .size:           16
        .value_kind:     by_value
    .group_segment_fixed_size: 0
    .kernarg_segment_align: 8
    .kernarg_segment_size: 24
    .language:       OpenCL C
    .language_version:
      - 2
      - 0
    .max_flat_workgroup_size: 256
    .name:           _ZN2at6native29vectorized_elementwise_kernelILi16EZZZNS0_12_GLOBAL__N_131spherical_bessel_j0_kernel_cudaERNS_18TensorIteratorBaseEENKUlvE_clEvENKUlvE_clEvEUldE_St5arrayIPcLm2EEEEviT0_T1_
    .private_segment_fixed_size: 0
    .sgpr_count:     26
    .sgpr_spill_count: 0
    .symbol:         _ZN2at6native29vectorized_elementwise_kernelILi16EZZZNS0_12_GLOBAL__N_131spherical_bessel_j0_kernel_cudaERNS_18TensorIteratorBaseEENKUlvE_clEvENKUlvE_clEvEUldE_St5arrayIPcLm2EEEEviT0_T1_.kd
    .uniform_work_group_size: 1
    .uses_dynamic_stack: false
    .vgpr_count:     47
    .vgpr_spill_count: 0
    .wavefront_size: 64
  - .args:
      - .offset:         0
        .size:           4
        .value_kind:     by_value
      - .offset:         4
        .size:           1
        .value_kind:     by_value
      - .offset:         8
        .size:           16
        .value_kind:     by_value
    .group_segment_fixed_size: 0
    .kernarg_segment_align: 8
    .kernarg_segment_size: 24
    .language:       OpenCL C
    .language_version:
      - 2
      - 0
    .max_flat_workgroup_size: 256
    .name:           _ZN2at6native29vectorized_elementwise_kernelILi8EZZZNS0_12_GLOBAL__N_131spherical_bessel_j0_kernel_cudaERNS_18TensorIteratorBaseEENKUlvE_clEvENKUlvE_clEvEUldE_St5arrayIPcLm2EEEEviT0_T1_
    .private_segment_fixed_size: 0
    .sgpr_count:     26
    .sgpr_spill_count: 0
    .symbol:         _ZN2at6native29vectorized_elementwise_kernelILi8EZZZNS0_12_GLOBAL__N_131spherical_bessel_j0_kernel_cudaERNS_18TensorIteratorBaseEENKUlvE_clEvENKUlvE_clEvEUldE_St5arrayIPcLm2EEEEviT0_T1_.kd
    .uniform_work_group_size: 1
    .uses_dynamic_stack: false
    .vgpr_count:     47
    .vgpr_spill_count: 0
    .wavefront_size: 64
  - .args:
      - .offset:         0
        .size:           4
        .value_kind:     by_value
      - .offset:         4
        .size:           1
        .value_kind:     by_value
      - .offset:         8
        .size:           16
        .value_kind:     by_value
    .group_segment_fixed_size: 0
    .kernarg_segment_align: 8
    .kernarg_segment_size: 24
    .language:       OpenCL C
    .language_version:
      - 2
      - 0
    .max_flat_workgroup_size: 256
    .name:           _ZN2at6native29vectorized_elementwise_kernelILi4EZZZNS0_12_GLOBAL__N_131spherical_bessel_j0_kernel_cudaERNS_18TensorIteratorBaseEENKUlvE_clEvENKUlvE_clEvEUldE_St5arrayIPcLm2EEEEviT0_T1_
    .private_segment_fixed_size: 0
    .sgpr_count:     26
    .sgpr_spill_count: 0
    .symbol:         _ZN2at6native29vectorized_elementwise_kernelILi4EZZZNS0_12_GLOBAL__N_131spherical_bessel_j0_kernel_cudaERNS_18TensorIteratorBaseEENKUlvE_clEvENKUlvE_clEvEUldE_St5arrayIPcLm2EEEEviT0_T1_.kd
    .uniform_work_group_size: 1
    .uses_dynamic_stack: false
    .vgpr_count:     47
    .vgpr_spill_count: 0
    .wavefront_size: 64
  - .args:
      - .offset:         0
        .size:           4
        .value_kind:     by_value
      - .offset:         4
        .size:           1
        .value_kind:     by_value
      - .offset:         8
        .size:           16
        .value_kind:     by_value
    .group_segment_fixed_size: 0
    .kernarg_segment_align: 8
    .kernarg_segment_size: 24
    .language:       OpenCL C
    .language_version:
      - 2
      - 0
    .max_flat_workgroup_size: 256
    .name:           _ZN2at6native29vectorized_elementwise_kernelILi2EZZZNS0_12_GLOBAL__N_131spherical_bessel_j0_kernel_cudaERNS_18TensorIteratorBaseEENKUlvE_clEvENKUlvE_clEvEUldE_St5arrayIPcLm2EEEEviT0_T1_
    .private_segment_fixed_size: 0
    .sgpr_count:     26
    .sgpr_spill_count: 0
    .symbol:         _ZN2at6native29vectorized_elementwise_kernelILi2EZZZNS0_12_GLOBAL__N_131spherical_bessel_j0_kernel_cudaERNS_18TensorIteratorBaseEENKUlvE_clEvENKUlvE_clEvEUldE_St5arrayIPcLm2EEEEviT0_T1_.kd
    .uniform_work_group_size: 1
    .uses_dynamic_stack: false
    .vgpr_count:     47
    .vgpr_spill_count: 0
    .wavefront_size: 64
  - .args:
      - .offset:         0
        .size:           4
        .value_kind:     by_value
      - .offset:         4
        .size:           1
        .value_kind:     by_value
      - .offset:         8
        .size:           16
        .value_kind:     by_value
      - .offset:         24
        .size:           1
        .value_kind:     by_value
      - .offset:         25
        .size:           1
        .value_kind:     by_value
      - .offset:         26
        .size:           1
        .value_kind:     by_value
      - .offset:         27
        .size:           1
        .value_kind:     by_value
    .group_segment_fixed_size: 0
    .kernarg_segment_align: 8
    .kernarg_segment_size: 28
    .language:       OpenCL C
    .language_version:
      - 2
      - 0
    .max_flat_workgroup_size: 256
    .name:           _ZN2at6native27unrolled_elementwise_kernelIZZZNS0_12_GLOBAL__N_131spherical_bessel_j0_kernel_cudaERNS_18TensorIteratorBaseEENKUlvE_clEvENKUlvE_clEvEUldE_St5arrayIPcLm2EELi4E23TrivialOffsetCalculatorILi1EjESC_NS0_6memory15LoadWithoutCastENSD_16StoreWithoutCastEEEviT_T0_T2_T3_T4_T5_
    .private_segment_fixed_size: 0
    .sgpr_count:     22
    .sgpr_spill_count: 0
    .symbol:         _ZN2at6native27unrolled_elementwise_kernelIZZZNS0_12_GLOBAL__N_131spherical_bessel_j0_kernel_cudaERNS_18TensorIteratorBaseEENKUlvE_clEvENKUlvE_clEvEUldE_St5arrayIPcLm2EELi4E23TrivialOffsetCalculatorILi1EjESC_NS0_6memory15LoadWithoutCastENSD_16StoreWithoutCastEEEviT_T0_T2_T3_T4_T5_.kd
    .uniform_work_group_size: 1
    .uses_dynamic_stack: false
    .vgpr_count:     47
    .vgpr_spill_count: 0
    .wavefront_size: 64
  - .args:
      - .offset:         0
        .size:           4
        .value_kind:     by_value
      - .offset:         8
        .size:           352
        .value_kind:     by_value
    .group_segment_fixed_size: 0
    .kernarg_segment_align: 8
    .kernarg_segment_size: 360
    .language:       OpenCL C
    .language_version:
      - 2
      - 0
    .max_flat_workgroup_size: 128
    .name:           _ZN2at6native32elementwise_kernel_manual_unrollILi128ELi4EZNS0_22gpu_kernel_impl_nocastIZZZNS0_12_GLOBAL__N_131spherical_bessel_j0_kernel_cudaERNS_18TensorIteratorBaseEENKUlvE_clEvENKUlvE_clEvEUldE_EEvS5_RKT_EUlibE_EEviT1_
    .private_segment_fixed_size: 0
    .sgpr_count:     64
    .sgpr_spill_count: 0
    .symbol:         _ZN2at6native32elementwise_kernel_manual_unrollILi128ELi4EZNS0_22gpu_kernel_impl_nocastIZZZNS0_12_GLOBAL__N_131spherical_bessel_j0_kernel_cudaERNS_18TensorIteratorBaseEENKUlvE_clEvENKUlvE_clEvEUldE_EEvS5_RKT_EUlibE_EEviT1_.kd
    .uniform_work_group_size: 1
    .uses_dynamic_stack: false
    .vgpr_count:     46
    .vgpr_spill_count: 0
    .wavefront_size: 64
  - .args:
      - .offset:         0
        .size:           4
        .value_kind:     by_value
      - .offset:         8
        .size:           32
        .value_kind:     by_value
    .group_segment_fixed_size: 0
    .kernarg_segment_align: 8
    .kernarg_segment_size: 40
    .language:       OpenCL C
    .language_version:
      - 2
      - 0
    .max_flat_workgroup_size: 128
    .name:           _ZN2at6native32elementwise_kernel_manual_unrollILi128ELi4EZNS0_15gpu_kernel_implIZZZNS0_12_GLOBAL__N_131spherical_bessel_j0_kernel_cudaERNS_18TensorIteratorBaseEENKUlvE_clEvENKUlvE_clEvEUldE_EEvS5_RKT_EUlibE_EEviT1_
    .private_segment_fixed_size: 0
    .sgpr_count:     48
    .sgpr_spill_count: 0
    .symbol:         _ZN2at6native32elementwise_kernel_manual_unrollILi128ELi4EZNS0_15gpu_kernel_implIZZZNS0_12_GLOBAL__N_131spherical_bessel_j0_kernel_cudaERNS_18TensorIteratorBaseEENKUlvE_clEvENKUlvE_clEvEUldE_EEvS5_RKT_EUlibE_EEviT1_.kd
    .uniform_work_group_size: 1
    .uses_dynamic_stack: false
    .vgpr_count:     41
    .vgpr_spill_count: 0
    .wavefront_size: 64
  - .args:
      - .offset:         0
        .size:           4
        .value_kind:     by_value
      - .offset:         8
        .size:           352
        .value_kind:     by_value
    .group_segment_fixed_size: 0
    .kernarg_segment_align: 8
    .kernarg_segment_size: 360
    .language:       OpenCL C
    .language_version:
      - 2
      - 0
    .max_flat_workgroup_size: 128
    .name:           _ZN2at6native32elementwise_kernel_manual_unrollILi128ELi4EZNS0_15gpu_kernel_implIZZZNS0_12_GLOBAL__N_131spherical_bessel_j0_kernel_cudaERNS_18TensorIteratorBaseEENKUlvE_clEvENKUlvE_clEvEUldE_EEvS5_RKT_EUlibE0_EEviT1_
    .private_segment_fixed_size: 0
    .sgpr_count:     82
    .sgpr_spill_count: 0
    .symbol:         _ZN2at6native32elementwise_kernel_manual_unrollILi128ELi4EZNS0_15gpu_kernel_implIZZZNS0_12_GLOBAL__N_131spherical_bessel_j0_kernel_cudaERNS_18TensorIteratorBaseEENKUlvE_clEvENKUlvE_clEvEUldE_EEvS5_RKT_EUlibE0_EEviT1_.kd
    .uniform_work_group_size: 1
    .uses_dynamic_stack: false
    .vgpr_count:     47
    .vgpr_spill_count: 0
    .wavefront_size: 64
  - .args:
      - .offset:         0
        .size:           4
        .value_kind:     by_value
      - .offset:         4
        .size:           1
        .value_kind:     by_value
      - .offset:         8
        .size:           16
        .value_kind:     by_value
    .group_segment_fixed_size: 0
    .kernarg_segment_align: 8
    .kernarg_segment_size: 24
    .language:       OpenCL C
    .language_version:
      - 2
      - 0
    .max_flat_workgroup_size: 256
    .name:           _ZN2at6native29vectorized_elementwise_kernelILi16EZZZNS0_12_GLOBAL__N_131spherical_bessel_j0_kernel_cudaERNS_18TensorIteratorBaseEENKUlvE_clEvENKUlvE0_clEvEUlfE_St5arrayIPcLm2EEEEviT0_T1_
    .private_segment_fixed_size: 0
    .sgpr_count:     25
    .sgpr_spill_count: 0
    .symbol:         _ZN2at6native29vectorized_elementwise_kernelILi16EZZZNS0_12_GLOBAL__N_131spherical_bessel_j0_kernel_cudaERNS_18TensorIteratorBaseEENKUlvE_clEvENKUlvE0_clEvEUlfE_St5arrayIPcLm2EEEEviT0_T1_.kd
    .uniform_work_group_size: 1
    .uses_dynamic_stack: false
    .vgpr_count:     22
    .vgpr_spill_count: 0
    .wavefront_size: 64
  - .args:
      - .offset:         0
        .size:           4
        .value_kind:     by_value
      - .offset:         4
        .size:           1
        .value_kind:     by_value
      - .offset:         8
        .size:           16
        .value_kind:     by_value
    .group_segment_fixed_size: 0
    .kernarg_segment_align: 8
    .kernarg_segment_size: 24
    .language:       OpenCL C
    .language_version:
      - 2
      - 0
    .max_flat_workgroup_size: 256
    .name:           _ZN2at6native29vectorized_elementwise_kernelILi8EZZZNS0_12_GLOBAL__N_131spherical_bessel_j0_kernel_cudaERNS_18TensorIteratorBaseEENKUlvE_clEvENKUlvE0_clEvEUlfE_St5arrayIPcLm2EEEEviT0_T1_
    .private_segment_fixed_size: 0
    .sgpr_count:     25
    .sgpr_spill_count: 0
    .symbol:         _ZN2at6native29vectorized_elementwise_kernelILi8EZZZNS0_12_GLOBAL__N_131spherical_bessel_j0_kernel_cudaERNS_18TensorIteratorBaseEENKUlvE_clEvENKUlvE0_clEvEUlfE_St5arrayIPcLm2EEEEviT0_T1_.kd
    .uniform_work_group_size: 1
    .uses_dynamic_stack: false
    .vgpr_count:     22
    .vgpr_spill_count: 0
    .wavefront_size: 64
  - .args:
      - .offset:         0
        .size:           4
        .value_kind:     by_value
      - .offset:         4
        .size:           1
        .value_kind:     by_value
      - .offset:         8
        .size:           16
        .value_kind:     by_value
    .group_segment_fixed_size: 0
    .kernarg_segment_align: 8
    .kernarg_segment_size: 24
    .language:       OpenCL C
    .language_version:
      - 2
      - 0
    .max_flat_workgroup_size: 256
    .name:           _ZN2at6native29vectorized_elementwise_kernelILi4EZZZNS0_12_GLOBAL__N_131spherical_bessel_j0_kernel_cudaERNS_18TensorIteratorBaseEENKUlvE_clEvENKUlvE0_clEvEUlfE_St5arrayIPcLm2EEEEviT0_T1_
    .private_segment_fixed_size: 0
    .sgpr_count:     25
    .sgpr_spill_count: 0
    .symbol:         _ZN2at6native29vectorized_elementwise_kernelILi4EZZZNS0_12_GLOBAL__N_131spherical_bessel_j0_kernel_cudaERNS_18TensorIteratorBaseEENKUlvE_clEvENKUlvE0_clEvEUlfE_St5arrayIPcLm2EEEEviT0_T1_.kd
    .uniform_work_group_size: 1
    .uses_dynamic_stack: false
    .vgpr_count:     22
    .vgpr_spill_count: 0
    .wavefront_size: 64
  - .args:
      - .offset:         0
        .size:           4
        .value_kind:     by_value
      - .offset:         4
        .size:           1
        .value_kind:     by_value
      - .offset:         8
        .size:           16
        .value_kind:     by_value
    .group_segment_fixed_size: 0
    .kernarg_segment_align: 8
    .kernarg_segment_size: 24
    .language:       OpenCL C
    .language_version:
      - 2
      - 0
    .max_flat_workgroup_size: 256
    .name:           _ZN2at6native29vectorized_elementwise_kernelILi2EZZZNS0_12_GLOBAL__N_131spherical_bessel_j0_kernel_cudaERNS_18TensorIteratorBaseEENKUlvE_clEvENKUlvE0_clEvEUlfE_St5arrayIPcLm2EEEEviT0_T1_
    .private_segment_fixed_size: 0
    .sgpr_count:     25
    .sgpr_spill_count: 0
    .symbol:         _ZN2at6native29vectorized_elementwise_kernelILi2EZZZNS0_12_GLOBAL__N_131spherical_bessel_j0_kernel_cudaERNS_18TensorIteratorBaseEENKUlvE_clEvENKUlvE0_clEvEUlfE_St5arrayIPcLm2EEEEviT0_T1_.kd
    .uniform_work_group_size: 1
    .uses_dynamic_stack: false
    .vgpr_count:     22
    .vgpr_spill_count: 0
    .wavefront_size: 64
  - .args:
      - .offset:         0
        .size:           4
        .value_kind:     by_value
      - .offset:         4
        .size:           1
        .value_kind:     by_value
      - .offset:         8
        .size:           16
        .value_kind:     by_value
      - .offset:         24
        .size:           1
        .value_kind:     by_value
      - .offset:         25
        .size:           1
        .value_kind:     by_value
      - .offset:         26
        .size:           1
        .value_kind:     by_value
      - .offset:         27
        .size:           1
        .value_kind:     by_value
    .group_segment_fixed_size: 0
    .kernarg_segment_align: 8
    .kernarg_segment_size: 28
    .language:       OpenCL C
    .language_version:
      - 2
      - 0
    .max_flat_workgroup_size: 256
    .name:           _ZN2at6native27unrolled_elementwise_kernelIZZZNS0_12_GLOBAL__N_131spherical_bessel_j0_kernel_cudaERNS_18TensorIteratorBaseEENKUlvE_clEvENKUlvE0_clEvEUlfE_St5arrayIPcLm2EELi4E23TrivialOffsetCalculatorILi1EjESC_NS0_6memory15LoadWithoutCastENSD_16StoreWithoutCastEEEviT_T0_T2_T3_T4_T5_
    .private_segment_fixed_size: 0
    .sgpr_count:     24
    .sgpr_spill_count: 0
    .symbol:         _ZN2at6native27unrolled_elementwise_kernelIZZZNS0_12_GLOBAL__N_131spherical_bessel_j0_kernel_cudaERNS_18TensorIteratorBaseEENKUlvE_clEvENKUlvE0_clEvEUlfE_St5arrayIPcLm2EELi4E23TrivialOffsetCalculatorILi1EjESC_NS0_6memory15LoadWithoutCastENSD_16StoreWithoutCastEEEviT_T0_T2_T3_T4_T5_.kd
    .uniform_work_group_size: 1
    .uses_dynamic_stack: false
    .vgpr_count:     22
    .vgpr_spill_count: 0
    .wavefront_size: 64
  - .args:
      - .offset:         0
        .size:           4
        .value_kind:     by_value
      - .offset:         8
        .size:           352
        .value_kind:     by_value
    .group_segment_fixed_size: 0
    .kernarg_segment_align: 8
    .kernarg_segment_size: 360
    .language:       OpenCL C
    .language_version:
      - 2
      - 0
    .max_flat_workgroup_size: 128
    .name:           _ZN2at6native32elementwise_kernel_manual_unrollILi128ELi4EZNS0_22gpu_kernel_impl_nocastIZZZNS0_12_GLOBAL__N_131spherical_bessel_j0_kernel_cudaERNS_18TensorIteratorBaseEENKUlvE_clEvENKUlvE0_clEvEUlfE_EEvS5_RKT_EUlibE_EEviT1_
    .private_segment_fixed_size: 0
    .sgpr_count:     64
    .sgpr_spill_count: 0
    .symbol:         _ZN2at6native32elementwise_kernel_manual_unrollILi128ELi4EZNS0_22gpu_kernel_impl_nocastIZZZNS0_12_GLOBAL__N_131spherical_bessel_j0_kernel_cudaERNS_18TensorIteratorBaseEENKUlvE_clEvENKUlvE0_clEvEUlfE_EEvS5_RKT_EUlibE_EEviT1_.kd
    .uniform_work_group_size: 1
    .uses_dynamic_stack: false
    .vgpr_count:     22
    .vgpr_spill_count: 0
    .wavefront_size: 64
  - .args:
      - .offset:         0
        .size:           4
        .value_kind:     by_value
      - .offset:         8
        .size:           32
        .value_kind:     by_value
    .group_segment_fixed_size: 0
    .kernarg_segment_align: 8
    .kernarg_segment_size: 40
    .language:       OpenCL C
    .language_version:
      - 2
      - 0
    .max_flat_workgroup_size: 128
    .name:           _ZN2at6native32elementwise_kernel_manual_unrollILi128ELi4EZNS0_15gpu_kernel_implIZZZNS0_12_GLOBAL__N_131spherical_bessel_j0_kernel_cudaERNS_18TensorIteratorBaseEENKUlvE_clEvENKUlvE0_clEvEUlfE_EEvS5_RKT_EUlibE_EEviT1_
    .private_segment_fixed_size: 0
    .sgpr_count:     48
    .sgpr_spill_count: 0
    .symbol:         _ZN2at6native32elementwise_kernel_manual_unrollILi128ELi4EZNS0_15gpu_kernel_implIZZZNS0_12_GLOBAL__N_131spherical_bessel_j0_kernel_cudaERNS_18TensorIteratorBaseEENKUlvE_clEvENKUlvE0_clEvEUlfE_EEvS5_RKT_EUlibE_EEviT1_.kd
    .uniform_work_group_size: 1
    .uses_dynamic_stack: false
    .vgpr_count:     18
    .vgpr_spill_count: 0
    .wavefront_size: 64
  - .args:
      - .offset:         0
        .size:           4
        .value_kind:     by_value
      - .offset:         8
        .size:           352
        .value_kind:     by_value
    .group_segment_fixed_size: 0
    .kernarg_segment_align: 8
    .kernarg_segment_size: 360
    .language:       OpenCL C
    .language_version:
      - 2
      - 0
    .max_flat_workgroup_size: 128
    .name:           _ZN2at6native32elementwise_kernel_manual_unrollILi128ELi4EZNS0_15gpu_kernel_implIZZZNS0_12_GLOBAL__N_131spherical_bessel_j0_kernel_cudaERNS_18TensorIteratorBaseEENKUlvE_clEvENKUlvE0_clEvEUlfE_EEvS5_RKT_EUlibE0_EEviT1_
    .private_segment_fixed_size: 0
    .sgpr_count:     82
    .sgpr_spill_count: 0
    .symbol:         _ZN2at6native32elementwise_kernel_manual_unrollILi128ELi4EZNS0_15gpu_kernel_implIZZZNS0_12_GLOBAL__N_131spherical_bessel_j0_kernel_cudaERNS_18TensorIteratorBaseEENKUlvE_clEvENKUlvE0_clEvEUlfE_EEvS5_RKT_EUlibE0_EEviT1_.kd
    .uniform_work_group_size: 1
    .uses_dynamic_stack: false
    .vgpr_count:     21
    .vgpr_spill_count: 0
    .wavefront_size: 64
amdhsa.target:   amdgcn-amd-amdhsa--gfx906
amdhsa.version:
  - 1
  - 2
...

	.end_amdgpu_metadata
